;; amdgpu-corpus repo=ggml-org/llama.cpp kind=compiled arch=gfx950 opt=O3
	.amdgcn_target "amdgcn-amd-amdhsa--gfx950"
	.amdhsa_code_object_version 6
	.section	.text._ZL15flash_attn_tileILi64ELi64ELi8ELi8ELb0EEvPKcS1_S1_S1_S1_PKiPfP15HIP_vector_typeIfLj2EEffffjfiS5_IjLj3EEiiiiiiiiiiiliiliiiiil,"axG",@progbits,_ZL15flash_attn_tileILi64ELi64ELi8ELi8ELb0EEvPKcS1_S1_S1_S1_PKiPfP15HIP_vector_typeIfLj2EEffffjfiS5_IjLj3EEiiiiiiiiiiiliiliiiiil,comdat
	.globl	_ZL15flash_attn_tileILi64ELi64ELi8ELi8ELb0EEvPKcS1_S1_S1_S1_PKiPfP15HIP_vector_typeIfLj2EEffffjfiS5_IjLj3EEiiiiiiiiiiiliiliiiiil ; -- Begin function _ZL15flash_attn_tileILi64ELi64ELi8ELi8ELb0EEvPKcS1_S1_S1_S1_PKiPfP15HIP_vector_typeIfLj2EEffffjfiS5_IjLj3EEiiiiiiiiiiiliiliiiiil
	.p2align	8
	.type	_ZL15flash_attn_tileILi64ELi64ELi8ELi8ELb0EEvPKcS1_S1_S1_S1_PKiPfP15HIP_vector_typeIfLj2EEffffjfiS5_IjLj3EEiiiiiiiiiiiliiliiiiil,@function
_ZL15flash_attn_tileILi64ELi64ELi8ELi8ELb0EEvPKcS1_S1_S1_S1_PKiPfP15HIP_vector_typeIfLj2EEffffjfiS5_IjLj3EEiiiiiiiiiiiliiliiiiil: ; @_ZL15flash_attn_tileILi64ELi64ELi8ELi8ELb0EEvPKcS1_S1_S1_S1_PKiPfP15HIP_vector_typeIfLj2EEffffjfiS5_IjLj3EEiiiiiiiiiiiliiliiiiil
; %bb.0:
	s_load_dwordx4 s[20:23], s[0:1], 0x5c
	s_load_dwordx2 s[30:31], s[0:1], 0x80
	s_load_dwordx2 s[36:37], s[0:1], 0xb8
	s_mov_b64 s[34:35], 0
	s_waitcnt lgkmcnt(0)
	s_ashr_i32 s5, s23, 31
	s_lshr_b32 s5, s5, 29
	s_add_i32 s5, s23, s5
	s_ashr_i32 s5, s5, 3
	v_cvt_f32_u32_e32 v1, s5
	s_sub_i32 s6, 0, s5
	v_rcp_iflag_f32_e32 v1, v1
	s_nop 0
	v_mul_f32_e32 v1, 0x4f7ffffe, v1
	v_cvt_u32_f32_e32 v1, v1
	s_nop 0
	v_readfirstlane_b32 s7, v1
	s_mul_i32 s6, s6, s7
	s_mul_hi_u32 s6, s7, s6
	s_add_i32 s7, s7, s6
	s_mul_hi_u32 s6, s4, s7
	s_mul_i32 s7, s6, s5
	s_sub_i32 s7, s4, s7
	s_add_i32 s8, s6, 1
	s_sub_i32 s9, s7, s5
	s_cmp_ge_u32 s7, s5
	s_cselect_b32 s6, s8, s6
	s_cselect_b32 s7, s9, s7
	s_add_i32 s8, s6, 1
	s_cmp_ge_u32 s7, s5
	s_cselect_b32 s33, s8, s6
	s_abs_i32 s5, s31
	v_cvt_f32_u32_e32 v1, s5
	s_lshl_b32 s4, s4, 3
	s_mul_i32 s8, s33, s23
	s_sub_i32 s9, 0, s5
	v_rcp_iflag_f32_e32 v1, v1
	s_sub_i32 s28, s4, s8
	s_abs_i32 s7, s23
	s_xor_b32 s6, s23, s31
	v_mul_f32_e32 v1, 0x4f7ffffe, v1
	v_cvt_u32_f32_e32 v1, v1
	s_ashr_i32 s6, s6, 31
	v_readfirstlane_b32 s4, v1
	s_mul_i32 s9, s9, s4
	s_mul_hi_u32 s8, s4, s9
	s_add_i32 s4, s4, s8
	s_mul_hi_u32 s4, s7, s4
	s_mul_i32 s8, s4, s5
	s_sub_i32 s7, s7, s8
	s_add_i32 s9, s4, 1
	s_sub_i32 s8, s7, s5
	s_cmp_ge_u32 s7, s5
	s_cselect_b32 s4, s9, s4
	s_cselect_b32 s7, s8, s7
	s_add_i32 s8, s4, 1
	s_cmp_ge_u32 s7, s5
	s_cselect_b32 s4, s8, s4
	s_xor_b32 s4, s4, s6
	s_sub_i32 s31, s4, s6
	s_abs_i32 s29, s31
	v_cvt_f32_u32_e32 v1, s29
	s_load_dwordx16 s[4:19], s[0:1], 0x0
	v_rcp_iflag_f32_e32 v1, v1
	s_waitcnt lgkmcnt(0)
	s_cmp_eq_u64 s[10:11], 0
	v_mul_f32_e32 v1, 0x4f7ffffe, v1
	v_cvt_u32_f32_e32 v1, v1
	s_nop 0
	v_readfirstlane_b32 s38, v1
	s_cbranch_scc1 .LBB0_2
; %bb.1:
	s_abs_i32 s26, s36
	v_cvt_f32_u32_e32 v1, s26
	s_sub_i32 s35, 0, s26
	s_abs_i32 s34, s33
	s_ashr_i32 s27, s33, 31
	v_rcp_iflag_f32_e32 v1, v1
	s_load_dwordx2 s[24:25], s[0:1], 0xc8
	v_mul_f32_e32 v1, 0x4f7ffffe, v1
	v_cvt_u32_f32_e32 v1, v1
	s_nop 0
	v_readfirstlane_b32 s36, v1
	s_mul_i32 s35, s35, s36
	s_mul_hi_u32 s35, s36, s35
	s_add_i32 s36, s36, s35
	s_mul_hi_u32 s35, s34, s36
	s_mul_i32 s35, s35, s26
	s_sub_i32 s34, s34, s35
	s_sub_i32 s35, s34, s26
	s_cmp_ge_u32 s34, s26
	s_cselect_b32 s34, s35, s34
	s_sub_i32 s35, s34, s26
	s_cmp_ge_u32 s34, s26
	s_cselect_b32 s26, s35, s34
	s_xor_b32 s26, s26, s27
	s_sub_i32 s26, s26, s27
	s_ashr_i32 s27, s26, 31
	s_waitcnt lgkmcnt(0)
	s_mul_hi_u32 s34, s24, s26
	s_mul_i32 s27, s24, s27
	s_mul_i32 s25, s25, s26
	s_add_i32 s27, s34, s27
	s_add_i32 s27, s27, s25
	s_mul_i32 s24, s24, s26
	s_add_u32 s34, s10, s24
	s_addc_u32 s35, s11, s27
.LBB0_2:
	s_load_dwordx4 s[24:27], s[0:1], 0x70
	v_bfe_u32 v2, v0, 10, 10
	v_lshl_add_u32 v41, s2, 3, v2
	v_mul_hi_u32 v1, s20, v41
	v_add_u32_e32 v1, v41, v1
	s_waitcnt lgkmcnt(0)
	s_mul_i32 s10, s33, s26
	s_ashr_i32 s26, s10, 31
	s_mul_i32 s11, s28, s25
	s_add_u32 s4, s4, s10
	s_addc_u32 s5, s5, s26
	s_ashr_i32 s26, s11, 31
	s_add_u32 s10, s4, s11
	v_lshrrev_b32_e32 v1, s21, v1
	s_addc_u32 s11, s5, s26
	v_mul_lo_u32 v1, v1, s22
	s_ashr_i32 s21, s24, 31
	s_mov_b32 s20, s24
	v_sub_u32_e32 v1, v41, v1
	s_lshr_b64 s[40:41], s[20:21], 2
	v_mad_u64_u32 v[4:5], s[40:41], s40, v1, 0
	v_mov_b32_e32 v6, v5
	s_lshr_b32 s20, s21, 2
	v_mad_u64_u32 v[6:7], s[20:21], s20, v1, v[6:7]
	v_mov_b32_e32 v5, v6
	v_and_b32_e32 v40, 0x3ff, v0
	s_ashr_i32 s27, s25, 31
	s_mov_b32 s26, s25
	v_lshl_add_u64 v[4:5], v[4:5], 2, s[10:11]
	v_lshlrev_b32_e32 v6, 3, v40
	v_mov_b32_e32 v7, 0
	s_lshr_b64 s[4:5], s[26:27], 2
	v_lshl_add_u64 v[4:5], v[4:5], 0, v[6:7]
	s_and_b32 s26, s25, -4
	v_mad_u64_u32 v[12:13], s[10:11], s4, 12, v[4:5]
	v_lshl_add_u64 v[6:7], v[4:5], 0, s[26:27]
	v_mov_b32_e32 v0, v13
	s_lshr_b32 s20, s27, 2
	global_load_dwordx2 v[8:9], v[4:5], off
	global_load_dwordx2 v[10:11], v[6:7], off
	v_lshl_add_u64 v[6:7], s[4:5], 3, v[4:5]
	v_mad_u64_u32 v[14:15], s[10:11], s20, 12, v[0:1]
	s_andn2_b32 s27, s27, -2.0
	v_mov_b32_e32 v13, v14
	v_lshl_add_u64 v[14:15], s[26:27], 2, v[4:5]
	global_load_dwordx2 v[16:17], v[6:7], off
	global_load_dwordx2 v[18:19], v[14:15], off
	v_mad_u64_u32 v[6:7], s[10:11], s4, 20, v[4:5]
	v_mov_b32_e32 v0, v7
	v_mad_u64_u32 v[14:15], s[10:11], s20, 20, v[0:1]
	v_mov_b32_e32 v7, v14
	global_load_dwordx2 v[14:15], v[12:13], off
	global_load_dwordx2 v[20:21], v[6:7], off
	v_mad_u64_u32 v[6:7], s[10:11], s4, 24, v[4:5]
	v_mov_b32_e32 v0, v7
	v_mad_u64_u32 v[4:5], s[4:5], s4, 28, v[4:5]
	v_mad_u64_u32 v[12:13], s[10:11], s20, 24, v[0:1]
	v_mov_b32_e32 v0, v5
	v_mov_b32_e32 v7, v12
	v_mad_u64_u32 v[12:13], s[4:5], s20, 28, v[0:1]
	v_mov_b32_e32 v5, v12
	global_load_dwordx2 v[6:7], v[6:7], off
	s_load_dword s4, s[0:1], 0x40
	global_load_dwordx2 v[4:5], v[4:5], off
	v_lshlrev_b32_e32 v0, 10, v2
	v_add_u32_e32 v62, 0x4400, v0
	v_lshl_add_u32 v3, v40, 2, v62
	s_cmp_eq_u64 s[14:15], 0
	s_waitcnt vmcnt(7) lgkmcnt(0)
	v_fma_mixlo_f16 v9, s4, v9, 0
	v_fma_mixlo_f16 v8, s4, v8, 0
	v_lshlrev_b32_e32 v9, 16, v9
	s_waitcnt vmcnt(6)
	v_fma_mixlo_f16 v11, s4, v11, 0
	v_fma_mixlo_f16 v10, s4, v10, 0
	v_or_b32_sdwa v8, v9, v8 dst_sel:DWORD dst_unused:UNUSED_PAD src0_sel:DWORD src1_sel:WORD_0
	v_lshlrev_b32_e32 v9, 16, v11
	s_waitcnt vmcnt(5)
	v_fma_mixlo_f16 v13, s4, v17, 0
	v_fma_mixlo_f16 v12, s4, v16, 0
	v_lshlrev_b32_e32 v11, 16, v13
	s_waitcnt vmcnt(4)
	v_fma_mixlo_f16 v16, s4, v19, 0
	v_or_b32_sdwa v9, v9, v10 dst_sel:DWORD dst_unused:UNUSED_PAD src0_sel:DWORD src1_sel:WORD_0
	v_fma_mixlo_f16 v13, s4, v18, 0
	v_or_b32_sdwa v10, v11, v12 dst_sel:DWORD dst_unused:UNUSED_PAD src0_sel:DWORD src1_sel:WORD_0
	v_lshlrev_b32_e32 v11, 16, v16
	ds_write2_b32 v3, v8, v9 offset1:32
	s_waitcnt vmcnt(3)
	v_fma_mixlo_f16 v9, s4, v15, 0
	v_fma_mixlo_f16 v8, s4, v14, 0
	v_or_b32_sdwa v11, v11, v13 dst_sel:DWORD dst_unused:UNUSED_PAD src0_sel:DWORD src1_sel:WORD_0
	s_waitcnt vmcnt(2)
	v_fma_mixlo_f16 v13, s4, v21, 0
	v_lshlrev_b32_e32 v9, 16, v9
	v_fma_mixlo_f16 v12, s4, v20, 0
	v_lshlrev_b32_e32 v13, 16, v13
	v_or_b32_sdwa v8, v9, v8 dst_sel:DWORD dst_unused:UNUSED_PAD src0_sel:DWORD src1_sel:WORD_0
	v_or_b32_sdwa v9, v13, v12 dst_sel:DWORD dst_unused:UNUSED_PAD src0_sel:DWORD src1_sel:WORD_0
	ds_write2_b32 v3, v10, v8 offset0:64 offset1:96
	ds_write2_b32 v3, v11, v9 offset0:128 offset1:160
	s_waitcnt vmcnt(1)
	v_fma_mixlo_f16 v7, s4, v7, 0
	v_fma_mixlo_f16 v6, s4, v6, 0
	s_waitcnt vmcnt(0)
	v_fma_mixlo_f16 v5, s4, v5, 0
	v_lshlrev_b32_e32 v7, 16, v7
	v_fma_mixlo_f16 v4, s4, v4, 0
	v_lshlrev_b32_e32 v5, 16, v5
	v_or_b32_sdwa v6, v7, v6 dst_sel:DWORD dst_unused:UNUSED_PAD src0_sel:DWORD src1_sel:WORD_0
	v_or_b32_sdwa v4, v5, v4 dst_sel:DWORD dst_unused:UNUSED_PAD src0_sel:DWORD src1_sel:WORD_0
	ds_write2_b32 v3, v6, v4 offset0:192 offset1:224
	s_waitcnt lgkmcnt(0)
	s_barrier
	s_cbranch_scc1 .LBB0_4
; %bb.3:
	s_load_dword s4, s[0:1], 0xd0
	s_mov_b32 s5, 0
	s_waitcnt lgkmcnt(0)
	s_mul_i32 s4, s4, s33
	s_add_i32 s4, s4, s2
	s_lshl_b64 s[4:5], s[4:5], 2
	s_add_u32 s4, s14, s4
	s_addc_u32 s5, s15, s5
	s_load_dword s30, s[4:5], 0x0
.LBB0_4:
	s_lshl_b32 s2, s3, 6
	s_waitcnt lgkmcnt(0)
	s_cmp_lt_i32 s2, s30
	v_mbcnt_lo_u32_b32 v3, -1, 0
	s_cbranch_scc1 .LBB0_7
; %bb.5:
	v_mbcnt_hi_u32_b32 v57, -1, v3
	v_and_b32_e32 v4, 0x60, v57
	v_add_u32_e32 v63, 32, v4
	v_xor_b32_e32 v67, 16, v57
	v_xor_b32_e32 v68, 8, v57
	;; [unrolled: 1-line block ×5, first 2 shown]
	s_cbranch_execz .LBB0_8
; %bb.6:
	v_mov_b32_e32 v43, 0
	v_mov_b32_e32 v92, 0
	;; [unrolled: 1-line block ×24, first 2 shown]
	s_branch .LBB0_10
.LBB0_7:
                                        ; implicit-def: $vgpr57
                                        ; implicit-def: $vgpr63
                                        ; implicit-def: $vgpr67
                                        ; implicit-def: $vgpr68
                                        ; implicit-def: $vgpr66
                                        ; implicit-def: $vgpr65
                                        ; implicit-def: $vgpr64
.LBB0_8:
	s_sub_i32 s4, 0, s29
	s_mul_i32 s4, s4, s38
	s_mul_hi_u32 s4, s38, s4
	s_add_i32 s38, s38, s4
	s_load_dwordx2 s[4:5], s[0:1], 0x8c
	s_load_dwordx4 s[24:27], s[0:1], 0x98
	s_abs_i32 s14, s28
	s_mul_hi_u32 s15, s14, s38
	s_ashr_i32 s36, s28, 31
	s_waitcnt lgkmcnt(0)
	s_ashr_i32 s11, s4, 2
	s_ashr_i32 s4, s33, 31
	;; [unrolled: 1-line block ×4, first 2 shown]
	s_mul_hi_u32 s37, s24, s33
	s_mul_i32 s38, s24, s4
	s_add_i32 s37, s37, s38
	s_mul_i32 s25, s25, s33
	s_ashr_i32 s31, s31, 31
	s_add_i32 s37, s37, s25
	s_mul_i32 s24, s24, s33
	s_add_u32 s6, s6, s24
	s_mul_i32 s25, s15, s29
	s_addc_u32 s7, s7, s37
	s_sub_i32 s14, s14, s25
	s_xor_b32 s24, s36, s31
	s_add_i32 s25, s15, 1
	s_sub_i32 s31, s14, s29
	s_cmp_ge_u32 s14, s29
	s_cselect_b32 s15, s25, s15
	s_cselect_b32 s14, s31, s14
	s_add_i32 s25, s15, 1
	s_cmp_ge_u32 s14, s29
	s_load_dwordx2 s[20:21], s[0:1], 0xa8
	s_cselect_b32 s14, s25, s15
	s_xor_b32 s14, s14, s24
	s_sub_i32 s24, s14, s24
	s_mul_i32 s5, s24, s5
	s_ashr_i32 s15, s5, 31
	s_add_u32 s14, s6, s5
	s_waitcnt lgkmcnt(0)
	s_mul_hi_u32 s5, s20, s33
	s_mul_i32 s4, s20, s4
	s_addc_u32 s15, s7, s15
	s_add_i32 s4, s5, s4
	s_mul_i32 s5, s21, s33
	s_add_i32 s4, s4, s5
	s_mul_i32 s5, s20, s33
	s_add_u32 s5, s8, s5
	s_mul_i32 s24, s24, s27
	s_addc_u32 s4, s9, s4
	s_ashr_i32 s6, s24, 31
	v_lshrrev_b32_e32 v4, 3, v40
	v_lshlrev_b32_e32 v69, 2, v40
	s_add_u32 s8, s5, s24
	v_lshl_add_u32 v4, v2, 2, v4
	v_and_b32_e32 v2, 28, v69
	s_addc_u32 s9, s4, s6
	v_lshlrev_b32_e32 v5, 2, v2
	s_movk_i32 s4, 0x90
	v_mad_u32_u24 v70, v4, s4, v5
	v_mad_u64_u32 v[56:57], s[4:5], v1, s26, v[40:41]
	v_mul_lo_u32 v52, s11, v4
	v_mul_lo_u32 v58, s10, v4
	v_mbcnt_hi_u32_b32 v57, -1, v3
	v_mov_b32_e32 v51, 0
	v_lshl_add_u32 v54, s11, 5, v52
	v_add_u32_e32 v73, 0x2400, v0
	v_lshlrev_b32_e32 v1, 4, v40
	v_lshl_or_b32 v74, v4, 7, v5
	v_lshl_add_u32 v60, s10, 5, v58
	s_add_u32 s4, s0, 0xd0
	v_lshlrev_b32_e32 v50, 2, v2
	v_and_b32_e32 v2, 0x60, v57
	v_ashrrev_i32_e32 v53, 31, v52
	v_add_u32_e32 v71, 0x1200, v70
	v_ashrrev_i32_e32 v55, 31, v54
	v_mul_u32_u24_e32 v72, 0x90, v40
	v_ashrrev_i32_e32 v59, 31, v58
	v_add_u32_e32 v75, 0x1000, v74
	v_ashrrev_i32_e32 v61, 31, v60
	s_addc_u32 s5, s1, 0
	v_mov_b32_e32 v0, 0xfeffffff
	v_add_u32_e32 v63, 32, v2
	v_xor_b32_e32 v67, 16, v57
	v_xor_b32_e32 v68, 8, v57
	;; [unrolled: 1-line block ×5, first 2 shown]
	s_mov_b32 s20, 0x3fb8aa3b
	s_mov_b32 s21, 0xc2ce8ed0
	s_mov_b32 s24, 0x42b17218
	v_mov_b32_e32 v76, 0x7f800000
	s_mov_b32 s25, 0x10001
	v_add_u32_e32 v77, v73, v1
	v_add_u32_e32 v78, 0x400, v69
	;; [unrolled: 1-line block ×8, first 2 shown]
	v_mov_b32_e32 v85, v51
	v_mov_b32_e32 v86, v51
	;; [unrolled: 1-line block ×23, first 2 shown]
.LBB0_9:                                ; =>This Inner Loop Header: Depth=1
	s_mul_hi_i32 s7, s2, s11
	s_mul_i32 s6, s2, s11
	s_lshl_b64 s[6:7], s[6:7], 2
	s_add_u32 s6, s14, s6
	s_addc_u32 s7, s15, s7
	v_mov_b32_e32 v99, v1
	v_mov_b32_e32 v100, v0
	v_lshl_add_u64 v[0:1], v[52:53], 2, s[6:7]
	v_lshl_add_u64 v[0:1], v[0:1], 0, v[50:51]
	v_mov_b32_e32 v97, v3
	v_mov_b32_e32 v98, v2
	global_load_dwordx4 v[0:3], v[0:1], off
	v_mov_b32_e32 v101, 0
	v_mov_b32_e32 v93, v7
	;; [unrolled: 1-line block ×12, first 2 shown]
	v_cmp_lt_i32_e32 vcc, v67, v63
	s_waitcnt vmcnt(0)
	ds_write_b128 v70, v[0:3]
	v_lshl_add_u64 v[0:1], v[54:55], 2, s[6:7]
	v_lshl_add_u64 v[0:1], v[0:1], 0, v[50:51]
	global_load_dwordx4 v[0:3], v[0:1], off
	s_mul_hi_i32 s7, s2, s10
	s_mul_i32 s6, s2, s10
	s_lshl_b64 s[6:7], s[6:7], 2
	s_add_u32 s6, s8, s6
	s_addc_u32 s7, s9, s7
	s_waitcnt vmcnt(0)
	ds_write_b128 v71, v[0:3]
	s_waitcnt lgkmcnt(0)
	s_barrier
	ds_read_b128 v[36:39], v72
	ds_read_b128 v[0:3], v72 offset:4608
	ds_read_b128 v[32:35], v62
	ds_read_b128 v[28:31], v62 offset:128
	ds_read_b128 v[24:27], v62 offset:256
	;; [unrolled: 1-line block ×7, first 2 shown]
	s_waitcnt lgkmcnt(7)
	;;#ASMSTART
	v_dot2_f32_f16 v101, v36, v32, v101
	;;#ASMEND
	s_nop 0
	;;#ASMSTART
	v_dot2_f32_f16 v101, v37, v33, v101
	;;#ASMEND
	s_nop 0
	;;#ASMSTART
	v_dot2_f32_f16 v101, v38, v34, v101
	;;#ASMEND
	s_nop 0
	;;#ASMSTART
	v_dot2_f32_f16 v101, v39, v35, v101
	;;#ASMEND
	s_waitcnt lgkmcnt(6)
	;;#ASMSTART
	v_dot2_f32_f16 v103, v36, v28, v103
	;;#ASMEND
	s_nop 0
	;;#ASMSTART
	v_dot2_f32_f16 v103, v37, v29, v103
	;;#ASMEND
	s_nop 0
	;;#ASMSTART
	v_dot2_f32_f16 v103, v38, v30, v103
	;;#ASMEND
	s_nop 0
	;;#ASMSTART
	v_dot2_f32_f16 v103, v39, v31, v103
	;;#ASMEND
	;; [unrolled: 16-line block ×7, first 2 shown]
	s_waitcnt lgkmcnt(0)
	;;#ASMSTART
	v_dot2_f32_f16 v102, v36, v4, v102
	;;#ASMEND
	v_mov_b32_e32 v36, 0
	;;#ASMSTART
	v_dot2_f32_f16 v102, v37, v5, v102
	;;#ASMEND
	s_nop 0
	;;#ASMSTART
	v_dot2_f32_f16 v102, v38, v6, v102
	;;#ASMEND
	s_nop 0
	;;#ASMSTART
	v_dot2_f32_f16 v102, v39, v7, v102
	;;#ASMEND
	;;#ASMSTART
	v_dot2_f32_f16 v36, v0, v32, v36
	;;#ASMEND
	v_mov_b32_e32 v32, 0
	;;#ASMSTART
	v_dot2_f32_f16 v36, v1, v33, v36
	;;#ASMEND
	s_nop 0
	;;#ASMSTART
	v_dot2_f32_f16 v36, v2, v34, v36
	;;#ASMEND
	s_nop 0
	;;#ASMSTART
	v_dot2_f32_f16 v36, v3, v35, v36
	;;#ASMEND
	;; [unrolled: 15-line block ×8, first 2 shown]
	;;#ASMSTART
	v_dot2_f32_f16 v8, v0, v4, v8
	;;#ASMEND
	s_nop 0
	;;#ASMSTART
	v_dot2_f32_f16 v8, v1, v5, v8
	;;#ASMEND
	s_nop 0
	;; [unrolled: 4-line block ×3, first 2 shown]
	;;#ASMSTART
	v_dot2_f32_f16 v8, v3, v7, v8
	;;#ASMEND
	ds_read_b128 v[0:3], v72 offset:16
	ds_read_b128 v[4:7], v72 offset:4624
	;; [unrolled: 1-line block ×10, first 2 shown]
	s_waitcnt lgkmcnt(7)
	;;#ASMSTART
	v_dot2_f32_f16 v101, v0, v110, v101
	;;#ASMEND
	s_nop 0
	;;#ASMSTART
	v_dot2_f32_f16 v101, v1, v111, v101
	;;#ASMEND
	s_nop 0
	;;#ASMSTART
	v_dot2_f32_f16 v101, v2, v112, v101
	;;#ASMEND
	s_nop 0
	;;#ASMSTART
	v_dot2_f32_f16 v101, v3, v113, v101
	;;#ASMEND
	s_waitcnt lgkmcnt(6)
	;;#ASMSTART
	v_dot2_f32_f16 v103, v0, v114, v103
	;;#ASMEND
	s_nop 0
	;;#ASMSTART
	v_dot2_f32_f16 v103, v1, v115, v103
	;;#ASMEND
	s_nop 0
	;;#ASMSTART
	v_dot2_f32_f16 v103, v2, v116, v103
	;;#ASMEND
	s_nop 0
	;;#ASMSTART
	v_dot2_f32_f16 v103, v3, v117, v103
	;;#ASMEND
	;; [unrolled: 16-line block ×8, first 2 shown]
	;;#ASMSTART
	v_dot2_f32_f16 v36, v4, v110, v36
	;;#ASMEND
	s_nop 0
	;;#ASMSTART
	v_dot2_f32_f16 v36, v5, v111, v36
	;;#ASMEND
	s_nop 0
	;;#ASMSTART
	v_dot2_f32_f16 v36, v6, v112, v36
	;;#ASMEND
	s_nop 0
	;;#ASMSTART
	v_dot2_f32_f16 v36, v7, v113, v36
	;;#ASMEND
	;;#ASMSTART
	v_dot2_f32_f16 v32, v4, v114, v32
	;;#ASMEND
	s_nop 0
	;;#ASMSTART
	v_dot2_f32_f16 v32, v5, v115, v32
	;;#ASMEND
	s_nop 0
	;;#ASMSTART
	v_dot2_f32_f16 v32, v6, v116, v32
	;;#ASMEND
	s_nop 0
	;;#ASMSTART
	v_dot2_f32_f16 v32, v7, v117, v32
	;;#ASMEND
	;;#ASMSTART
	v_dot2_f32_f16 v28, v4, v118, v28
	;;#ASMEND
	s_nop 0
	;;#ASMSTART
	v_dot2_f32_f16 v28, v5, v119, v28
	;;#ASMEND
	s_nop 0
	;;#ASMSTART
	v_dot2_f32_f16 v28, v6, v120, v28
	;;#ASMEND
	s_nop 0
	;;#ASMSTART
	v_dot2_f32_f16 v28, v7, v121, v28
	;;#ASMEND
	;;#ASMSTART
	v_dot2_f32_f16 v24, v4, v122, v24
	;;#ASMEND
	s_nop 0
	;;#ASMSTART
	v_dot2_f32_f16 v24, v5, v123, v24
	;;#ASMEND
	s_nop 0
	;;#ASMSTART
	v_dot2_f32_f16 v24, v6, v124, v24
	;;#ASMEND
	s_nop 0
	;;#ASMSTART
	v_dot2_f32_f16 v24, v7, v125, v24
	;;#ASMEND
	;;#ASMSTART
	v_dot2_f32_f16 v20, v4, v126, v20
	;;#ASMEND
	s_nop 0
	;;#ASMSTART
	v_dot2_f32_f16 v20, v5, v127, v20
	;;#ASMEND
	s_nop 0
	;;#ASMSTART
	v_dot2_f32_f16 v20, v6, v128, v20
	;;#ASMEND
	s_nop 0
	;;#ASMSTART
	v_dot2_f32_f16 v20, v7, v129, v20
	;;#ASMEND
	;;#ASMSTART
	v_dot2_f32_f16 v16, v4, v130, v16
	;;#ASMEND
	s_nop 0
	;;#ASMSTART
	v_dot2_f32_f16 v16, v5, v131, v16
	;;#ASMEND
	s_nop 0
	;;#ASMSTART
	v_dot2_f32_f16 v16, v6, v132, v16
	;;#ASMEND
	s_nop 0
	;;#ASMSTART
	v_dot2_f32_f16 v16, v7, v133, v16
	;;#ASMEND
	;;#ASMSTART
	v_dot2_f32_f16 v12, v4, v134, v12
	;;#ASMEND
	s_nop 0
	;;#ASMSTART
	v_dot2_f32_f16 v12, v5, v135, v12
	;;#ASMEND
	s_nop 0
	;;#ASMSTART
	v_dot2_f32_f16 v12, v6, v136, v12
	;;#ASMEND
	s_nop 0
	;;#ASMSTART
	v_dot2_f32_f16 v12, v7, v137, v12
	;;#ASMEND
	;;#ASMSTART
	v_dot2_f32_f16 v8, v4, v138, v8
	;;#ASMEND
	s_nop 0
	;;#ASMSTART
	v_dot2_f32_f16 v8, v5, v139, v8
	;;#ASMEND
	s_nop 0
	;;#ASMSTART
	v_dot2_f32_f16 v8, v6, v140, v8
	;;#ASMEND
	s_nop 0
	;;#ASMSTART
	v_dot2_f32_f16 v8, v7, v141, v8
	;;#ASMEND
	ds_read_b128 v[0:3], v72 offset:32
	ds_read_b128 v[4:7], v72 offset:4640
	;; [unrolled: 1-line block ×10, first 2 shown]
	s_waitcnt lgkmcnt(7)
	;;#ASMSTART
	v_dot2_f32_f16 v101, v0, v110, v101
	;;#ASMEND
	s_nop 0
	;;#ASMSTART
	v_dot2_f32_f16 v101, v1, v111, v101
	;;#ASMEND
	s_nop 0
	;;#ASMSTART
	v_dot2_f32_f16 v101, v2, v112, v101
	;;#ASMEND
	s_nop 0
	;;#ASMSTART
	v_dot2_f32_f16 v101, v3, v113, v101
	;;#ASMEND
	s_waitcnt lgkmcnt(6)
	;;#ASMSTART
	v_dot2_f32_f16 v103, v0, v114, v103
	;;#ASMEND
	s_nop 0
	;;#ASMSTART
	v_dot2_f32_f16 v103, v1, v115, v103
	;;#ASMEND
	s_nop 0
	;;#ASMSTART
	v_dot2_f32_f16 v103, v2, v116, v103
	;;#ASMEND
	s_nop 0
	;;#ASMSTART
	v_dot2_f32_f16 v103, v3, v117, v103
	;;#ASMEND
	;; [unrolled: 16-line block ×8, first 2 shown]
	;;#ASMSTART
	v_dot2_f32_f16 v36, v4, v110, v36
	;;#ASMEND
	s_nop 0
	;;#ASMSTART
	v_dot2_f32_f16 v36, v5, v111, v36
	;;#ASMEND
	s_nop 0
	;;#ASMSTART
	v_dot2_f32_f16 v36, v6, v112, v36
	;;#ASMEND
	s_nop 0
	;;#ASMSTART
	v_dot2_f32_f16 v36, v7, v113, v36
	;;#ASMEND
	;;#ASMSTART
	v_dot2_f32_f16 v32, v4, v114, v32
	;;#ASMEND
	s_nop 0
	;;#ASMSTART
	v_dot2_f32_f16 v32, v5, v115, v32
	;;#ASMEND
	s_nop 0
	;;#ASMSTART
	v_dot2_f32_f16 v32, v6, v116, v32
	;;#ASMEND
	s_nop 0
	;;#ASMSTART
	v_dot2_f32_f16 v32, v7, v117, v32
	;;#ASMEND
	;; [unrolled: 15-line block ×8, first 2 shown]
	ds_read_b128 v[0:3], v72 offset:48
	ds_read_b128 v[4:7], v72 offset:4656
	;; [unrolled: 1-line block ×10, first 2 shown]
	s_waitcnt lgkmcnt(7)
	;;#ASMSTART
	v_dot2_f32_f16 v101, v0, v110, v101
	;;#ASMEND
	s_nop 0
	;;#ASMSTART
	v_dot2_f32_f16 v101, v1, v111, v101
	;;#ASMEND
	s_nop 0
	;;#ASMSTART
	v_dot2_f32_f16 v101, v2, v112, v101
	;;#ASMEND
	s_nop 0
	;;#ASMSTART
	v_dot2_f32_f16 v101, v3, v113, v101
	;;#ASMEND
	s_waitcnt lgkmcnt(6)
	;;#ASMSTART
	v_dot2_f32_f16 v103, v0, v114, v103
	;;#ASMEND
	s_nop 0
	;;#ASMSTART
	v_dot2_f32_f16 v103, v1, v115, v103
	;;#ASMEND
	s_nop 0
	;;#ASMSTART
	v_dot2_f32_f16 v103, v2, v116, v103
	;;#ASMEND
	s_nop 0
	;;#ASMSTART
	v_dot2_f32_f16 v103, v3, v117, v103
	;;#ASMEND
	;; [unrolled: 16-line block ×8, first 2 shown]
	;;#ASMSTART
	v_dot2_f32_f16 v36, v4, v110, v36
	;;#ASMEND
	s_nop 0
	;;#ASMSTART
	v_dot2_f32_f16 v36, v5, v111, v36
	;;#ASMEND
	s_nop 0
	;;#ASMSTART
	v_dot2_f32_f16 v36, v6, v112, v36
	;;#ASMEND
	s_nop 0
	;;#ASMSTART
	v_dot2_f32_f16 v36, v7, v113, v36
	;;#ASMEND
	;;#ASMSTART
	v_dot2_f32_f16 v32, v4, v114, v32
	;;#ASMEND
	s_nop 0
	;;#ASMSTART
	v_dot2_f32_f16 v32, v5, v115, v32
	;;#ASMEND
	s_nop 0
	;;#ASMSTART
	v_dot2_f32_f16 v32, v6, v116, v32
	;;#ASMEND
	s_nop 0
	;;#ASMSTART
	v_dot2_f32_f16 v32, v7, v117, v32
	;;#ASMEND
	;; [unrolled: 15-line block ×8, first 2 shown]
	ds_read_b128 v[0:3], v72 offset:64
	ds_read_b128 v[4:7], v72 offset:4672
	;; [unrolled: 1-line block ×10, first 2 shown]
	s_waitcnt lgkmcnt(7)
	;;#ASMSTART
	v_dot2_f32_f16 v101, v0, v110, v101
	;;#ASMEND
	s_nop 0
	;;#ASMSTART
	v_dot2_f32_f16 v101, v1, v111, v101
	;;#ASMEND
	s_nop 0
	;;#ASMSTART
	v_dot2_f32_f16 v101, v2, v112, v101
	;;#ASMEND
	s_nop 0
	;;#ASMSTART
	v_dot2_f32_f16 v101, v3, v113, v101
	;;#ASMEND
	s_waitcnt lgkmcnt(6)
	;;#ASMSTART
	v_dot2_f32_f16 v103, v0, v114, v103
	;;#ASMEND
	s_nop 0
	;;#ASMSTART
	v_dot2_f32_f16 v103, v1, v115, v103
	;;#ASMEND
	s_nop 0
	;;#ASMSTART
	v_dot2_f32_f16 v103, v2, v116, v103
	;;#ASMEND
	s_nop 0
	;;#ASMSTART
	v_dot2_f32_f16 v103, v3, v117, v103
	;;#ASMEND
	s_waitcnt lgkmcnt(5)
	;;#ASMSTART
	v_dot2_f32_f16 v104, v0, v118, v104
	;;#ASMEND
	s_nop 0
	;;#ASMSTART
	v_dot2_f32_f16 v104, v1, v119, v104
	;;#ASMEND
	s_nop 0
	;;#ASMSTART
	v_dot2_f32_f16 v104, v2, v120, v104
	;;#ASMEND
	s_nop 0
	;;#ASMSTART
	v_dot2_f32_f16 v104, v3, v121, v104
	;;#ASMEND
	s_waitcnt lgkmcnt(4)
	;;#ASMSTART
	v_dot2_f32_f16 v105, v0, v122, v105
	;;#ASMEND
	s_nop 0
	;;#ASMSTART
	v_dot2_f32_f16 v105, v1, v123, v105
	;;#ASMEND
	s_nop 0
	;;#ASMSTART
	v_dot2_f32_f16 v105, v2, v124, v105
	;;#ASMEND
	s_nop 0
	;;#ASMSTART
	v_dot2_f32_f16 v105, v3, v125, v105
	;;#ASMEND
	s_waitcnt lgkmcnt(3)
	;;#ASMSTART
	v_dot2_f32_f16 v106, v0, v126, v106
	;;#ASMEND
	s_nop 0
	;;#ASMSTART
	v_dot2_f32_f16 v106, v1, v127, v106
	;;#ASMEND
	s_nop 0
	;;#ASMSTART
	v_dot2_f32_f16 v106, v2, v128, v106
	;;#ASMEND
	s_nop 0
	;;#ASMSTART
	v_dot2_f32_f16 v106, v3, v129, v106
	;;#ASMEND
	s_waitcnt lgkmcnt(2)
	;;#ASMSTART
	v_dot2_f32_f16 v107, v0, v130, v107
	;;#ASMEND
	s_nop 0
	;;#ASMSTART
	v_dot2_f32_f16 v107, v1, v131, v107
	;;#ASMEND
	s_nop 0
	;;#ASMSTART
	v_dot2_f32_f16 v107, v2, v132, v107
	;;#ASMEND
	s_nop 0
	;;#ASMSTART
	v_dot2_f32_f16 v107, v3, v133, v107
	;;#ASMEND
	s_waitcnt lgkmcnt(1)
	;;#ASMSTART
	v_dot2_f32_f16 v108, v0, v134, v108
	;;#ASMEND
	s_nop 0
	;;#ASMSTART
	v_dot2_f32_f16 v108, v1, v135, v108
	;;#ASMEND
	s_nop 0
	;;#ASMSTART
	v_dot2_f32_f16 v108, v2, v136, v108
	;;#ASMEND
	s_nop 0
	;;#ASMSTART
	v_dot2_f32_f16 v108, v3, v137, v108
	;;#ASMEND
	s_waitcnt lgkmcnt(0)
	;;#ASMSTART
	v_dot2_f32_f16 v102, v0, v138, v102
	;;#ASMEND
	s_nop 0
	;;#ASMSTART
	v_dot2_f32_f16 v102, v1, v139, v102
	;;#ASMEND
	s_nop 0
	;;#ASMSTART
	v_dot2_f32_f16 v102, v2, v140, v102
	;;#ASMEND
	s_nop 0
	;;#ASMSTART
	v_dot2_f32_f16 v102, v3, v141, v102
	;;#ASMEND
	;;#ASMSTART
	v_dot2_f32_f16 v36, v4, v110, v36
	;;#ASMEND
	s_nop 0
	;;#ASMSTART
	v_dot2_f32_f16 v36, v5, v111, v36
	;;#ASMEND
	s_nop 0
	;;#ASMSTART
	v_dot2_f32_f16 v36, v6, v112, v36
	;;#ASMEND
	s_nop 0
	;;#ASMSTART
	v_dot2_f32_f16 v36, v7, v113, v36
	;;#ASMEND
	;;#ASMSTART
	v_dot2_f32_f16 v32, v4, v114, v32
	;;#ASMEND
	s_nop 0
	;;#ASMSTART
	v_dot2_f32_f16 v32, v5, v115, v32
	;;#ASMEND
	s_nop 0
	;;#ASMSTART
	v_dot2_f32_f16 v32, v6, v116, v32
	;;#ASMEND
	s_nop 0
	;;#ASMSTART
	v_dot2_f32_f16 v32, v7, v117, v32
	;;#ASMEND
	;; [unrolled: 15-line block ×8, first 2 shown]
	ds_read_b128 v[0:3], v72 offset:80
	ds_read_b128 v[4:7], v72 offset:4688
	;; [unrolled: 1-line block ×10, first 2 shown]
	s_waitcnt lgkmcnt(7)
	;;#ASMSTART
	v_dot2_f32_f16 v101, v0, v110, v101
	;;#ASMEND
	s_nop 0
	;;#ASMSTART
	v_dot2_f32_f16 v101, v1, v111, v101
	;;#ASMEND
	s_nop 0
	;;#ASMSTART
	v_dot2_f32_f16 v101, v2, v112, v101
	;;#ASMEND
	s_nop 0
	;;#ASMSTART
	v_dot2_f32_f16 v101, v3, v113, v101
	;;#ASMEND
	s_waitcnt lgkmcnt(6)
	;;#ASMSTART
	v_dot2_f32_f16 v103, v0, v114, v103
	;;#ASMEND
	s_nop 0
	;;#ASMSTART
	v_dot2_f32_f16 v103, v1, v115, v103
	;;#ASMEND
	s_nop 0
	;;#ASMSTART
	v_dot2_f32_f16 v103, v2, v116, v103
	;;#ASMEND
	s_nop 0
	;;#ASMSTART
	v_dot2_f32_f16 v103, v3, v117, v103
	;;#ASMEND
	;; [unrolled: 16-line block ×8, first 2 shown]
	;;#ASMSTART
	v_dot2_f32_f16 v36, v4, v110, v36
	;;#ASMEND
	s_nop 0
	;;#ASMSTART
	v_dot2_f32_f16 v36, v5, v111, v36
	;;#ASMEND
	s_nop 0
	;;#ASMSTART
	v_dot2_f32_f16 v36, v6, v112, v36
	;;#ASMEND
	s_nop 0
	;;#ASMSTART
	v_dot2_f32_f16 v36, v7, v113, v36
	;;#ASMEND
	;;#ASMSTART
	v_dot2_f32_f16 v32, v4, v114, v32
	;;#ASMEND
	s_nop 0
	;;#ASMSTART
	v_dot2_f32_f16 v32, v5, v115, v32
	;;#ASMEND
	s_nop 0
	;;#ASMSTART
	v_dot2_f32_f16 v32, v6, v116, v32
	;;#ASMEND
	s_nop 0
	;;#ASMSTART
	v_dot2_f32_f16 v32, v7, v117, v32
	;;#ASMEND
	;; [unrolled: 15-line block ×8, first 2 shown]
	ds_read_b128 v[0:3], v72 offset:96
	ds_read_b128 v[4:7], v72 offset:4704
	ds_read_b128 v[110:113], v62 offset:96
	ds_read_b128 v[114:117], v62 offset:224
	ds_read_b128 v[118:121], v62 offset:352
	ds_read_b128 v[122:125], v62 offset:480
	ds_read_b128 v[126:129], v62 offset:608
	ds_read_b128 v[130:133], v62 offset:736
	ds_read_b128 v[134:137], v62 offset:864
	ds_read_b128 v[138:141], v62 offset:992
	s_waitcnt lgkmcnt(7)
	;;#ASMSTART
	v_dot2_f32_f16 v101, v0, v110, v101
	;;#ASMEND
	s_nop 0
	;;#ASMSTART
	v_dot2_f32_f16 v101, v1, v111, v101
	;;#ASMEND
	s_nop 0
	;;#ASMSTART
	v_dot2_f32_f16 v101, v2, v112, v101
	;;#ASMEND
	s_nop 0
	;;#ASMSTART
	v_dot2_f32_f16 v101, v3, v113, v101
	;;#ASMEND
	s_waitcnt lgkmcnt(6)
	;;#ASMSTART
	v_dot2_f32_f16 v103, v0, v114, v103
	;;#ASMEND
	s_nop 0
	;;#ASMSTART
	v_dot2_f32_f16 v103, v1, v115, v103
	;;#ASMEND
	s_nop 0
	;;#ASMSTART
	v_dot2_f32_f16 v103, v2, v116, v103
	;;#ASMEND
	s_nop 0
	;;#ASMSTART
	v_dot2_f32_f16 v103, v3, v117, v103
	;;#ASMEND
	;; [unrolled: 16-line block ×8, first 2 shown]
	;;#ASMSTART
	v_dot2_f32_f16 v36, v4, v110, v36
	;;#ASMEND
	s_nop 0
	;;#ASMSTART
	v_dot2_f32_f16 v36, v5, v111, v36
	;;#ASMEND
	s_nop 0
	;;#ASMSTART
	v_dot2_f32_f16 v36, v6, v112, v36
	;;#ASMEND
	s_nop 0
	;;#ASMSTART
	v_dot2_f32_f16 v36, v7, v113, v36
	;;#ASMEND
	;;#ASMSTART
	v_dot2_f32_f16 v32, v4, v114, v32
	;;#ASMEND
	s_nop 0
	;;#ASMSTART
	v_dot2_f32_f16 v32, v5, v115, v32
	;;#ASMEND
	s_nop 0
	;;#ASMSTART
	v_dot2_f32_f16 v32, v6, v116, v32
	;;#ASMEND
	s_nop 0
	;;#ASMSTART
	v_dot2_f32_f16 v32, v7, v117, v32
	;;#ASMEND
	;; [unrolled: 15-line block ×8, first 2 shown]
	ds_read_b128 v[0:3], v72 offset:112
	ds_read_b128 v[4:7], v72 offset:4720
	;; [unrolled: 1-line block ×10, first 2 shown]
	s_waitcnt lgkmcnt(7)
	;;#ASMSTART
	v_dot2_f32_f16 v101, v0, v110, v101
	;;#ASMEND
	s_nop 0
	;;#ASMSTART
	v_dot2_f32_f16 v101, v1, v111, v101
	;;#ASMEND
	s_nop 0
	;;#ASMSTART
	v_dot2_f32_f16 v101, v2, v112, v101
	;;#ASMEND
	s_nop 0
	;;#ASMSTART
	v_dot2_f32_f16 v101, v3, v113, v101
	;;#ASMEND
	s_waitcnt lgkmcnt(6)
	;;#ASMSTART
	v_dot2_f32_f16 v103, v0, v114, v103
	;;#ASMEND
	s_nop 0
	;;#ASMSTART
	v_dot2_f32_f16 v103, v1, v115, v103
	;;#ASMEND
	s_nop 0
	;;#ASMSTART
	v_dot2_f32_f16 v103, v2, v116, v103
	;;#ASMEND
	s_nop 0
	;;#ASMSTART
	v_dot2_f32_f16 v103, v3, v117, v103
	;;#ASMEND
	;; [unrolled: 16-line block ×7, first 2 shown]
	s_waitcnt lgkmcnt(0)
	;;#ASMSTART
	v_dot2_f32_f16 v102, v0, v138, v102
	;;#ASMEND
	v_add_u32_e32 v0, s2, v56
	;;#ASMSTART
	v_dot2_f32_f16 v102, v1, v139, v102
	;;#ASMEND
	v_cndmask_b32_e32 v1, v57, v67, vcc
	;;#ASMSTART
	v_dot2_f32_f16 v102, v2, v140, v102
	;;#ASMEND
	v_cmp_lt_i32_e32 vcc, v68, v63
	;;#ASMSTART
	v_dot2_f32_f16 v102, v3, v141, v102
	;;#ASMEND
	;;#ASMSTART
	v_dot2_f32_f16 v36, v4, v110, v36
	;;#ASMEND
	s_nop 0
	;;#ASMSTART
	v_dot2_f32_f16 v36, v5, v111, v36
	;;#ASMEND
	s_nop 0
	;;#ASMSTART
	v_dot2_f32_f16 v36, v6, v112, v36
	;;#ASMEND
	s_nop 0
	;;#ASMSTART
	v_dot2_f32_f16 v36, v7, v113, v36
	;;#ASMEND
	;;#ASMSTART
	v_dot2_f32_f16 v32, v4, v114, v32
	;;#ASMEND
	s_nop 0
	;;#ASMSTART
	v_dot2_f32_f16 v32, v5, v115, v32
	;;#ASMEND
	s_nop 0
	;;#ASMSTART
	v_dot2_f32_f16 v32, v6, v116, v32
	;;#ASMEND
	s_nop 0
	;; [unrolled: 15-line block ×8, first 2 shown]
	;;#ASMSTART
	v_dot2_f32_f16 v8, v7, v141, v8
	;;#ASMEND
	v_lshlrev_b32_e32 v7, 2, v1
	v_cndmask_b32_e32 v1, v57, v68, vcc
	v_cmp_lt_i32_e32 vcc, v66, v63
	v_lshlrev_b32_e32 v9, 2, v1
	s_nop 0
	v_cndmask_b32_e32 v1, v57, v66, vcc
	v_cmp_lt_i32_e32 vcc, v65, v63
	v_lshlrev_b32_e32 v10, 2, v1
	s_nop 0
	;; [unrolled: 4-line block ×3, first 2 shown]
	v_cndmask_b32_e32 v1, v57, v64, vcc
	v_lshlrev_b32_e32 v13, 2, v1
	v_ashrrev_i32_e32 v1, 31, v0
	v_lshl_add_u64 v[0:1], v[0:1], 1, s[34:35]
	global_load_ushort v2, v[0:1], off
	s_waitcnt vmcnt(0)
	v_cvt_f32_f16_e32 v14, v2
	global_load_ushort v0, v[0:1], off offset:64
	s_barrier
	v_add_f32_e32 v15, v101, v14
	v_add_f32_e32 v2, 0x40051340, v15
	;; [unrolled: 1-line block ×8, first 2 shown]
	s_waitcnt vmcnt(0)
	v_cvt_f32_f16_e32 v17, v0
	v_add_f32_e32 v18, v36, v17
	v_add_f32_e32 v0, 0x40051340, v18
	v_max3_f32 v0, v100, v2, v0
	ds_bpermute_b32 v1, v7, v0
	v_add_f32_e32 v21, v32, v17
	v_add_f32_e32 v2, 0x40051340, v21
	v_add_f32_e32 v23, v28, v17
	v_add_f32_e32 v3, 0x40051340, v23
	s_waitcnt lgkmcnt(0)
	v_max_f32_e32 v1, v1, v1
	v_max_f32_e32 v0, v0, v1
	ds_bpermute_b32 v1, v9, v0
	v_add_f32_e32 v24, v24, v17
	v_add_f32_e32 v4, 0x40051340, v24
	v_add_f32_e32 v28, v106, v14
	v_add_f32_e32 v29, v20, v17
	s_waitcnt lgkmcnt(0)
	v_max_f32_e32 v1, v1, v1
	v_max_f32_e32 v0, v0, v1
	;; [unrolled: 8-line block ×3, first 2 shown]
	ds_bpermute_b32 v1, v11, v0
	v_add_f32_e32 v12, 0x40051340, v35
	v_add_f32_e32 v39, v8, v17
	;; [unrolled: 1-line block ×3, first 2 shown]
	s_waitcnt lgkmcnt(0)
	v_max_f32_e32 v1, v1, v1
	v_max_f32_e32 v0, v0, v1
	ds_bpermute_b32 v1, v13, v0
	s_waitcnt lgkmcnt(0)
	v_max_f32_e32 v1, v1, v1
	v_max_f32_e32 v0, v0, v1
	v_add_f32_e32 v1, 0x40051340, v19
	v_max3_f32 v1, v99, v1, v2
	ds_bpermute_b32 v2, v7, v1
	s_waitcnt lgkmcnt(0)
	v_max_f32_e32 v2, v2, v2
	v_max_f32_e32 v1, v1, v2
	ds_bpermute_b32 v2, v9, v1
	s_waitcnt lgkmcnt(0)
	v_max_f32_e32 v2, v2, v2
	v_max_f32_e32 v1, v1, v2
	ds_bpermute_b32 v2, v10, v1
	s_waitcnt lgkmcnt(0)
	v_max_f32_e32 v2, v2, v2
	v_max_f32_e32 v1, v1, v2
	ds_bpermute_b32 v2, v11, v1
	s_waitcnt lgkmcnt(0)
	v_max_f32_e32 v2, v2, v2
	v_max_f32_e32 v1, v1, v2
	ds_bpermute_b32 v2, v13, v1
	s_waitcnt lgkmcnt(0)
	v_max_f32_e32 v2, v2, v2
	v_max_f32_e32 v1, v1, v2
	v_add_f32_e32 v2, 0x40051340, v22
	v_max3_f32 v2, v98, v2, v3
	ds_bpermute_b32 v3, v7, v2
	s_waitcnt lgkmcnt(0)
	v_max_f32_e32 v3, v3, v3
	v_max_f32_e32 v2, v2, v3
	ds_bpermute_b32 v3, v9, v2
	s_waitcnt lgkmcnt(0)
	v_max_f32_e32 v3, v3, v3
	v_max_f32_e32 v2, v2, v3
	ds_bpermute_b32 v3, v10, v2
	s_waitcnt lgkmcnt(0)
	v_max_f32_e32 v3, v3, v3
	v_max_f32_e32 v2, v2, v3
	ds_bpermute_b32 v3, v11, v2
	;; [unrolled: 22-line block ×6, first 2 shown]
	s_waitcnt lgkmcnt(0)
	v_max_f32_e32 v12, v12, v12
	v_max_f32_e32 v6, v6, v12
	ds_bpermute_b32 v12, v13, v6
	s_waitcnt lgkmcnt(0)
	v_max_f32_e32 v12, v12, v12
	v_max_f32_e32 v6, v6, v12
	v_add_f32_e32 v12, 0x40051340, v37
	v_max3_f32 v8, v93, v12, v8
	ds_bpermute_b32 v7, v7, v8
	s_waitcnt lgkmcnt(0)
	v_max_f32_e32 v7, v7, v7
	v_max_f32_e32 v7, v8, v7
	ds_bpermute_b32 v8, v9, v7
	v_sub_f32_e32 v9, v100, v0
	s_waitcnt lgkmcnt(0)
	v_max_f32_e32 v8, v8, v8
	v_max_f32_e32 v7, v7, v8
	ds_bpermute_b32 v8, v10, v7
	s_waitcnt lgkmcnt(0)
	v_max_f32_e32 v8, v8, v8
	v_max_f32_e32 v7, v7, v8
	ds_bpermute_b32 v8, v11, v7
	;; [unrolled: 4-line block ×3, first 2 shown]
	s_waitcnt lgkmcnt(0)
	v_max_f32_e32 v8, v8, v8
	v_max_f32_e32 v7, v7, v8
	v_sub_f32_e32 v8, v15, v0
	v_mul_f32_e32 v10, 0x3fb8aa3b, v8
	v_fma_f32 v11, v8, s20, -v10
	v_rndne_f32_e32 v12, v10
	v_fmac_f32_e32 v11, 0x32a5705f, v8
	v_sub_f32_e32 v10, v10, v12
	v_add_f32_e32 v10, v10, v11
	v_exp_f32_e32 v10, v10
	v_cvt_i32_f32_e32 v11, v12
	v_cmp_ngt_f32_e32 vcc, s21, v8
	v_ldexp_f32 v10, v10, v11
	s_nop 0
	v_cndmask_b32_e32 v10, 0, v10, vcc
	v_cmp_nlt_f32_e32 vcc, s24, v8
	s_nop 1
	v_cndmask_b32_e32 v8, v76, v10, vcc
	v_sub_f32_e32 v10, v18, v0
	v_mul_f32_e32 v11, 0x3fb8aa3b, v10
	v_fma_f32 v12, v10, s20, -v11
	v_rndne_f32_e32 v13, v11
	v_fmac_f32_e32 v12, 0x32a5705f, v10
	v_sub_f32_e32 v11, v11, v13
	v_add_f32_e32 v11, v11, v12
	v_exp_f32_e32 v11, v11
	v_cvt_i32_f32_e32 v12, v13
	v_cmp_ngt_f32_e32 vcc, s21, v10
	v_ldexp_f32 v11, v11, v12
	s_nop 0
	v_cndmask_b32_e32 v11, 0, v11, vcc
	v_cmp_nlt_f32_e32 vcc, s24, v10
	s_nop 1
	v_cndmask_b32_e32 v10, v76, v11, vcc
	v_mul_f32_e32 v11, 0x3fb8aa3b, v9
	v_fma_f32 v12, v9, s20, -v11
	v_rndne_f32_e32 v13, v11
	v_fmac_f32_e32 v12, 0x32a5705f, v9
	v_sub_f32_e32 v11, v11, v13
	v_add_f32_e32 v11, v11, v12
	v_exp_f32_e32 v11, v11
	v_cvt_i32_f32_e32 v12, v13
	v_cmp_ngt_f32_e32 vcc, s21, v9
	v_sub_f32_e32 v13, v99, v1
	v_ldexp_f32 v11, v11, v12
	v_cndmask_b32_e32 v11, 0, v11, vcc
	v_cmp_nlt_f32_e32 vcc, s24, v9
	s_nop 1
	v_cndmask_b32_e32 v12, v76, v11, vcc
	v_cvt_f16_f32_e32 v9, v12
	v_mul_u32_u24_e32 v9, 0x10001, v9
	v_pk_mul_f16 v18, v92, v9
	v_sub_f32_e32 v9, v19, v1
	v_mul_f32_e32 v11, 0x3fb8aa3b, v9
	v_fma_f32 v14, v9, s20, -v11
	v_rndne_f32_e32 v15, v11
	v_fmac_f32_e32 v14, 0x32a5705f, v9
	v_sub_f32_e32 v11, v11, v15
	v_add_f32_e32 v11, v11, v14
	v_exp_f32_e32 v11, v11
	v_cvt_i32_f32_e32 v14, v15
	v_cmp_ngt_f32_e32 vcc, s21, v9
	v_ldexp_f32 v11, v11, v14
	s_nop 0
	v_cndmask_b32_e32 v11, 0, v11, vcc
	v_cmp_nlt_f32_e32 vcc, s24, v9
	s_nop 1
	v_cndmask_b32_e32 v9, v76, v11, vcc
	v_sub_f32_e32 v11, v21, v1
	v_mul_f32_e32 v14, 0x3fb8aa3b, v11
	v_fma_f32 v15, v11, s20, -v14
	v_rndne_f32_e32 v16, v14
	v_fmac_f32_e32 v15, 0x32a5705f, v11
	v_sub_f32_e32 v14, v14, v16
	v_add_f32_e32 v14, v14, v15
	v_exp_f32_e32 v14, v14
	v_cvt_i32_f32_e32 v15, v16
	v_cmp_ngt_f32_e32 vcc, s21, v11
	v_ldexp_f32 v14, v14, v15
	s_nop 0
	v_cndmask_b32_e32 v14, 0, v14, vcc
	v_cmp_nlt_f32_e32 vcc, s24, v11
	s_nop 1
	v_cndmask_b32_e32 v11, v76, v14, vcc
	v_mul_f32_e32 v14, 0x3fb8aa3b, v13
	v_fma_f32 v15, v13, s20, -v14
	v_rndne_f32_e32 v16, v14
	v_fmac_f32_e32 v15, 0x32a5705f, v13
	v_sub_f32_e32 v14, v14, v16
	v_add_f32_e32 v14, v14, v15
	v_exp_f32_e32 v14, v14
	v_cvt_i32_f32_e32 v15, v16
	v_cmp_ngt_f32_e32 vcc, s21, v13
	v_ldexp_f32 v14, v14, v15
	s_nop 0
	v_cndmask_b32_e32 v14, 0, v14, vcc
	v_cmp_nlt_f32_e32 vcc, s24, v13
	v_sub_f32_e32 v15, v98, v2
	s_nop 0
	v_cndmask_b32_e32 v13, v76, v14, vcc
	v_cvt_f16_f32_e32 v14, v13
	v_mul_u32_u24_e32 v14, 0x10001, v14
	v_pk_mul_f16 v19, v91, v14
	v_sub_f32_e32 v14, v22, v2
	v_mul_f32_e32 v16, 0x3fb8aa3b, v14
	v_fma_f32 v17, v14, s20, -v16
	v_rndne_f32_e32 v20, v16
	v_fmac_f32_e32 v17, 0x32a5705f, v14
	v_sub_f32_e32 v16, v16, v20
	v_add_f32_e32 v16, v16, v17
	v_exp_f32_e32 v16, v16
	v_cvt_i32_f32_e32 v17, v20
	v_cmp_ngt_f32_e32 vcc, s21, v14
	v_ldexp_f32 v16, v16, v17
	s_nop 0
	v_cndmask_b32_e32 v16, 0, v16, vcc
	v_cmp_nlt_f32_e32 vcc, s24, v14
	s_nop 1
	v_cndmask_b32_e32 v14, v76, v16, vcc
	v_sub_f32_e32 v16, v23, v2
	v_mul_f32_e32 v17, 0x3fb8aa3b, v16
	v_fma_f32 v20, v16, s20, -v17
	v_rndne_f32_e32 v21, v17
	v_fmac_f32_e32 v20, 0x32a5705f, v16
	v_sub_f32_e32 v17, v17, v21
	v_add_f32_e32 v17, v17, v20
	v_exp_f32_e32 v17, v17
	v_cvt_i32_f32_e32 v20, v21
	v_cmp_ngt_f32_e32 vcc, s21, v16
	v_ldexp_f32 v17, v17, v20
	s_nop 0
	v_cndmask_b32_e32 v17, 0, v17, vcc
	v_cmp_nlt_f32_e32 vcc, s24, v16
	s_nop 1
	v_cndmask_b32_e32 v16, v76, v17, vcc
	v_mul_f32_e32 v17, 0x3fb8aa3b, v15
	v_fma_f32 v20, v15, s20, -v17
	v_rndne_f32_e32 v21, v17
	v_fmac_f32_e32 v20, 0x32a5705f, v15
	v_sub_f32_e32 v17, v17, v21
	v_add_f32_e32 v17, v17, v20
	v_exp_f32_e32 v17, v17
	v_cvt_i32_f32_e32 v20, v21
	v_cmp_ngt_f32_e32 vcc, s21, v15
	v_sub_f32_e32 v21, v97, v3
	v_ldexp_f32 v17, v17, v20
	v_cndmask_b32_e32 v17, 0, v17, vcc
	v_cmp_nlt_f32_e32 vcc, s24, v15
	s_nop 1
	v_cndmask_b32_e32 v26, v76, v17, vcc
	v_cvt_f16_f32_e32 v15, v26
	v_mul_u32_u24_e32 v15, 0x10001, v15
	v_pk_mul_f16 v20, v90, v15
	v_sub_f32_e32 v15, v25, v3
	v_mul_f32_e32 v17, 0x3fb8aa3b, v15
	v_fma_f32 v22, v15, s20, -v17
	v_rndne_f32_e32 v23, v17
	v_fmac_f32_e32 v22, 0x32a5705f, v15
	v_sub_f32_e32 v17, v17, v23
	v_add_f32_e32 v17, v17, v22
	v_exp_f32_e32 v17, v17
	v_cvt_i32_f32_e32 v22, v23
	v_cmp_ngt_f32_e32 vcc, s21, v15
	v_ldexp_f32 v17, v17, v22
	s_nop 0
	v_cndmask_b32_e32 v17, 0, v17, vcc
	v_cmp_nlt_f32_e32 vcc, s24, v15
	s_nop 1
	v_cndmask_b32_e32 v15, v76, v17, vcc
	v_sub_f32_e32 v17, v24, v3
	v_mul_f32_e32 v22, 0x3fb8aa3b, v17
	v_fma_f32 v23, v17, s20, -v22
	v_rndne_f32_e32 v24, v22
	v_fmac_f32_e32 v23, 0x32a5705f, v17
	v_sub_f32_e32 v22, v22, v24
	v_add_f32_e32 v22, v22, v23
	v_exp_f32_e32 v22, v22
	v_cvt_i32_f32_e32 v23, v24
	v_cmp_ngt_f32_e32 vcc, s21, v17
	v_ldexp_f32 v22, v22, v23
	s_nop 0
	v_cndmask_b32_e32 v22, 0, v22, vcc
	v_cmp_nlt_f32_e32 vcc, s24, v17
	s_nop 1
	v_cndmask_b32_e32 v17, v76, v22, vcc
	v_mul_f32_e32 v22, 0x3fb8aa3b, v21
	v_fma_f32 v23, v21, s20, -v22
	v_rndne_f32_e32 v24, v22
	v_fmac_f32_e32 v23, 0x32a5705f, v21
	v_sub_f32_e32 v22, v22, v24
	v_add_f32_e32 v22, v22, v23
	v_exp_f32_e32 v22, v22
	v_cvt_i32_f32_e32 v23, v24
	v_cmp_ngt_f32_e32 vcc, s21, v21
	v_ldexp_f32 v22, v22, v23
	v_sub_f32_e32 v23, v28, v4
	v_mul_f32_e32 v24, 0x3fb8aa3b, v23
	v_fma_f32 v25, v23, s20, -v24
	v_rndne_f32_e32 v28, v24
	v_fmac_f32_e32 v25, 0x32a5705f, v23
	v_sub_f32_e32 v24, v24, v28
	v_add_f32_e32 v24, v24, v25
	v_exp_f32_e32 v24, v24
	v_cvt_i32_f32_e32 v25, v28
	v_cndmask_b32_e32 v22, 0, v22, vcc
	v_cmp_nlt_f32_e32 vcc, s24, v21
	v_ldexp_f32 v24, v24, v25
	s_nop 0
	v_cndmask_b32_e32 v27, v76, v22, vcc
	v_cmp_ngt_f32_e32 vcc, s21, v23
	v_sub_f32_e32 v22, v96, v4
	v_cvt_f16_f32_e32 v21, v27
	v_cndmask_b32_e32 v24, 0, v24, vcc
	v_cmp_nlt_f32_e32 vcc, s24, v23
	v_sub_f32_e32 v23, v29, v4
	v_mul_u32_u24_e32 v21, 0x10001, v21
	v_cndmask_b32_e32 v30, v76, v24, vcc
	v_mul_f32_e32 v24, 0x3fb8aa3b, v23
	v_fma_f32 v25, v23, s20, -v24
	v_rndne_f32_e32 v28, v24
	v_fmac_f32_e32 v25, 0x32a5705f, v23
	v_sub_f32_e32 v24, v24, v28
	v_add_f32_e32 v24, v24, v25
	v_exp_f32_e32 v24, v24
	v_cvt_i32_f32_e32 v25, v28
	v_cmp_ngt_f32_e32 vcc, s21, v23
	v_pk_mul_f16 v21, v89, v21
	v_ldexp_f32 v24, v24, v25
	v_cndmask_b32_e32 v24, 0, v24, vcc
	v_cmp_nlt_f32_e32 vcc, s24, v23
	v_mul_f32_e32 v23, 0x3fb8aa3b, v22
	v_rndne_f32_e32 v25, v23
	v_cndmask_b32_e32 v32, v76, v24, vcc
	v_fma_f32 v24, v22, s20, -v23
	v_fmac_f32_e32 v24, 0x32a5705f, v22
	v_sub_f32_e32 v23, v23, v25
	v_add_f32_e32 v23, v23, v24
	v_exp_f32_e32 v23, v23
	v_cvt_i32_f32_e32 v24, v25
	v_cmp_ngt_f32_e32 vcc, s21, v22
	v_ldexp_f32 v23, v23, v24
	v_sub_f32_e32 v24, v31, v5
	v_mul_f32_e32 v25, 0x3fb8aa3b, v24
	v_fma_f32 v29, v24, s20, -v25
	v_rndne_f32_e32 v31, v25
	v_fmac_f32_e32 v29, 0x32a5705f, v24
	v_sub_f32_e32 v25, v25, v31
	v_add_f32_e32 v25, v25, v29
	v_exp_f32_e32 v25, v25
	v_cvt_i32_f32_e32 v29, v31
	v_cndmask_b32_e32 v23, 0, v23, vcc
	v_cmp_nlt_f32_e32 vcc, s24, v22
	v_ldexp_f32 v25, v25, v29
	s_nop 0
	v_cndmask_b32_e32 v28, v76, v23, vcc
	v_cmp_ngt_f32_e32 vcc, s21, v24
	v_sub_f32_e32 v23, v95, v5
	v_cvt_f16_f32_e32 v22, v28
	v_cndmask_b32_e32 v25, 0, v25, vcc
	v_cmp_nlt_f32_e32 vcc, s24, v24
	v_sub_f32_e32 v24, v33, v5
	v_mul_u32_u24_e32 v22, 0x10001, v22
	v_cndmask_b32_e32 v31, v76, v25, vcc
	v_mul_f32_e32 v25, 0x3fb8aa3b, v24
	v_fma_f32 v29, v24, s20, -v25
	v_rndne_f32_e32 v33, v25
	v_fmac_f32_e32 v29, 0x32a5705f, v24
	v_sub_f32_e32 v25, v25, v33
	v_add_f32_e32 v25, v25, v29
	v_exp_f32_e32 v25, v25
	v_cvt_i32_f32_e32 v29, v33
	v_cmp_ngt_f32_e32 vcc, s21, v24
	v_pk_mul_f16 v22, v88, v22
	v_pk_add_f32 v[88:89], v[14:15], v[16:17]
	v_ldexp_f32 v25, v25, v29
	v_cndmask_b32_e32 v25, 0, v25, vcc
	v_cmp_nlt_f32_e32 vcc, s24, v24
	v_mul_f32_e32 v24, 0x3fb8aa3b, v23
	v_rndne_f32_e32 v29, v24
	v_cndmask_b32_e32 v33, v76, v25, vcc
	v_fma_f32 v25, v23, s20, -v24
	v_fmac_f32_e32 v25, 0x32a5705f, v23
	v_sub_f32_e32 v24, v24, v29
	v_add_f32_e32 v24, v24, v25
	v_exp_f32_e32 v24, v24
	v_cvt_i32_f32_e32 v25, v29
	v_cmp_ngt_f32_e32 vcc, s21, v23
	v_pk_add_f32 v[90:91], v[30:31], v[32:33]
	v_pk_fma_f32 v[46:47], v[46:47], v[26:27], v[88:89]
	v_ldexp_f32 v24, v24, v25
	v_sub_f32_e32 v25, v34, v6
	v_mul_f32_e32 v34, 0x3fb8aa3b, v25
	v_fma_f32 v36, v25, s20, -v34
	v_rndne_f32_e32 v38, v34
	v_fmac_f32_e32 v36, 0x32a5705f, v25
	v_sub_f32_e32 v34, v34, v38
	v_add_f32_e32 v34, v34, v36
	v_exp_f32_e32 v34, v34
	v_cvt_i32_f32_e32 v36, v38
	v_cndmask_b32_e32 v24, 0, v24, vcc
	v_cmp_nlt_f32_e32 vcc, s24, v23
	v_cvt_pk_f16_f32 v27, v14, v15
	v_ldexp_f32 v34, v34, v36
	v_cndmask_b32_e32 v29, v76, v24, vcc
	v_cmp_ngt_f32_e32 vcc, s21, v25
	v_sub_f32_e32 v24, v94, v6
	v_cvt_f16_f32_e32 v23, v29
	v_cndmask_b32_e32 v34, 0, v34, vcc
	v_cmp_nlt_f32_e32 vcc, s24, v25
	v_sub_f32_e32 v25, v35, v6
	v_mul_f32_e32 v35, 0x3fb8aa3b, v25
	v_fma_f32 v36, v25, s20, -v35
	v_rndne_f32_e32 v38, v35
	v_fmac_f32_e32 v36, 0x32a5705f, v25
	v_sub_f32_e32 v35, v35, v38
	v_add_f32_e32 v35, v35, v36
	v_exp_f32_e32 v35, v35
	v_cvt_i32_f32_e32 v36, v38
	v_cndmask_b32_e32 v34, v76, v34, vcc
	v_cmp_ngt_f32_e32 vcc, s21, v25
	v_mul_u32_u24_e32 v23, 0x10001, v23
	v_ldexp_f32 v35, v35, v36
	v_cndmask_b32_e32 v35, 0, v35, vcc
	v_cmp_nlt_f32_e32 vcc, s24, v25
	v_mul_f32_e32 v25, 0x3fb8aa3b, v24
	v_rndne_f32_e32 v38, v25
	v_cndmask_b32_e32 v36, v76, v35, vcc
	v_fma_f32 v35, v24, s20, -v25
	v_fmac_f32_e32 v35, 0x32a5705f, v24
	v_sub_f32_e32 v25, v25, v38
	v_add_f32_e32 v25, v25, v35
	v_exp_f32_e32 v25, v25
	v_cvt_i32_f32_e32 v35, v38
	v_cmp_ngt_f32_e32 vcc, s21, v24
	v_pk_mul_f16 v23, v87, v23
	v_pk_fma_f32 v[44:45], v[44:45], v[28:29], v[90:91]
	v_ldexp_f32 v25, v25, v35
	v_cndmask_b32_e32 v25, 0, v25, vcc
	v_cmp_nlt_f32_e32 vcc, s24, v24
	v_sub_f32_e32 v35, v37, v7
	v_mul_f32_e32 v37, 0x3fb8aa3b, v35
	v_cndmask_b32_e32 v38, v76, v25, vcc
	v_cvt_f16_f32_e32 v24, v38
	v_rndne_f32_e32 v87, v37
	v_cmp_ngt_f32_e32 vcc, s21, v35
	v_sub_f32_e32 v25, v93, v7
	v_mul_u32_u24_e32 v24, 0x10001, v24
	v_pk_mul_f16 v24, v86, v24
	v_fma_f32 v86, v35, s20, -v37
	v_fmac_f32_e32 v86, 0x32a5705f, v35
	v_sub_f32_e32 v37, v37, v87
	v_add_f32_e32 v37, v37, v86
	v_exp_f32_e32 v37, v37
	v_cvt_i32_f32_e32 v86, v87
	v_cvt_pk_f16_f32 v28, v30, v31
	v_cvt_pk_f16_f32 v26, v8, v9
	v_ldexp_f32 v37, v37, v86
	v_cndmask_b32_e32 v37, 0, v37, vcc
	v_cmp_nlt_f32_e32 vcc, s24, v35
	s_nop 1
	v_cndmask_b32_e32 v35, v76, v37, vcc
	v_sub_f32_e32 v37, v39, v7
	v_mul_f32_e32 v39, 0x3fb8aa3b, v37
	v_fma_f32 v86, v37, s20, -v39
	v_rndne_f32_e32 v87, v39
	v_fmac_f32_e32 v86, 0x32a5705f, v37
	v_sub_f32_e32 v39, v39, v87
	v_add_f32_e32 v39, v39, v86
	v_exp_f32_e32 v39, v39
	v_cvt_i32_f32_e32 v86, v87
	v_cmp_ngt_f32_e32 vcc, s21, v37
	v_cvt_pk_f16_f32 v29, v34, v35
	ds_write_b128 v77, v[26:29]
	v_ldexp_f32 v39, v39, v86
	v_cndmask_b32_e32 v39, 0, v39, vcc
	v_cmp_nlt_f32_e32 vcc, s24, v37
	v_cvt_pk_f16_f32 v26, v10, v11
	v_cvt_pk_f16_f32 v27, v16, v17
	v_cndmask_b32_e32 v37, v76, v39, vcc
	v_mul_f32_e32 v39, 0x3fb8aa3b, v25
	v_fma_f32 v86, v25, s20, -v39
	v_rndne_f32_e32 v87, v39
	v_fmac_f32_e32 v86, 0x32a5705f, v25
	v_sub_f32_e32 v39, v39, v87
	v_add_f32_e32 v39, v39, v86
	v_exp_f32_e32 v39, v39
	v_cvt_i32_f32_e32 v86, v87
	v_cmp_ngt_f32_e32 vcc, s21, v25
	v_cvt_pk_f16_f32 v29, v36, v37
	v_cvt_pk_f16_f32 v28, v32, v33
	v_ldexp_f32 v39, v39, v86
	v_pk_add_f32 v[86:87], v[8:9], v[10:11]
	v_lshl_add_u64 v[8:9], v[58:59], 2, s[6:7]
	v_lshl_add_u64 v[10:11], v[8:9], 0, v[50:51]
	v_lshl_add_u64 v[8:9], v[60:61], 2, s[6:7]
	v_lshl_add_u64 v[8:9], v[8:9], 0, v[50:51]
	global_load_dwordx4 v[14:17], v[10:11], off
	v_cndmask_b32_e32 v39, 0, v39, vcc
	global_load_dwordx4 v[8:11], v[8:9], off
	v_cmp_nlt_f32_e32 vcc, s24, v25
	v_pk_fma_f32 v[48:49], v[48:49], v[12:13], v[86:87]
	v_pk_add_f32 v[92:93], v[34:35], v[36:37]
	v_cndmask_b32_e32 v39, v76, v39, vcc
	v_cvt_f16_f32_e32 v12, v39
	ds_write_b128 v77, v[26:29] offset:512
	v_pk_fma_f32 v[42:43], v[42:43], v[38:39], v[92:93]
	v_mul_u32_u24_e32 v12, 0x10001, v12
	v_pk_mul_f16 v12, v85, v12
	s_waitcnt vmcnt(1)
	ds_write_b128 v74, v[14:17]
	s_waitcnt vmcnt(0)
	ds_write_b128 v75, v[8:11]
	s_waitcnt lgkmcnt(0)
	s_barrier
	ds_read2_b32 v[34:35], v69 offset1:32
	ds_read_b128 v[8:11], v73
	ds_read_b128 v[14:17], v73 offset:16
	ds_read_b128 v[26:29], v73 offset:32
	;; [unrolled: 1-line block ×3, first 2 shown]
	s_waitcnt lgkmcnt(3)
	v_mul_u32_u24_sdwa v13, v8, s25 dst_sel:DWORD dst_unused:UNUSED_PAD src0_sel:WORD_0 src1_sel:DWORD
	v_mul_u32_u24_sdwa v8, v8, s25 dst_sel:DWORD dst_unused:UNUSED_PAD src0_sel:WORD_1 src1_sel:DWORD
	v_mul_u32_u24_sdwa v25, v9, s25 dst_sel:DWORD dst_unused:UNUSED_PAD src0_sel:WORD_0 src1_sel:DWORD
	v_mul_u32_u24_sdwa v9, v9, s25 dst_sel:DWORD dst_unused:UNUSED_PAD src0_sel:WORD_1 src1_sel:DWORD
	;; [unrolled: 2-line block ×3, first 2 shown]
	v_pk_fma_f16 v13, v34, v13, v18
	v_pk_fma_f16 v8, v34, v8, v19
	;; [unrolled: 1-line block ×4, first 2 shown]
	s_waitcnt lgkmcnt(2)
	v_mul_u32_u24_sdwa v12, v14, s25 dst_sel:DWORD dst_unused:UNUSED_PAD src0_sel:WORD_0 src1_sel:DWORD
	v_mul_u32_u24_sdwa v14, v14, s25 dst_sel:DWORD dst_unused:UNUSED_PAD src0_sel:WORD_1 src1_sel:DWORD
	v_mul_u32_u24_sdwa v21, v15, s25 dst_sel:DWORD dst_unused:UNUSED_PAD src0_sel:WORD_0 src1_sel:DWORD
	v_mul_u32_u24_sdwa v15, v15, s25 dst_sel:DWORD dst_unused:UNUSED_PAD src0_sel:WORD_1 src1_sel:DWORD
	v_pk_fma_f16 v12, v35, v12, v13
	v_pk_fma_f16 v13, v35, v14, v8
	;; [unrolled: 1-line block ×3, first 2 shown]
	ds_read2_b32 v[8:9], v69 offset0:64 offset1:96
	v_mul_u32_u24_sdwa v36, v10, s25 dst_sel:DWORD dst_unused:UNUSED_PAD src0_sel:WORD_0 src1_sel:DWORD
	v_mul_u32_u24_sdwa v10, v10, s25 dst_sel:DWORD dst_unused:UNUSED_PAD src0_sel:WORD_1 src1_sel:DWORD
	v_pk_fma_f16 v18, v34, v25, v20
	v_pk_fma_f16 v19, v34, v36, v22
	;; [unrolled: 1-line block ×4, first 2 shown]
	v_mul_u32_u24_sdwa v22, v16, s25 dst_sel:DWORD dst_unused:UNUSED_PAD src0_sel:WORD_0 src1_sel:DWORD
	v_mul_u32_u24_sdwa v16, v16, s25 dst_sel:DWORD dst_unused:UNUSED_PAD src0_sel:WORD_1 src1_sel:DWORD
	v_mul_u32_u24_sdwa v23, v17, s25 dst_sel:DWORD dst_unused:UNUSED_PAD src0_sel:WORD_0 src1_sel:DWORD
	v_mul_u32_u24_sdwa v17, v17, s25 dst_sel:DWORD dst_unused:UNUSED_PAD src0_sel:WORD_1 src1_sel:DWORD
	v_pk_fma_f16 v14, v35, v21, v18
	v_pk_fma_f16 v18, v35, v22, v19
	;; [unrolled: 1-line block ×5, first 2 shown]
	s_waitcnt lgkmcnt(2)
	v_mul_u32_u24_sdwa v17, v26, s25 dst_sel:DWORD dst_unused:UNUSED_PAD src0_sel:WORD_0 src1_sel:DWORD
	v_mul_u32_u24_sdwa v19, v26, s25 dst_sel:DWORD dst_unused:UNUSED_PAD src0_sel:WORD_1 src1_sel:DWORD
	v_mul_u32_u24_sdwa v20, v27, s25 dst_sel:DWORD dst_unused:UNUSED_PAD src0_sel:WORD_0 src1_sel:DWORD
	v_mul_u32_u24_sdwa v21, v27, s25 dst_sel:DWORD dst_unused:UNUSED_PAD src0_sel:WORD_1 src1_sel:DWORD
	;; [unrolled: 2-line block ×4, first 2 shown]
	s_waitcnt lgkmcnt(0)
	v_pk_fma_f16 v12, v8, v17, v12
	v_pk_fma_f16 v13, v8, v19, v13
	;; [unrolled: 1-line block ×8, first 2 shown]
	v_mul_u32_u24_sdwa v11, v30, s25 dst_sel:DWORD dst_unused:UNUSED_PAD src0_sel:WORD_0 src1_sel:DWORD
	v_mul_u32_u24_sdwa v18, v30, s25 dst_sel:DWORD dst_unused:UNUSED_PAD src0_sel:WORD_1 src1_sel:DWORD
	v_mul_u32_u24_sdwa v19, v31, s25 dst_sel:DWORD dst_unused:UNUSED_PAD src0_sel:WORD_0 src1_sel:DWORD
	v_mul_u32_u24_sdwa v20, v31, s25 dst_sel:DWORD dst_unused:UNUSED_PAD src0_sel:WORD_1 src1_sel:DWORD
	;; [unrolled: 2-line block ×4, first 2 shown]
	v_pk_fma_f16 v25, v9, v11, v12
	v_pk_fma_f16 v18, v9, v18, v13
	;; [unrolled: 1-line block ×8, first 2 shown]
	ds_read2_b32 v[8:9], v69 offset0:128 offset1:160
	ds_read_b128 v[10:13], v73 offset:64
	s_waitcnt lgkmcnt(0)
	v_mul_u32_u24_sdwa v21, v10, s25 dst_sel:DWORD dst_unused:UNUSED_PAD src0_sel:WORD_0 src1_sel:DWORD
	v_mul_u32_u24_sdwa v10, v10, s25 dst_sel:DWORD dst_unused:UNUSED_PAD src0_sel:WORD_1 src1_sel:DWORD
	v_mul_u32_u24_sdwa v22, v11, s25 dst_sel:DWORD dst_unused:UNUSED_PAD src0_sel:WORD_0 src1_sel:DWORD
	v_mul_u32_u24_sdwa v11, v11, s25 dst_sel:DWORD dst_unused:UNUSED_PAD src0_sel:WORD_1 src1_sel:DWORD
	;; [unrolled: 2-line block ×4, first 2 shown]
	v_pk_fma_f16 v21, v8, v21, v25
	v_pk_fma_f16 v18, v8, v10, v18
	;; [unrolled: 1-line block ×8, first 2 shown]
	ds_read_b128 v[10:13], v73 offset:80
	s_waitcnt lgkmcnt(0)
	v_mul_u32_u24_sdwa v20, v10, s25 dst_sel:DWORD dst_unused:UNUSED_PAD src0_sel:WORD_0 src1_sel:DWORD
	v_mul_u32_u24_sdwa v10, v10, s25 dst_sel:DWORD dst_unused:UNUSED_PAD src0_sel:WORD_1 src1_sel:DWORD
	v_mul_u32_u24_sdwa v22, v11, s25 dst_sel:DWORD dst_unused:UNUSED_PAD src0_sel:WORD_0 src1_sel:DWORD
	v_mul_u32_u24_sdwa v11, v11, s25 dst_sel:DWORD dst_unused:UNUSED_PAD src0_sel:WORD_1 src1_sel:DWORD
	;; [unrolled: 2-line block ×4, first 2 shown]
	v_pk_fma_f16 v20, v9, v20, v21
	v_pk_fma_f16 v18, v9, v10, v18
	;; [unrolled: 1-line block ×8, first 2 shown]
	ds_read2_b32 v[12:13], v69 offset0:192 offset1:224
	ds_read_b128 v[8:11], v73 offset:96
	s_waitcnt lgkmcnt(0)
	v_mul_u32_u24_sdwa v22, v8, s25 dst_sel:DWORD dst_unused:UNUSED_PAD src0_sel:WORD_0 src1_sel:DWORD
	v_mul_u32_u24_sdwa v8, v8, s25 dst_sel:DWORD dst_unused:UNUSED_PAD src0_sel:WORD_1 src1_sel:DWORD
	v_mul_u32_u24_sdwa v23, v9, s25 dst_sel:DWORD dst_unused:UNUSED_PAD src0_sel:WORD_0 src1_sel:DWORD
	v_mul_u32_u24_sdwa v9, v9, s25 dst_sel:DWORD dst_unused:UNUSED_PAD src0_sel:WORD_1 src1_sel:DWORD
	;; [unrolled: 2-line block ×4, first 2 shown]
	v_pk_fma_f16 v20, v12, v22, v20
	v_pk_fma_f16 v18, v12, v8, v18
	;; [unrolled: 1-line block ×8, first 2 shown]
	ds_read_b128 v[8:11], v73 offset:112
	s_waitcnt lgkmcnt(0)
	v_mul_u32_u24_sdwa v21, v8, s25 dst_sel:DWORD dst_unused:UNUSED_PAD src0_sel:WORD_0 src1_sel:DWORD
	v_mul_u32_u24_sdwa v8, v8, s25 dst_sel:DWORD dst_unused:UNUSED_PAD src0_sel:WORD_1 src1_sel:DWORD
	v_mul_u32_u24_sdwa v22, v9, s25 dst_sel:DWORD dst_unused:UNUSED_PAD src0_sel:WORD_0 src1_sel:DWORD
	v_mul_u32_u24_sdwa v9, v9, s25 dst_sel:DWORD dst_unused:UNUSED_PAD src0_sel:WORD_1 src1_sel:DWORD
	;; [unrolled: 2-line block ×4, first 2 shown]
	v_pk_fma_f16 v20, v13, v21, v20
	v_pk_fma_f16 v18, v13, v8, v18
	;; [unrolled: 1-line block ×8, first 2 shown]
	ds_read2_b32 v[12:13], v78 offset1:32
	ds_read_b128 v[8:11], v73 offset:128
	s_waitcnt lgkmcnt(0)
	v_mul_u32_u24_sdwa v22, v8, s25 dst_sel:DWORD dst_unused:UNUSED_PAD src0_sel:WORD_0 src1_sel:DWORD
	v_mul_u32_u24_sdwa v8, v8, s25 dst_sel:DWORD dst_unused:UNUSED_PAD src0_sel:WORD_1 src1_sel:DWORD
	v_mul_u32_u24_sdwa v23, v9, s25 dst_sel:DWORD dst_unused:UNUSED_PAD src0_sel:WORD_0 src1_sel:DWORD
	v_mul_u32_u24_sdwa v9, v9, s25 dst_sel:DWORD dst_unused:UNUSED_PAD src0_sel:WORD_1 src1_sel:DWORD
	v_mul_u32_u24_sdwa v24, v10, s25 dst_sel:DWORD dst_unused:UNUSED_PAD src0_sel:WORD_0 src1_sel:DWORD
	v_mul_u32_u24_sdwa v10, v10, s25 dst_sel:DWORD dst_unused:UNUSED_PAD src0_sel:WORD_1 src1_sel:DWORD
	v_mul_u32_u24_sdwa v25, v11, s25 dst_sel:DWORD dst_unused:UNUSED_PAD src0_sel:WORD_0 src1_sel:DWORD
	v_mul_u32_u24_sdwa v11, v11, s25 dst_sel:DWORD dst_unused:UNUSED_PAD src0_sel:WORD_1 src1_sel:DWORD
	v_pk_fma_f16 v20, v12, v22, v20
	v_pk_fma_f16 v18, v12, v8, v18
	v_pk_fma_f16 v14, v12, v23, v14
	v_pk_fma_f16 v15, v12, v9, v15
	v_pk_fma_f16 v17, v12, v24, v17
	v_pk_fma_f16 v19, v12, v10, v19
	v_pk_fma_f16 v16, v12, v25, v16
	v_pk_fma_f16 v12, v12, v11, v21
	ds_read_b128 v[8:11], v73 offset:144
	s_waitcnt lgkmcnt(0)
	v_mul_u32_u24_sdwa v21, v8, s25 dst_sel:DWORD dst_unused:UNUSED_PAD src0_sel:WORD_0 src1_sel:DWORD
	v_mul_u32_u24_sdwa v8, v8, s25 dst_sel:DWORD dst_unused:UNUSED_PAD src0_sel:WORD_1 src1_sel:DWORD
	v_mul_u32_u24_sdwa v22, v9, s25 dst_sel:DWORD dst_unused:UNUSED_PAD src0_sel:WORD_0 src1_sel:DWORD
	v_mul_u32_u24_sdwa v9, v9, s25 dst_sel:DWORD dst_unused:UNUSED_PAD src0_sel:WORD_1 src1_sel:DWORD
	v_mul_u32_u24_sdwa v23, v10, s25 dst_sel:DWORD dst_unused:UNUSED_PAD src0_sel:WORD_0 src1_sel:DWORD
	v_mul_u32_u24_sdwa v10, v10, s25 dst_sel:DWORD dst_unused:UNUSED_PAD src0_sel:WORD_1 src1_sel:DWORD
	v_mul_u32_u24_sdwa v24, v11, s25 dst_sel:DWORD dst_unused:UNUSED_PAD src0_sel:WORD_0 src1_sel:DWORD
	v_mul_u32_u24_sdwa v11, v11, s25 dst_sel:DWORD dst_unused:UNUSED_PAD src0_sel:WORD_1 src1_sel:DWORD
	v_pk_fma_f16 v20, v13, v21, v20
	v_pk_fma_f16 v18, v13, v8, v18
	v_pk_fma_f16 v14, v13, v22, v14
	v_pk_fma_f16 v15, v13, v9, v15
	v_pk_fma_f16 v17, v13, v23, v17
	v_pk_fma_f16 v19, v13, v10, v19
	v_pk_fma_f16 v16, v13, v24, v16
	v_pk_fma_f16 v21, v13, v11, v12
	ds_read2_b32 v[12:13], v78 offset0:64 offset1:96
	ds_read_b128 v[8:11], v73 offset:160
	s_waitcnt lgkmcnt(0)
	v_mul_u32_u24_sdwa v22, v8, s25 dst_sel:DWORD dst_unused:UNUSED_PAD src0_sel:WORD_0 src1_sel:DWORD
	v_mul_u32_u24_sdwa v8, v8, s25 dst_sel:DWORD dst_unused:UNUSED_PAD src0_sel:WORD_1 src1_sel:DWORD
	v_mul_u32_u24_sdwa v23, v9, s25 dst_sel:DWORD dst_unused:UNUSED_PAD src0_sel:WORD_0 src1_sel:DWORD
	v_mul_u32_u24_sdwa v9, v9, s25 dst_sel:DWORD dst_unused:UNUSED_PAD src0_sel:WORD_1 src1_sel:DWORD
	v_mul_u32_u24_sdwa v24, v10, s25 dst_sel:DWORD dst_unused:UNUSED_PAD src0_sel:WORD_0 src1_sel:DWORD
	v_mul_u32_u24_sdwa v10, v10, s25 dst_sel:DWORD dst_unused:UNUSED_PAD src0_sel:WORD_1 src1_sel:DWORD
	v_mul_u32_u24_sdwa v25, v11, s25 dst_sel:DWORD dst_unused:UNUSED_PAD src0_sel:WORD_0 src1_sel:DWORD
	v_mul_u32_u24_sdwa v11, v11, s25 dst_sel:DWORD dst_unused:UNUSED_PAD src0_sel:WORD_1 src1_sel:DWORD
	v_pk_fma_f16 v20, v12, v22, v20
	v_pk_fma_f16 v18, v12, v8, v18
	v_pk_fma_f16 v14, v12, v23, v14
	v_pk_fma_f16 v15, v12, v9, v15
	v_pk_fma_f16 v17, v12, v24, v17
	v_pk_fma_f16 v19, v12, v10, v19
	v_pk_fma_f16 v16, v12, v25, v16
	v_pk_fma_f16 v12, v12, v11, v21
	ds_read_b128 v[8:11], v73 offset:176
	s_waitcnt lgkmcnt(0)
	v_mul_u32_u24_sdwa v21, v8, s25 dst_sel:DWORD dst_unused:UNUSED_PAD src0_sel:WORD_0 src1_sel:DWORD
	v_mul_u32_u24_sdwa v8, v8, s25 dst_sel:DWORD dst_unused:UNUSED_PAD src0_sel:WORD_1 src1_sel:DWORD
	v_mul_u32_u24_sdwa v22, v9, s25 dst_sel:DWORD dst_unused:UNUSED_PAD src0_sel:WORD_0 src1_sel:DWORD
	v_mul_u32_u24_sdwa v9, v9, s25 dst_sel:DWORD dst_unused:UNUSED_PAD src0_sel:WORD_1 src1_sel:DWORD
	v_mul_u32_u24_sdwa v23, v10, s25 dst_sel:DWORD dst_unused:UNUSED_PAD src0_sel:WORD_0 src1_sel:DWORD
	v_mul_u32_u24_sdwa v10, v10, s25 dst_sel:DWORD dst_unused:UNUSED_PAD src0_sel:WORD_1 src1_sel:DWORD
	v_mul_u32_u24_sdwa v24, v11, s25 dst_sel:DWORD dst_unused:UNUSED_PAD src0_sel:WORD_0 src1_sel:DWORD
	v_mul_u32_u24_sdwa v11, v11, s25 dst_sel:DWORD dst_unused:UNUSED_PAD src0_sel:WORD_1 src1_sel:DWORD
	v_pk_fma_f16 v20, v13, v21, v20
	v_pk_fma_f16 v18, v13, v8, v18
	v_pk_fma_f16 v14, v13, v22, v14
	v_pk_fma_f16 v15, v13, v9, v15
	v_pk_fma_f16 v17, v13, v23, v17
	v_pk_fma_f16 v19, v13, v10, v19
	v_pk_fma_f16 v16, v13, v24, v16
	v_pk_fma_f16 v21, v13, v11, v12
	ds_read2_b32 v[12:13], v78 offset0:128 offset1:160
	;; [unrolled: 37-line block ×3, first 2 shown]
	ds_read_b128 v[8:11], v73 offset:224
	s_waitcnt lgkmcnt(0)
	v_mul_u32_u24_sdwa v22, v8, s25 dst_sel:DWORD dst_unused:UNUSED_PAD src0_sel:WORD_0 src1_sel:DWORD
	v_mul_u32_u24_sdwa v8, v8, s25 dst_sel:DWORD dst_unused:UNUSED_PAD src0_sel:WORD_1 src1_sel:DWORD
	v_mul_u32_u24_sdwa v23, v9, s25 dst_sel:DWORD dst_unused:UNUSED_PAD src0_sel:WORD_0 src1_sel:DWORD
	v_mul_u32_u24_sdwa v9, v9, s25 dst_sel:DWORD dst_unused:UNUSED_PAD src0_sel:WORD_1 src1_sel:DWORD
	;; [unrolled: 2-line block ×4, first 2 shown]
	v_pk_fma_f16 v20, v12, v22, v20
	v_pk_fma_f16 v18, v12, v8, v18
	;; [unrolled: 1-line block ×8, first 2 shown]
	ds_read_b128 v[8:11], v73 offset:240
	s_waitcnt lgkmcnt(0)
	v_mul_u32_u24_sdwa v21, v8, s25 dst_sel:DWORD dst_unused:UNUSED_PAD src0_sel:WORD_0 src1_sel:DWORD
	v_mul_u32_u24_sdwa v8, v8, s25 dst_sel:DWORD dst_unused:UNUSED_PAD src0_sel:WORD_1 src1_sel:DWORD
	v_mul_u32_u24_sdwa v22, v9, s25 dst_sel:DWORD dst_unused:UNUSED_PAD src0_sel:WORD_0 src1_sel:DWORD
	v_mul_u32_u24_sdwa v9, v9, s25 dst_sel:DWORD dst_unused:UNUSED_PAD src0_sel:WORD_1 src1_sel:DWORD
	;; [unrolled: 2-line block ×4, first 2 shown]
	v_pk_fma_f16 v20, v13, v21, v20
	v_pk_fma_f16 v18, v13, v8, v18
	;; [unrolled: 1-line block ×8, first 2 shown]
	ds_read2_b32 v[12:13], v79 offset1:32
	ds_read_b128 v[8:11], v73 offset:256
	s_waitcnt lgkmcnt(0)
	v_mul_u32_u24_sdwa v22, v8, s25 dst_sel:DWORD dst_unused:UNUSED_PAD src0_sel:WORD_0 src1_sel:DWORD
	v_mul_u32_u24_sdwa v8, v8, s25 dst_sel:DWORD dst_unused:UNUSED_PAD src0_sel:WORD_1 src1_sel:DWORD
	v_mul_u32_u24_sdwa v23, v9, s25 dst_sel:DWORD dst_unused:UNUSED_PAD src0_sel:WORD_0 src1_sel:DWORD
	v_mul_u32_u24_sdwa v9, v9, s25 dst_sel:DWORD dst_unused:UNUSED_PAD src0_sel:WORD_1 src1_sel:DWORD
	v_mul_u32_u24_sdwa v24, v10, s25 dst_sel:DWORD dst_unused:UNUSED_PAD src0_sel:WORD_0 src1_sel:DWORD
	v_mul_u32_u24_sdwa v10, v10, s25 dst_sel:DWORD dst_unused:UNUSED_PAD src0_sel:WORD_1 src1_sel:DWORD
	v_mul_u32_u24_sdwa v25, v11, s25 dst_sel:DWORD dst_unused:UNUSED_PAD src0_sel:WORD_0 src1_sel:DWORD
	v_mul_u32_u24_sdwa v11, v11, s25 dst_sel:DWORD dst_unused:UNUSED_PAD src0_sel:WORD_1 src1_sel:DWORD
	v_pk_fma_f16 v20, v12, v22, v20
	v_pk_fma_f16 v18, v12, v8, v18
	v_pk_fma_f16 v14, v12, v23, v14
	v_pk_fma_f16 v15, v12, v9, v15
	v_pk_fma_f16 v17, v12, v24, v17
	v_pk_fma_f16 v19, v12, v10, v19
	v_pk_fma_f16 v16, v12, v25, v16
	v_pk_fma_f16 v12, v12, v11, v21
	ds_read_b128 v[8:11], v73 offset:272
	s_waitcnt lgkmcnt(0)
	v_mul_u32_u24_sdwa v21, v8, s25 dst_sel:DWORD dst_unused:UNUSED_PAD src0_sel:WORD_0 src1_sel:DWORD
	v_mul_u32_u24_sdwa v8, v8, s25 dst_sel:DWORD dst_unused:UNUSED_PAD src0_sel:WORD_1 src1_sel:DWORD
	v_mul_u32_u24_sdwa v22, v9, s25 dst_sel:DWORD dst_unused:UNUSED_PAD src0_sel:WORD_0 src1_sel:DWORD
	v_mul_u32_u24_sdwa v9, v9, s25 dst_sel:DWORD dst_unused:UNUSED_PAD src0_sel:WORD_1 src1_sel:DWORD
	v_mul_u32_u24_sdwa v23, v10, s25 dst_sel:DWORD dst_unused:UNUSED_PAD src0_sel:WORD_0 src1_sel:DWORD
	v_mul_u32_u24_sdwa v10, v10, s25 dst_sel:DWORD dst_unused:UNUSED_PAD src0_sel:WORD_1 src1_sel:DWORD
	v_mul_u32_u24_sdwa v24, v11, s25 dst_sel:DWORD dst_unused:UNUSED_PAD src0_sel:WORD_0 src1_sel:DWORD
	v_mul_u32_u24_sdwa v11, v11, s25 dst_sel:DWORD dst_unused:UNUSED_PAD src0_sel:WORD_1 src1_sel:DWORD
	v_pk_fma_f16 v20, v13, v21, v20
	v_pk_fma_f16 v18, v13, v8, v18
	v_pk_fma_f16 v14, v13, v22, v14
	v_pk_fma_f16 v15, v13, v9, v15
	v_pk_fma_f16 v17, v13, v23, v17
	v_pk_fma_f16 v19, v13, v10, v19
	v_pk_fma_f16 v16, v13, v24, v16
	v_pk_fma_f16 v21, v13, v11, v12
	ds_read2_b32 v[12:13], v79 offset0:64 offset1:96
	ds_read_b128 v[8:11], v73 offset:288
	s_waitcnt lgkmcnt(0)
	v_mul_u32_u24_sdwa v22, v8, s25 dst_sel:DWORD dst_unused:UNUSED_PAD src0_sel:WORD_0 src1_sel:DWORD
	v_mul_u32_u24_sdwa v8, v8, s25 dst_sel:DWORD dst_unused:UNUSED_PAD src0_sel:WORD_1 src1_sel:DWORD
	v_mul_u32_u24_sdwa v23, v9, s25 dst_sel:DWORD dst_unused:UNUSED_PAD src0_sel:WORD_0 src1_sel:DWORD
	v_mul_u32_u24_sdwa v9, v9, s25 dst_sel:DWORD dst_unused:UNUSED_PAD src0_sel:WORD_1 src1_sel:DWORD
	v_mul_u32_u24_sdwa v24, v10, s25 dst_sel:DWORD dst_unused:UNUSED_PAD src0_sel:WORD_0 src1_sel:DWORD
	v_mul_u32_u24_sdwa v10, v10, s25 dst_sel:DWORD dst_unused:UNUSED_PAD src0_sel:WORD_1 src1_sel:DWORD
	v_mul_u32_u24_sdwa v25, v11, s25 dst_sel:DWORD dst_unused:UNUSED_PAD src0_sel:WORD_0 src1_sel:DWORD
	v_mul_u32_u24_sdwa v11, v11, s25 dst_sel:DWORD dst_unused:UNUSED_PAD src0_sel:WORD_1 src1_sel:DWORD
	v_pk_fma_f16 v20, v12, v22, v20
	v_pk_fma_f16 v18, v12, v8, v18
	v_pk_fma_f16 v14, v12, v23, v14
	v_pk_fma_f16 v15, v12, v9, v15
	v_pk_fma_f16 v17, v12, v24, v17
	v_pk_fma_f16 v19, v12, v10, v19
	v_pk_fma_f16 v16, v12, v25, v16
	v_pk_fma_f16 v12, v12, v11, v21
	ds_read_b128 v[8:11], v73 offset:304
	s_waitcnt lgkmcnt(0)
	v_mul_u32_u24_sdwa v21, v8, s25 dst_sel:DWORD dst_unused:UNUSED_PAD src0_sel:WORD_0 src1_sel:DWORD
	v_mul_u32_u24_sdwa v8, v8, s25 dst_sel:DWORD dst_unused:UNUSED_PAD src0_sel:WORD_1 src1_sel:DWORD
	v_mul_u32_u24_sdwa v22, v9, s25 dst_sel:DWORD dst_unused:UNUSED_PAD src0_sel:WORD_0 src1_sel:DWORD
	v_mul_u32_u24_sdwa v9, v9, s25 dst_sel:DWORD dst_unused:UNUSED_PAD src0_sel:WORD_1 src1_sel:DWORD
	v_mul_u32_u24_sdwa v23, v10, s25 dst_sel:DWORD dst_unused:UNUSED_PAD src0_sel:WORD_0 src1_sel:DWORD
	v_mul_u32_u24_sdwa v10, v10, s25 dst_sel:DWORD dst_unused:UNUSED_PAD src0_sel:WORD_1 src1_sel:DWORD
	v_mul_u32_u24_sdwa v24, v11, s25 dst_sel:DWORD dst_unused:UNUSED_PAD src0_sel:WORD_0 src1_sel:DWORD
	v_mul_u32_u24_sdwa v11, v11, s25 dst_sel:DWORD dst_unused:UNUSED_PAD src0_sel:WORD_1 src1_sel:DWORD
	v_pk_fma_f16 v20, v13, v21, v20
	v_pk_fma_f16 v18, v13, v8, v18
	v_pk_fma_f16 v14, v13, v22, v14
	v_pk_fma_f16 v15, v13, v9, v15
	v_pk_fma_f16 v17, v13, v23, v17
	v_pk_fma_f16 v19, v13, v10, v19
	v_pk_fma_f16 v16, v13, v24, v16
	v_pk_fma_f16 v21, v13, v11, v12
	ds_read2_b32 v[12:13], v79 offset0:128 offset1:160
	;; [unrolled: 37-line block ×3, first 2 shown]
	ds_read_b128 v[8:11], v73 offset:352
	s_waitcnt lgkmcnt(0)
	v_mul_u32_u24_sdwa v22, v8, s25 dst_sel:DWORD dst_unused:UNUSED_PAD src0_sel:WORD_0 src1_sel:DWORD
	v_mul_u32_u24_sdwa v8, v8, s25 dst_sel:DWORD dst_unused:UNUSED_PAD src0_sel:WORD_1 src1_sel:DWORD
	v_mul_u32_u24_sdwa v23, v9, s25 dst_sel:DWORD dst_unused:UNUSED_PAD src0_sel:WORD_0 src1_sel:DWORD
	v_mul_u32_u24_sdwa v9, v9, s25 dst_sel:DWORD dst_unused:UNUSED_PAD src0_sel:WORD_1 src1_sel:DWORD
	;; [unrolled: 2-line block ×4, first 2 shown]
	v_pk_fma_f16 v20, v12, v22, v20
	v_pk_fma_f16 v18, v12, v8, v18
	;; [unrolled: 1-line block ×8, first 2 shown]
	ds_read_b128 v[8:11], v73 offset:368
	s_waitcnt lgkmcnt(0)
	v_mul_u32_u24_sdwa v21, v8, s25 dst_sel:DWORD dst_unused:UNUSED_PAD src0_sel:WORD_0 src1_sel:DWORD
	v_mul_u32_u24_sdwa v8, v8, s25 dst_sel:DWORD dst_unused:UNUSED_PAD src0_sel:WORD_1 src1_sel:DWORD
	v_mul_u32_u24_sdwa v22, v9, s25 dst_sel:DWORD dst_unused:UNUSED_PAD src0_sel:WORD_0 src1_sel:DWORD
	v_mul_u32_u24_sdwa v9, v9, s25 dst_sel:DWORD dst_unused:UNUSED_PAD src0_sel:WORD_1 src1_sel:DWORD
	;; [unrolled: 2-line block ×4, first 2 shown]
	v_pk_fma_f16 v20, v13, v21, v20
	v_pk_fma_f16 v18, v13, v8, v18
	;; [unrolled: 1-line block ×8, first 2 shown]
	ds_read2_b32 v[12:13], v80 offset1:32
	ds_read_b128 v[8:11], v73 offset:384
	s_waitcnt lgkmcnt(0)
	v_mul_u32_u24_sdwa v22, v8, s25 dst_sel:DWORD dst_unused:UNUSED_PAD src0_sel:WORD_0 src1_sel:DWORD
	v_mul_u32_u24_sdwa v8, v8, s25 dst_sel:DWORD dst_unused:UNUSED_PAD src0_sel:WORD_1 src1_sel:DWORD
	v_mul_u32_u24_sdwa v23, v9, s25 dst_sel:DWORD dst_unused:UNUSED_PAD src0_sel:WORD_0 src1_sel:DWORD
	v_mul_u32_u24_sdwa v9, v9, s25 dst_sel:DWORD dst_unused:UNUSED_PAD src0_sel:WORD_1 src1_sel:DWORD
	v_mul_u32_u24_sdwa v24, v10, s25 dst_sel:DWORD dst_unused:UNUSED_PAD src0_sel:WORD_0 src1_sel:DWORD
	v_mul_u32_u24_sdwa v10, v10, s25 dst_sel:DWORD dst_unused:UNUSED_PAD src0_sel:WORD_1 src1_sel:DWORD
	v_mul_u32_u24_sdwa v25, v11, s25 dst_sel:DWORD dst_unused:UNUSED_PAD src0_sel:WORD_0 src1_sel:DWORD
	v_mul_u32_u24_sdwa v11, v11, s25 dst_sel:DWORD dst_unused:UNUSED_PAD src0_sel:WORD_1 src1_sel:DWORD
	v_pk_fma_f16 v20, v12, v22, v20
	v_pk_fma_f16 v18, v12, v8, v18
	v_pk_fma_f16 v14, v12, v23, v14
	v_pk_fma_f16 v15, v12, v9, v15
	v_pk_fma_f16 v17, v12, v24, v17
	v_pk_fma_f16 v19, v12, v10, v19
	v_pk_fma_f16 v16, v12, v25, v16
	v_pk_fma_f16 v12, v12, v11, v21
	ds_read_b128 v[8:11], v73 offset:400
	s_waitcnt lgkmcnt(0)
	v_mul_u32_u24_sdwa v21, v8, s25 dst_sel:DWORD dst_unused:UNUSED_PAD src0_sel:WORD_0 src1_sel:DWORD
	v_mul_u32_u24_sdwa v8, v8, s25 dst_sel:DWORD dst_unused:UNUSED_PAD src0_sel:WORD_1 src1_sel:DWORD
	v_mul_u32_u24_sdwa v22, v9, s25 dst_sel:DWORD dst_unused:UNUSED_PAD src0_sel:WORD_0 src1_sel:DWORD
	v_mul_u32_u24_sdwa v9, v9, s25 dst_sel:DWORD dst_unused:UNUSED_PAD src0_sel:WORD_1 src1_sel:DWORD
	v_mul_u32_u24_sdwa v23, v10, s25 dst_sel:DWORD dst_unused:UNUSED_PAD src0_sel:WORD_0 src1_sel:DWORD
	v_mul_u32_u24_sdwa v10, v10, s25 dst_sel:DWORD dst_unused:UNUSED_PAD src0_sel:WORD_1 src1_sel:DWORD
	v_mul_u32_u24_sdwa v24, v11, s25 dst_sel:DWORD dst_unused:UNUSED_PAD src0_sel:WORD_0 src1_sel:DWORD
	v_mul_u32_u24_sdwa v11, v11, s25 dst_sel:DWORD dst_unused:UNUSED_PAD src0_sel:WORD_1 src1_sel:DWORD
	v_pk_fma_f16 v20, v13, v21, v20
	v_pk_fma_f16 v18, v13, v8, v18
	v_pk_fma_f16 v14, v13, v22, v14
	v_pk_fma_f16 v15, v13, v9, v15
	v_pk_fma_f16 v17, v13, v23, v17
	v_pk_fma_f16 v19, v13, v10, v19
	v_pk_fma_f16 v16, v13, v24, v16
	v_pk_fma_f16 v21, v13, v11, v12
	ds_read2_b32 v[12:13], v80 offset0:64 offset1:96
	ds_read_b128 v[8:11], v73 offset:416
	s_waitcnt lgkmcnt(0)
	v_mul_u32_u24_sdwa v22, v8, s25 dst_sel:DWORD dst_unused:UNUSED_PAD src0_sel:WORD_0 src1_sel:DWORD
	v_mul_u32_u24_sdwa v8, v8, s25 dst_sel:DWORD dst_unused:UNUSED_PAD src0_sel:WORD_1 src1_sel:DWORD
	v_mul_u32_u24_sdwa v23, v9, s25 dst_sel:DWORD dst_unused:UNUSED_PAD src0_sel:WORD_0 src1_sel:DWORD
	v_mul_u32_u24_sdwa v9, v9, s25 dst_sel:DWORD dst_unused:UNUSED_PAD src0_sel:WORD_1 src1_sel:DWORD
	v_mul_u32_u24_sdwa v24, v10, s25 dst_sel:DWORD dst_unused:UNUSED_PAD src0_sel:WORD_0 src1_sel:DWORD
	v_mul_u32_u24_sdwa v10, v10, s25 dst_sel:DWORD dst_unused:UNUSED_PAD src0_sel:WORD_1 src1_sel:DWORD
	v_mul_u32_u24_sdwa v25, v11, s25 dst_sel:DWORD dst_unused:UNUSED_PAD src0_sel:WORD_0 src1_sel:DWORD
	v_mul_u32_u24_sdwa v11, v11, s25 dst_sel:DWORD dst_unused:UNUSED_PAD src0_sel:WORD_1 src1_sel:DWORD
	v_pk_fma_f16 v20, v12, v22, v20
	v_pk_fma_f16 v18, v12, v8, v18
	v_pk_fma_f16 v14, v12, v23, v14
	v_pk_fma_f16 v15, v12, v9, v15
	v_pk_fma_f16 v17, v12, v24, v17
	v_pk_fma_f16 v19, v12, v10, v19
	v_pk_fma_f16 v16, v12, v25, v16
	v_pk_fma_f16 v12, v12, v11, v21
	ds_read_b128 v[8:11], v73 offset:432
	s_waitcnt lgkmcnt(0)
	v_mul_u32_u24_sdwa v21, v8, s25 dst_sel:DWORD dst_unused:UNUSED_PAD src0_sel:WORD_0 src1_sel:DWORD
	v_mul_u32_u24_sdwa v8, v8, s25 dst_sel:DWORD dst_unused:UNUSED_PAD src0_sel:WORD_1 src1_sel:DWORD
	v_mul_u32_u24_sdwa v22, v9, s25 dst_sel:DWORD dst_unused:UNUSED_PAD src0_sel:WORD_0 src1_sel:DWORD
	v_mul_u32_u24_sdwa v9, v9, s25 dst_sel:DWORD dst_unused:UNUSED_PAD src0_sel:WORD_1 src1_sel:DWORD
	v_mul_u32_u24_sdwa v23, v10, s25 dst_sel:DWORD dst_unused:UNUSED_PAD src0_sel:WORD_0 src1_sel:DWORD
	v_mul_u32_u24_sdwa v10, v10, s25 dst_sel:DWORD dst_unused:UNUSED_PAD src0_sel:WORD_1 src1_sel:DWORD
	v_mul_u32_u24_sdwa v24, v11, s25 dst_sel:DWORD dst_unused:UNUSED_PAD src0_sel:WORD_0 src1_sel:DWORD
	v_mul_u32_u24_sdwa v11, v11, s25 dst_sel:DWORD dst_unused:UNUSED_PAD src0_sel:WORD_1 src1_sel:DWORD
	v_pk_fma_f16 v20, v13, v21, v20
	v_pk_fma_f16 v18, v13, v8, v18
	v_pk_fma_f16 v14, v13, v22, v14
	v_pk_fma_f16 v15, v13, v9, v15
	v_pk_fma_f16 v17, v13, v23, v17
	v_pk_fma_f16 v19, v13, v10, v19
	v_pk_fma_f16 v16, v13, v24, v16
	v_pk_fma_f16 v21, v13, v11, v12
	ds_read2_b32 v[12:13], v80 offset0:128 offset1:160
	;; [unrolled: 37-line block ×3, first 2 shown]
	ds_read_b128 v[8:11], v73 offset:480
	s_waitcnt lgkmcnt(0)
	v_mul_u32_u24_sdwa v22, v8, s25 dst_sel:DWORD dst_unused:UNUSED_PAD src0_sel:WORD_0 src1_sel:DWORD
	v_mul_u32_u24_sdwa v8, v8, s25 dst_sel:DWORD dst_unused:UNUSED_PAD src0_sel:WORD_1 src1_sel:DWORD
	v_mul_u32_u24_sdwa v23, v9, s25 dst_sel:DWORD dst_unused:UNUSED_PAD src0_sel:WORD_0 src1_sel:DWORD
	v_mul_u32_u24_sdwa v9, v9, s25 dst_sel:DWORD dst_unused:UNUSED_PAD src0_sel:WORD_1 src1_sel:DWORD
	;; [unrolled: 2-line block ×4, first 2 shown]
	v_pk_fma_f16 v20, v12, v22, v20
	v_pk_fma_f16 v18, v12, v8, v18
	;; [unrolled: 1-line block ×8, first 2 shown]
	ds_read_b128 v[8:11], v73 offset:496
	s_waitcnt lgkmcnt(0)
	v_mul_u32_u24_sdwa v21, v8, s25 dst_sel:DWORD dst_unused:UNUSED_PAD src0_sel:WORD_0 src1_sel:DWORD
	v_mul_u32_u24_sdwa v8, v8, s25 dst_sel:DWORD dst_unused:UNUSED_PAD src0_sel:WORD_1 src1_sel:DWORD
	v_mul_u32_u24_sdwa v22, v9, s25 dst_sel:DWORD dst_unused:UNUSED_PAD src0_sel:WORD_0 src1_sel:DWORD
	v_mul_u32_u24_sdwa v9, v9, s25 dst_sel:DWORD dst_unused:UNUSED_PAD src0_sel:WORD_1 src1_sel:DWORD
	v_mul_u32_u24_sdwa v23, v10, s25 dst_sel:DWORD dst_unused:UNUSED_PAD src0_sel:WORD_0 src1_sel:DWORD
	v_mul_u32_u24_sdwa v10, v10, s25 dst_sel:DWORD dst_unused:UNUSED_PAD src0_sel:WORD_1 src1_sel:DWORD
	v_mul_u32_u24_sdwa v24, v11, s25 dst_sel:DWORD dst_unused:UNUSED_PAD src0_sel:WORD_0 src1_sel:DWORD
	v_mul_u32_u24_sdwa v11, v11, s25 dst_sel:DWORD dst_unused:UNUSED_PAD src0_sel:WORD_1 src1_sel:DWORD
	v_pk_fma_f16 v20, v13, v21, v20
	v_pk_fma_f16 v18, v13, v8, v18
	;; [unrolled: 1-line block ×8, first 2 shown]
	ds_read2_b32 v[12:13], v81 offset1:32
	ds_read_b128 v[8:11], v73 offset:512
	s_waitcnt lgkmcnt(0)
	v_mul_u32_u24_sdwa v22, v8, s25 dst_sel:DWORD dst_unused:UNUSED_PAD src0_sel:WORD_0 src1_sel:DWORD
	v_mul_u32_u24_sdwa v8, v8, s25 dst_sel:DWORD dst_unused:UNUSED_PAD src0_sel:WORD_1 src1_sel:DWORD
	v_mul_u32_u24_sdwa v23, v9, s25 dst_sel:DWORD dst_unused:UNUSED_PAD src0_sel:WORD_0 src1_sel:DWORD
	v_mul_u32_u24_sdwa v9, v9, s25 dst_sel:DWORD dst_unused:UNUSED_PAD src0_sel:WORD_1 src1_sel:DWORD
	v_mul_u32_u24_sdwa v24, v10, s25 dst_sel:DWORD dst_unused:UNUSED_PAD src0_sel:WORD_0 src1_sel:DWORD
	v_mul_u32_u24_sdwa v10, v10, s25 dst_sel:DWORD dst_unused:UNUSED_PAD src0_sel:WORD_1 src1_sel:DWORD
	v_mul_u32_u24_sdwa v25, v11, s25 dst_sel:DWORD dst_unused:UNUSED_PAD src0_sel:WORD_0 src1_sel:DWORD
	v_mul_u32_u24_sdwa v11, v11, s25 dst_sel:DWORD dst_unused:UNUSED_PAD src0_sel:WORD_1 src1_sel:DWORD
	v_pk_fma_f16 v20, v12, v22, v20
	v_pk_fma_f16 v18, v12, v8, v18
	v_pk_fma_f16 v14, v12, v23, v14
	v_pk_fma_f16 v15, v12, v9, v15
	v_pk_fma_f16 v17, v12, v24, v17
	v_pk_fma_f16 v19, v12, v10, v19
	v_pk_fma_f16 v16, v12, v25, v16
	v_pk_fma_f16 v12, v12, v11, v21
	ds_read_b128 v[8:11], v73 offset:528
	s_waitcnt lgkmcnt(0)
	v_mul_u32_u24_sdwa v21, v8, s25 dst_sel:DWORD dst_unused:UNUSED_PAD src0_sel:WORD_0 src1_sel:DWORD
	v_mul_u32_u24_sdwa v8, v8, s25 dst_sel:DWORD dst_unused:UNUSED_PAD src0_sel:WORD_1 src1_sel:DWORD
	v_mul_u32_u24_sdwa v22, v9, s25 dst_sel:DWORD dst_unused:UNUSED_PAD src0_sel:WORD_0 src1_sel:DWORD
	v_mul_u32_u24_sdwa v9, v9, s25 dst_sel:DWORD dst_unused:UNUSED_PAD src0_sel:WORD_1 src1_sel:DWORD
	v_mul_u32_u24_sdwa v23, v10, s25 dst_sel:DWORD dst_unused:UNUSED_PAD src0_sel:WORD_0 src1_sel:DWORD
	v_mul_u32_u24_sdwa v10, v10, s25 dst_sel:DWORD dst_unused:UNUSED_PAD src0_sel:WORD_1 src1_sel:DWORD
	v_mul_u32_u24_sdwa v24, v11, s25 dst_sel:DWORD dst_unused:UNUSED_PAD src0_sel:WORD_0 src1_sel:DWORD
	v_mul_u32_u24_sdwa v11, v11, s25 dst_sel:DWORD dst_unused:UNUSED_PAD src0_sel:WORD_1 src1_sel:DWORD
	v_pk_fma_f16 v20, v13, v21, v20
	v_pk_fma_f16 v18, v13, v8, v18
	v_pk_fma_f16 v14, v13, v22, v14
	v_pk_fma_f16 v15, v13, v9, v15
	v_pk_fma_f16 v17, v13, v23, v17
	v_pk_fma_f16 v19, v13, v10, v19
	v_pk_fma_f16 v16, v13, v24, v16
	v_pk_fma_f16 v21, v13, v11, v12
	ds_read2_b32 v[12:13], v81 offset0:64 offset1:96
	ds_read_b128 v[8:11], v73 offset:544
	s_waitcnt lgkmcnt(0)
	v_mul_u32_u24_sdwa v22, v8, s25 dst_sel:DWORD dst_unused:UNUSED_PAD src0_sel:WORD_0 src1_sel:DWORD
	v_mul_u32_u24_sdwa v8, v8, s25 dst_sel:DWORD dst_unused:UNUSED_PAD src0_sel:WORD_1 src1_sel:DWORD
	v_mul_u32_u24_sdwa v23, v9, s25 dst_sel:DWORD dst_unused:UNUSED_PAD src0_sel:WORD_0 src1_sel:DWORD
	v_mul_u32_u24_sdwa v9, v9, s25 dst_sel:DWORD dst_unused:UNUSED_PAD src0_sel:WORD_1 src1_sel:DWORD
	v_mul_u32_u24_sdwa v24, v10, s25 dst_sel:DWORD dst_unused:UNUSED_PAD src0_sel:WORD_0 src1_sel:DWORD
	v_mul_u32_u24_sdwa v10, v10, s25 dst_sel:DWORD dst_unused:UNUSED_PAD src0_sel:WORD_1 src1_sel:DWORD
	v_mul_u32_u24_sdwa v25, v11, s25 dst_sel:DWORD dst_unused:UNUSED_PAD src0_sel:WORD_0 src1_sel:DWORD
	v_mul_u32_u24_sdwa v11, v11, s25 dst_sel:DWORD dst_unused:UNUSED_PAD src0_sel:WORD_1 src1_sel:DWORD
	v_pk_fma_f16 v20, v12, v22, v20
	v_pk_fma_f16 v18, v12, v8, v18
	v_pk_fma_f16 v14, v12, v23, v14
	v_pk_fma_f16 v15, v12, v9, v15
	v_pk_fma_f16 v17, v12, v24, v17
	v_pk_fma_f16 v19, v12, v10, v19
	v_pk_fma_f16 v16, v12, v25, v16
	v_pk_fma_f16 v12, v12, v11, v21
	ds_read_b128 v[8:11], v73 offset:560
	s_waitcnt lgkmcnt(0)
	v_mul_u32_u24_sdwa v21, v8, s25 dst_sel:DWORD dst_unused:UNUSED_PAD src0_sel:WORD_0 src1_sel:DWORD
	v_mul_u32_u24_sdwa v8, v8, s25 dst_sel:DWORD dst_unused:UNUSED_PAD src0_sel:WORD_1 src1_sel:DWORD
	v_mul_u32_u24_sdwa v22, v9, s25 dst_sel:DWORD dst_unused:UNUSED_PAD src0_sel:WORD_0 src1_sel:DWORD
	v_mul_u32_u24_sdwa v9, v9, s25 dst_sel:DWORD dst_unused:UNUSED_PAD src0_sel:WORD_1 src1_sel:DWORD
	v_mul_u32_u24_sdwa v23, v10, s25 dst_sel:DWORD dst_unused:UNUSED_PAD src0_sel:WORD_0 src1_sel:DWORD
	v_mul_u32_u24_sdwa v10, v10, s25 dst_sel:DWORD dst_unused:UNUSED_PAD src0_sel:WORD_1 src1_sel:DWORD
	v_mul_u32_u24_sdwa v24, v11, s25 dst_sel:DWORD dst_unused:UNUSED_PAD src0_sel:WORD_0 src1_sel:DWORD
	v_mul_u32_u24_sdwa v11, v11, s25 dst_sel:DWORD dst_unused:UNUSED_PAD src0_sel:WORD_1 src1_sel:DWORD
	v_pk_fma_f16 v20, v13, v21, v20
	v_pk_fma_f16 v18, v13, v8, v18
	v_pk_fma_f16 v14, v13, v22, v14
	v_pk_fma_f16 v15, v13, v9, v15
	v_pk_fma_f16 v17, v13, v23, v17
	v_pk_fma_f16 v19, v13, v10, v19
	v_pk_fma_f16 v16, v13, v24, v16
	v_pk_fma_f16 v21, v13, v11, v12
	ds_read2_b32 v[12:13], v81 offset0:128 offset1:160
	;; [unrolled: 37-line block ×3, first 2 shown]
	ds_read_b128 v[8:11], v73 offset:608
	s_waitcnt lgkmcnt(0)
	v_mul_u32_u24_sdwa v22, v8, s25 dst_sel:DWORD dst_unused:UNUSED_PAD src0_sel:WORD_0 src1_sel:DWORD
	v_mul_u32_u24_sdwa v8, v8, s25 dst_sel:DWORD dst_unused:UNUSED_PAD src0_sel:WORD_1 src1_sel:DWORD
	v_mul_u32_u24_sdwa v23, v9, s25 dst_sel:DWORD dst_unused:UNUSED_PAD src0_sel:WORD_0 src1_sel:DWORD
	v_mul_u32_u24_sdwa v9, v9, s25 dst_sel:DWORD dst_unused:UNUSED_PAD src0_sel:WORD_1 src1_sel:DWORD
	;; [unrolled: 2-line block ×4, first 2 shown]
	v_pk_fma_f16 v20, v12, v22, v20
	v_pk_fma_f16 v18, v12, v8, v18
	;; [unrolled: 1-line block ×8, first 2 shown]
	ds_read_b128 v[8:11], v73 offset:624
	s_waitcnt lgkmcnt(0)
	v_mul_u32_u24_sdwa v21, v8, s25 dst_sel:DWORD dst_unused:UNUSED_PAD src0_sel:WORD_0 src1_sel:DWORD
	v_mul_u32_u24_sdwa v8, v8, s25 dst_sel:DWORD dst_unused:UNUSED_PAD src0_sel:WORD_1 src1_sel:DWORD
	v_mul_u32_u24_sdwa v22, v9, s25 dst_sel:DWORD dst_unused:UNUSED_PAD src0_sel:WORD_0 src1_sel:DWORD
	v_mul_u32_u24_sdwa v9, v9, s25 dst_sel:DWORD dst_unused:UNUSED_PAD src0_sel:WORD_1 src1_sel:DWORD
	;; [unrolled: 2-line block ×4, first 2 shown]
	v_pk_fma_f16 v20, v13, v21, v20
	v_pk_fma_f16 v18, v13, v8, v18
	;; [unrolled: 1-line block ×8, first 2 shown]
	ds_read2_b32 v[12:13], v82 offset1:32
	ds_read_b128 v[8:11], v73 offset:640
	s_waitcnt lgkmcnt(0)
	v_mul_u32_u24_sdwa v22, v8, s25 dst_sel:DWORD dst_unused:UNUSED_PAD src0_sel:WORD_0 src1_sel:DWORD
	v_mul_u32_u24_sdwa v8, v8, s25 dst_sel:DWORD dst_unused:UNUSED_PAD src0_sel:WORD_1 src1_sel:DWORD
	v_mul_u32_u24_sdwa v23, v9, s25 dst_sel:DWORD dst_unused:UNUSED_PAD src0_sel:WORD_0 src1_sel:DWORD
	v_mul_u32_u24_sdwa v9, v9, s25 dst_sel:DWORD dst_unused:UNUSED_PAD src0_sel:WORD_1 src1_sel:DWORD
	v_mul_u32_u24_sdwa v24, v10, s25 dst_sel:DWORD dst_unused:UNUSED_PAD src0_sel:WORD_0 src1_sel:DWORD
	v_mul_u32_u24_sdwa v10, v10, s25 dst_sel:DWORD dst_unused:UNUSED_PAD src0_sel:WORD_1 src1_sel:DWORD
	v_mul_u32_u24_sdwa v25, v11, s25 dst_sel:DWORD dst_unused:UNUSED_PAD src0_sel:WORD_0 src1_sel:DWORD
	v_mul_u32_u24_sdwa v11, v11, s25 dst_sel:DWORD dst_unused:UNUSED_PAD src0_sel:WORD_1 src1_sel:DWORD
	v_pk_fma_f16 v20, v12, v22, v20
	v_pk_fma_f16 v18, v12, v8, v18
	v_pk_fma_f16 v14, v12, v23, v14
	v_pk_fma_f16 v15, v12, v9, v15
	v_pk_fma_f16 v17, v12, v24, v17
	v_pk_fma_f16 v19, v12, v10, v19
	v_pk_fma_f16 v16, v12, v25, v16
	v_pk_fma_f16 v12, v12, v11, v21
	ds_read_b128 v[8:11], v73 offset:656
	s_waitcnt lgkmcnt(0)
	v_mul_u32_u24_sdwa v21, v8, s25 dst_sel:DWORD dst_unused:UNUSED_PAD src0_sel:WORD_0 src1_sel:DWORD
	v_mul_u32_u24_sdwa v8, v8, s25 dst_sel:DWORD dst_unused:UNUSED_PAD src0_sel:WORD_1 src1_sel:DWORD
	v_mul_u32_u24_sdwa v22, v9, s25 dst_sel:DWORD dst_unused:UNUSED_PAD src0_sel:WORD_0 src1_sel:DWORD
	v_mul_u32_u24_sdwa v9, v9, s25 dst_sel:DWORD dst_unused:UNUSED_PAD src0_sel:WORD_1 src1_sel:DWORD
	v_mul_u32_u24_sdwa v23, v10, s25 dst_sel:DWORD dst_unused:UNUSED_PAD src0_sel:WORD_0 src1_sel:DWORD
	v_mul_u32_u24_sdwa v10, v10, s25 dst_sel:DWORD dst_unused:UNUSED_PAD src0_sel:WORD_1 src1_sel:DWORD
	v_mul_u32_u24_sdwa v24, v11, s25 dst_sel:DWORD dst_unused:UNUSED_PAD src0_sel:WORD_0 src1_sel:DWORD
	v_mul_u32_u24_sdwa v11, v11, s25 dst_sel:DWORD dst_unused:UNUSED_PAD src0_sel:WORD_1 src1_sel:DWORD
	v_pk_fma_f16 v20, v13, v21, v20
	v_pk_fma_f16 v18, v13, v8, v18
	v_pk_fma_f16 v14, v13, v22, v14
	v_pk_fma_f16 v15, v13, v9, v15
	v_pk_fma_f16 v17, v13, v23, v17
	v_pk_fma_f16 v19, v13, v10, v19
	v_pk_fma_f16 v16, v13, v24, v16
	v_pk_fma_f16 v21, v13, v11, v12
	ds_read2_b32 v[12:13], v82 offset0:64 offset1:96
	ds_read_b128 v[8:11], v73 offset:672
	s_waitcnt lgkmcnt(0)
	v_mul_u32_u24_sdwa v22, v8, s25 dst_sel:DWORD dst_unused:UNUSED_PAD src0_sel:WORD_0 src1_sel:DWORD
	v_mul_u32_u24_sdwa v8, v8, s25 dst_sel:DWORD dst_unused:UNUSED_PAD src0_sel:WORD_1 src1_sel:DWORD
	v_mul_u32_u24_sdwa v23, v9, s25 dst_sel:DWORD dst_unused:UNUSED_PAD src0_sel:WORD_0 src1_sel:DWORD
	v_mul_u32_u24_sdwa v9, v9, s25 dst_sel:DWORD dst_unused:UNUSED_PAD src0_sel:WORD_1 src1_sel:DWORD
	v_mul_u32_u24_sdwa v24, v10, s25 dst_sel:DWORD dst_unused:UNUSED_PAD src0_sel:WORD_0 src1_sel:DWORD
	v_mul_u32_u24_sdwa v10, v10, s25 dst_sel:DWORD dst_unused:UNUSED_PAD src0_sel:WORD_1 src1_sel:DWORD
	v_mul_u32_u24_sdwa v25, v11, s25 dst_sel:DWORD dst_unused:UNUSED_PAD src0_sel:WORD_0 src1_sel:DWORD
	v_mul_u32_u24_sdwa v11, v11, s25 dst_sel:DWORD dst_unused:UNUSED_PAD src0_sel:WORD_1 src1_sel:DWORD
	v_pk_fma_f16 v20, v12, v22, v20
	v_pk_fma_f16 v18, v12, v8, v18
	v_pk_fma_f16 v14, v12, v23, v14
	v_pk_fma_f16 v15, v12, v9, v15
	v_pk_fma_f16 v17, v12, v24, v17
	v_pk_fma_f16 v19, v12, v10, v19
	v_pk_fma_f16 v16, v12, v25, v16
	v_pk_fma_f16 v12, v12, v11, v21
	ds_read_b128 v[8:11], v73 offset:688
	s_waitcnt lgkmcnt(0)
	v_mul_u32_u24_sdwa v21, v8, s25 dst_sel:DWORD dst_unused:UNUSED_PAD src0_sel:WORD_0 src1_sel:DWORD
	v_mul_u32_u24_sdwa v8, v8, s25 dst_sel:DWORD dst_unused:UNUSED_PAD src0_sel:WORD_1 src1_sel:DWORD
	v_mul_u32_u24_sdwa v22, v9, s25 dst_sel:DWORD dst_unused:UNUSED_PAD src0_sel:WORD_0 src1_sel:DWORD
	v_mul_u32_u24_sdwa v9, v9, s25 dst_sel:DWORD dst_unused:UNUSED_PAD src0_sel:WORD_1 src1_sel:DWORD
	v_mul_u32_u24_sdwa v23, v10, s25 dst_sel:DWORD dst_unused:UNUSED_PAD src0_sel:WORD_0 src1_sel:DWORD
	v_mul_u32_u24_sdwa v10, v10, s25 dst_sel:DWORD dst_unused:UNUSED_PAD src0_sel:WORD_1 src1_sel:DWORD
	v_mul_u32_u24_sdwa v24, v11, s25 dst_sel:DWORD dst_unused:UNUSED_PAD src0_sel:WORD_0 src1_sel:DWORD
	v_mul_u32_u24_sdwa v11, v11, s25 dst_sel:DWORD dst_unused:UNUSED_PAD src0_sel:WORD_1 src1_sel:DWORD
	v_pk_fma_f16 v20, v13, v21, v20
	v_pk_fma_f16 v18, v13, v8, v18
	v_pk_fma_f16 v14, v13, v22, v14
	v_pk_fma_f16 v15, v13, v9, v15
	v_pk_fma_f16 v17, v13, v23, v17
	v_pk_fma_f16 v19, v13, v10, v19
	v_pk_fma_f16 v16, v13, v24, v16
	v_pk_fma_f16 v21, v13, v11, v12
	ds_read2_b32 v[12:13], v82 offset0:128 offset1:160
	;; [unrolled: 37-line block ×3, first 2 shown]
	ds_read_b128 v[8:11], v73 offset:736
	s_waitcnt lgkmcnt(0)
	v_mul_u32_u24_sdwa v22, v8, s25 dst_sel:DWORD dst_unused:UNUSED_PAD src0_sel:WORD_0 src1_sel:DWORD
	v_mul_u32_u24_sdwa v8, v8, s25 dst_sel:DWORD dst_unused:UNUSED_PAD src0_sel:WORD_1 src1_sel:DWORD
	v_mul_u32_u24_sdwa v23, v9, s25 dst_sel:DWORD dst_unused:UNUSED_PAD src0_sel:WORD_0 src1_sel:DWORD
	v_mul_u32_u24_sdwa v9, v9, s25 dst_sel:DWORD dst_unused:UNUSED_PAD src0_sel:WORD_1 src1_sel:DWORD
	;; [unrolled: 2-line block ×4, first 2 shown]
	v_pk_fma_f16 v20, v12, v22, v20
	v_pk_fma_f16 v18, v12, v8, v18
	;; [unrolled: 1-line block ×8, first 2 shown]
	ds_read_b128 v[8:11], v73 offset:752
	s_waitcnt lgkmcnt(0)
	v_mul_u32_u24_sdwa v21, v8, s25 dst_sel:DWORD dst_unused:UNUSED_PAD src0_sel:WORD_0 src1_sel:DWORD
	v_mul_u32_u24_sdwa v8, v8, s25 dst_sel:DWORD dst_unused:UNUSED_PAD src0_sel:WORD_1 src1_sel:DWORD
	v_mul_u32_u24_sdwa v22, v9, s25 dst_sel:DWORD dst_unused:UNUSED_PAD src0_sel:WORD_0 src1_sel:DWORD
	v_mul_u32_u24_sdwa v9, v9, s25 dst_sel:DWORD dst_unused:UNUSED_PAD src0_sel:WORD_1 src1_sel:DWORD
	;; [unrolled: 2-line block ×4, first 2 shown]
	v_pk_fma_f16 v20, v13, v21, v20
	v_pk_fma_f16 v18, v13, v8, v18
	;; [unrolled: 1-line block ×8, first 2 shown]
	ds_read2_b32 v[12:13], v83 offset1:32
	ds_read_b128 v[8:11], v73 offset:768
	s_waitcnt lgkmcnt(0)
	v_mul_u32_u24_sdwa v22, v8, s25 dst_sel:DWORD dst_unused:UNUSED_PAD src0_sel:WORD_0 src1_sel:DWORD
	v_mul_u32_u24_sdwa v8, v8, s25 dst_sel:DWORD dst_unused:UNUSED_PAD src0_sel:WORD_1 src1_sel:DWORD
	v_mul_u32_u24_sdwa v23, v9, s25 dst_sel:DWORD dst_unused:UNUSED_PAD src0_sel:WORD_0 src1_sel:DWORD
	v_mul_u32_u24_sdwa v9, v9, s25 dst_sel:DWORD dst_unused:UNUSED_PAD src0_sel:WORD_1 src1_sel:DWORD
	v_mul_u32_u24_sdwa v24, v10, s25 dst_sel:DWORD dst_unused:UNUSED_PAD src0_sel:WORD_0 src1_sel:DWORD
	v_mul_u32_u24_sdwa v10, v10, s25 dst_sel:DWORD dst_unused:UNUSED_PAD src0_sel:WORD_1 src1_sel:DWORD
	v_mul_u32_u24_sdwa v25, v11, s25 dst_sel:DWORD dst_unused:UNUSED_PAD src0_sel:WORD_0 src1_sel:DWORD
	v_mul_u32_u24_sdwa v11, v11, s25 dst_sel:DWORD dst_unused:UNUSED_PAD src0_sel:WORD_1 src1_sel:DWORD
	v_pk_fma_f16 v20, v12, v22, v20
	v_pk_fma_f16 v18, v12, v8, v18
	v_pk_fma_f16 v14, v12, v23, v14
	v_pk_fma_f16 v15, v12, v9, v15
	v_pk_fma_f16 v17, v12, v24, v17
	v_pk_fma_f16 v19, v12, v10, v19
	v_pk_fma_f16 v16, v12, v25, v16
	v_pk_fma_f16 v12, v12, v11, v21
	ds_read_b128 v[8:11], v73 offset:784
	s_waitcnt lgkmcnt(0)
	v_mul_u32_u24_sdwa v21, v8, s25 dst_sel:DWORD dst_unused:UNUSED_PAD src0_sel:WORD_0 src1_sel:DWORD
	v_mul_u32_u24_sdwa v8, v8, s25 dst_sel:DWORD dst_unused:UNUSED_PAD src0_sel:WORD_1 src1_sel:DWORD
	v_mul_u32_u24_sdwa v22, v9, s25 dst_sel:DWORD dst_unused:UNUSED_PAD src0_sel:WORD_0 src1_sel:DWORD
	v_mul_u32_u24_sdwa v9, v9, s25 dst_sel:DWORD dst_unused:UNUSED_PAD src0_sel:WORD_1 src1_sel:DWORD
	v_mul_u32_u24_sdwa v23, v10, s25 dst_sel:DWORD dst_unused:UNUSED_PAD src0_sel:WORD_0 src1_sel:DWORD
	v_mul_u32_u24_sdwa v10, v10, s25 dst_sel:DWORD dst_unused:UNUSED_PAD src0_sel:WORD_1 src1_sel:DWORD
	v_mul_u32_u24_sdwa v24, v11, s25 dst_sel:DWORD dst_unused:UNUSED_PAD src0_sel:WORD_0 src1_sel:DWORD
	v_mul_u32_u24_sdwa v11, v11, s25 dst_sel:DWORD dst_unused:UNUSED_PAD src0_sel:WORD_1 src1_sel:DWORD
	v_pk_fma_f16 v20, v13, v21, v20
	v_pk_fma_f16 v18, v13, v8, v18
	v_pk_fma_f16 v14, v13, v22, v14
	v_pk_fma_f16 v15, v13, v9, v15
	v_pk_fma_f16 v17, v13, v23, v17
	v_pk_fma_f16 v19, v13, v10, v19
	v_pk_fma_f16 v16, v13, v24, v16
	v_pk_fma_f16 v21, v13, v11, v12
	ds_read2_b32 v[12:13], v83 offset0:64 offset1:96
	ds_read_b128 v[8:11], v73 offset:800
	s_waitcnt lgkmcnt(0)
	v_mul_u32_u24_sdwa v22, v8, s25 dst_sel:DWORD dst_unused:UNUSED_PAD src0_sel:WORD_0 src1_sel:DWORD
	v_mul_u32_u24_sdwa v8, v8, s25 dst_sel:DWORD dst_unused:UNUSED_PAD src0_sel:WORD_1 src1_sel:DWORD
	v_mul_u32_u24_sdwa v23, v9, s25 dst_sel:DWORD dst_unused:UNUSED_PAD src0_sel:WORD_0 src1_sel:DWORD
	v_mul_u32_u24_sdwa v9, v9, s25 dst_sel:DWORD dst_unused:UNUSED_PAD src0_sel:WORD_1 src1_sel:DWORD
	v_mul_u32_u24_sdwa v24, v10, s25 dst_sel:DWORD dst_unused:UNUSED_PAD src0_sel:WORD_0 src1_sel:DWORD
	v_mul_u32_u24_sdwa v10, v10, s25 dst_sel:DWORD dst_unused:UNUSED_PAD src0_sel:WORD_1 src1_sel:DWORD
	v_mul_u32_u24_sdwa v25, v11, s25 dst_sel:DWORD dst_unused:UNUSED_PAD src0_sel:WORD_0 src1_sel:DWORD
	v_mul_u32_u24_sdwa v11, v11, s25 dst_sel:DWORD dst_unused:UNUSED_PAD src0_sel:WORD_1 src1_sel:DWORD
	v_pk_fma_f16 v20, v12, v22, v20
	v_pk_fma_f16 v18, v12, v8, v18
	v_pk_fma_f16 v14, v12, v23, v14
	v_pk_fma_f16 v15, v12, v9, v15
	v_pk_fma_f16 v17, v12, v24, v17
	v_pk_fma_f16 v19, v12, v10, v19
	v_pk_fma_f16 v16, v12, v25, v16
	v_pk_fma_f16 v12, v12, v11, v21
	ds_read_b128 v[8:11], v73 offset:816
	s_waitcnt lgkmcnt(0)
	v_mul_u32_u24_sdwa v21, v8, s25 dst_sel:DWORD dst_unused:UNUSED_PAD src0_sel:WORD_0 src1_sel:DWORD
	v_mul_u32_u24_sdwa v8, v8, s25 dst_sel:DWORD dst_unused:UNUSED_PAD src0_sel:WORD_1 src1_sel:DWORD
	v_mul_u32_u24_sdwa v22, v9, s25 dst_sel:DWORD dst_unused:UNUSED_PAD src0_sel:WORD_0 src1_sel:DWORD
	v_mul_u32_u24_sdwa v9, v9, s25 dst_sel:DWORD dst_unused:UNUSED_PAD src0_sel:WORD_1 src1_sel:DWORD
	v_mul_u32_u24_sdwa v23, v10, s25 dst_sel:DWORD dst_unused:UNUSED_PAD src0_sel:WORD_0 src1_sel:DWORD
	v_mul_u32_u24_sdwa v10, v10, s25 dst_sel:DWORD dst_unused:UNUSED_PAD src0_sel:WORD_1 src1_sel:DWORD
	v_mul_u32_u24_sdwa v24, v11, s25 dst_sel:DWORD dst_unused:UNUSED_PAD src0_sel:WORD_0 src1_sel:DWORD
	v_mul_u32_u24_sdwa v11, v11, s25 dst_sel:DWORD dst_unused:UNUSED_PAD src0_sel:WORD_1 src1_sel:DWORD
	v_pk_fma_f16 v20, v13, v21, v20
	v_pk_fma_f16 v18, v13, v8, v18
	v_pk_fma_f16 v14, v13, v22, v14
	v_pk_fma_f16 v15, v13, v9, v15
	v_pk_fma_f16 v17, v13, v23, v17
	v_pk_fma_f16 v19, v13, v10, v19
	v_pk_fma_f16 v16, v13, v24, v16
	v_pk_fma_f16 v21, v13, v11, v12
	ds_read2_b32 v[12:13], v83 offset0:128 offset1:160
	;; [unrolled: 37-line block ×3, first 2 shown]
	ds_read_b128 v[8:11], v73 offset:864
	s_waitcnt lgkmcnt(0)
	v_mul_u32_u24_sdwa v22, v8, s25 dst_sel:DWORD dst_unused:UNUSED_PAD src0_sel:WORD_0 src1_sel:DWORD
	v_mul_u32_u24_sdwa v8, v8, s25 dst_sel:DWORD dst_unused:UNUSED_PAD src0_sel:WORD_1 src1_sel:DWORD
	v_mul_u32_u24_sdwa v23, v9, s25 dst_sel:DWORD dst_unused:UNUSED_PAD src0_sel:WORD_0 src1_sel:DWORD
	v_mul_u32_u24_sdwa v9, v9, s25 dst_sel:DWORD dst_unused:UNUSED_PAD src0_sel:WORD_1 src1_sel:DWORD
	;; [unrolled: 2-line block ×4, first 2 shown]
	v_pk_fma_f16 v20, v12, v22, v20
	v_pk_fma_f16 v18, v12, v8, v18
	;; [unrolled: 1-line block ×8, first 2 shown]
	ds_read_b128 v[8:11], v73 offset:880
	s_waitcnt lgkmcnt(0)
	v_mul_u32_u24_sdwa v21, v8, s25 dst_sel:DWORD dst_unused:UNUSED_PAD src0_sel:WORD_0 src1_sel:DWORD
	v_mul_u32_u24_sdwa v8, v8, s25 dst_sel:DWORD dst_unused:UNUSED_PAD src0_sel:WORD_1 src1_sel:DWORD
	v_mul_u32_u24_sdwa v22, v9, s25 dst_sel:DWORD dst_unused:UNUSED_PAD src0_sel:WORD_0 src1_sel:DWORD
	v_mul_u32_u24_sdwa v9, v9, s25 dst_sel:DWORD dst_unused:UNUSED_PAD src0_sel:WORD_1 src1_sel:DWORD
	;; [unrolled: 2-line block ×4, first 2 shown]
	v_pk_fma_f16 v20, v13, v21, v20
	v_pk_fma_f16 v18, v13, v8, v18
	;; [unrolled: 1-line block ×8, first 2 shown]
	ds_read2_b32 v[12:13], v84 offset1:32
	ds_read_b128 v[8:11], v73 offset:896
	s_waitcnt lgkmcnt(0)
	v_mul_u32_u24_sdwa v22, v8, s25 dst_sel:DWORD dst_unused:UNUSED_PAD src0_sel:WORD_0 src1_sel:DWORD
	v_mul_u32_u24_sdwa v8, v8, s25 dst_sel:DWORD dst_unused:UNUSED_PAD src0_sel:WORD_1 src1_sel:DWORD
	v_mul_u32_u24_sdwa v23, v9, s25 dst_sel:DWORD dst_unused:UNUSED_PAD src0_sel:WORD_0 src1_sel:DWORD
	v_mul_u32_u24_sdwa v9, v9, s25 dst_sel:DWORD dst_unused:UNUSED_PAD src0_sel:WORD_1 src1_sel:DWORD
	v_mul_u32_u24_sdwa v24, v10, s25 dst_sel:DWORD dst_unused:UNUSED_PAD src0_sel:WORD_0 src1_sel:DWORD
	v_mul_u32_u24_sdwa v10, v10, s25 dst_sel:DWORD dst_unused:UNUSED_PAD src0_sel:WORD_1 src1_sel:DWORD
	v_mul_u32_u24_sdwa v25, v11, s25 dst_sel:DWORD dst_unused:UNUSED_PAD src0_sel:WORD_0 src1_sel:DWORD
	v_mul_u32_u24_sdwa v11, v11, s25 dst_sel:DWORD dst_unused:UNUSED_PAD src0_sel:WORD_1 src1_sel:DWORD
	v_pk_fma_f16 v20, v12, v22, v20
	v_pk_fma_f16 v18, v12, v8, v18
	v_pk_fma_f16 v14, v12, v23, v14
	v_pk_fma_f16 v15, v12, v9, v15
	v_pk_fma_f16 v17, v12, v24, v17
	v_pk_fma_f16 v19, v12, v10, v19
	v_pk_fma_f16 v16, v12, v25, v16
	v_pk_fma_f16 v12, v12, v11, v21
	ds_read_b128 v[8:11], v73 offset:912
	s_waitcnt lgkmcnt(0)
	v_mul_u32_u24_sdwa v21, v8, s25 dst_sel:DWORD dst_unused:UNUSED_PAD src0_sel:WORD_0 src1_sel:DWORD
	v_mul_u32_u24_sdwa v8, v8, s25 dst_sel:DWORD dst_unused:UNUSED_PAD src0_sel:WORD_1 src1_sel:DWORD
	v_mul_u32_u24_sdwa v22, v9, s25 dst_sel:DWORD dst_unused:UNUSED_PAD src0_sel:WORD_0 src1_sel:DWORD
	v_mul_u32_u24_sdwa v9, v9, s25 dst_sel:DWORD dst_unused:UNUSED_PAD src0_sel:WORD_1 src1_sel:DWORD
	v_mul_u32_u24_sdwa v23, v10, s25 dst_sel:DWORD dst_unused:UNUSED_PAD src0_sel:WORD_0 src1_sel:DWORD
	v_mul_u32_u24_sdwa v10, v10, s25 dst_sel:DWORD dst_unused:UNUSED_PAD src0_sel:WORD_1 src1_sel:DWORD
	v_mul_u32_u24_sdwa v24, v11, s25 dst_sel:DWORD dst_unused:UNUSED_PAD src0_sel:WORD_0 src1_sel:DWORD
	v_mul_u32_u24_sdwa v11, v11, s25 dst_sel:DWORD dst_unused:UNUSED_PAD src0_sel:WORD_1 src1_sel:DWORD
	v_pk_fma_f16 v20, v13, v21, v20
	v_pk_fma_f16 v18, v13, v8, v18
	v_pk_fma_f16 v14, v13, v22, v14
	v_pk_fma_f16 v15, v13, v9, v15
	v_pk_fma_f16 v17, v13, v23, v17
	v_pk_fma_f16 v19, v13, v10, v19
	v_pk_fma_f16 v16, v13, v24, v16
	v_pk_fma_f16 v21, v13, v11, v12
	ds_read2_b32 v[12:13], v84 offset0:64 offset1:96
	ds_read_b128 v[8:11], v73 offset:928
	s_waitcnt lgkmcnt(0)
	v_mul_u32_u24_sdwa v22, v8, s25 dst_sel:DWORD dst_unused:UNUSED_PAD src0_sel:WORD_0 src1_sel:DWORD
	v_mul_u32_u24_sdwa v8, v8, s25 dst_sel:DWORD dst_unused:UNUSED_PAD src0_sel:WORD_1 src1_sel:DWORD
	v_mul_u32_u24_sdwa v23, v9, s25 dst_sel:DWORD dst_unused:UNUSED_PAD src0_sel:WORD_0 src1_sel:DWORD
	v_mul_u32_u24_sdwa v9, v9, s25 dst_sel:DWORD dst_unused:UNUSED_PAD src0_sel:WORD_1 src1_sel:DWORD
	v_mul_u32_u24_sdwa v24, v10, s25 dst_sel:DWORD dst_unused:UNUSED_PAD src0_sel:WORD_0 src1_sel:DWORD
	v_mul_u32_u24_sdwa v10, v10, s25 dst_sel:DWORD dst_unused:UNUSED_PAD src0_sel:WORD_1 src1_sel:DWORD
	v_mul_u32_u24_sdwa v25, v11, s25 dst_sel:DWORD dst_unused:UNUSED_PAD src0_sel:WORD_0 src1_sel:DWORD
	v_mul_u32_u24_sdwa v11, v11, s25 dst_sel:DWORD dst_unused:UNUSED_PAD src0_sel:WORD_1 src1_sel:DWORD
	v_pk_fma_f16 v20, v12, v22, v20
	v_pk_fma_f16 v18, v12, v8, v18
	v_pk_fma_f16 v14, v12, v23, v14
	v_pk_fma_f16 v15, v12, v9, v15
	v_pk_fma_f16 v17, v12, v24, v17
	v_pk_fma_f16 v19, v12, v10, v19
	v_pk_fma_f16 v16, v12, v25, v16
	v_pk_fma_f16 v12, v12, v11, v21
	ds_read_b128 v[8:11], v73 offset:944
	s_waitcnt lgkmcnt(0)
	v_mul_u32_u24_sdwa v21, v8, s25 dst_sel:DWORD dst_unused:UNUSED_PAD src0_sel:WORD_0 src1_sel:DWORD
	v_mul_u32_u24_sdwa v8, v8, s25 dst_sel:DWORD dst_unused:UNUSED_PAD src0_sel:WORD_1 src1_sel:DWORD
	v_mul_u32_u24_sdwa v22, v9, s25 dst_sel:DWORD dst_unused:UNUSED_PAD src0_sel:WORD_0 src1_sel:DWORD
	v_mul_u32_u24_sdwa v9, v9, s25 dst_sel:DWORD dst_unused:UNUSED_PAD src0_sel:WORD_1 src1_sel:DWORD
	v_mul_u32_u24_sdwa v23, v10, s25 dst_sel:DWORD dst_unused:UNUSED_PAD src0_sel:WORD_0 src1_sel:DWORD
	v_mul_u32_u24_sdwa v10, v10, s25 dst_sel:DWORD dst_unused:UNUSED_PAD src0_sel:WORD_1 src1_sel:DWORD
	v_mul_u32_u24_sdwa v24, v11, s25 dst_sel:DWORD dst_unused:UNUSED_PAD src0_sel:WORD_0 src1_sel:DWORD
	v_mul_u32_u24_sdwa v11, v11, s25 dst_sel:DWORD dst_unused:UNUSED_PAD src0_sel:WORD_1 src1_sel:DWORD
	v_pk_fma_f16 v20, v13, v21, v20
	v_pk_fma_f16 v18, v13, v8, v18
	v_pk_fma_f16 v14, v13, v22, v14
	v_pk_fma_f16 v15, v13, v9, v15
	v_pk_fma_f16 v17, v13, v23, v17
	v_pk_fma_f16 v19, v13, v10, v19
	v_pk_fma_f16 v16, v13, v24, v16
	v_pk_fma_f16 v21, v13, v11, v12
	ds_read2_b32 v[12:13], v84 offset0:128 offset1:160
	ds_read_b128 v[8:11], v73 offset:960
	s_waitcnt lgkmcnt(0)
	v_mul_u32_u24_sdwa v22, v8, s25 dst_sel:DWORD dst_unused:UNUSED_PAD src0_sel:WORD_0 src1_sel:DWORD
	v_mul_u32_u24_sdwa v8, v8, s25 dst_sel:DWORD dst_unused:UNUSED_PAD src0_sel:WORD_1 src1_sel:DWORD
	v_mul_u32_u24_sdwa v23, v9, s25 dst_sel:DWORD dst_unused:UNUSED_PAD src0_sel:WORD_0 src1_sel:DWORD
	v_mul_u32_u24_sdwa v9, v9, s25 dst_sel:DWORD dst_unused:UNUSED_PAD src0_sel:WORD_1 src1_sel:DWORD
	v_mul_u32_u24_sdwa v24, v10, s25 dst_sel:DWORD dst_unused:UNUSED_PAD src0_sel:WORD_0 src1_sel:DWORD
	v_mul_u32_u24_sdwa v10, v10, s25 dst_sel:DWORD dst_unused:UNUSED_PAD src0_sel:WORD_1 src1_sel:DWORD
	v_mul_u32_u24_sdwa v25, v11, s25 dst_sel:DWORD dst_unused:UNUSED_PAD src0_sel:WORD_0 src1_sel:DWORD
	v_mul_u32_u24_sdwa v11, v11, s25 dst_sel:DWORD dst_unused:UNUSED_PAD src0_sel:WORD_1 src1_sel:DWORD
	v_pk_fma_f16 v20, v12, v22, v20
	v_pk_fma_f16 v18, v12, v8, v18
	v_pk_fma_f16 v14, v12, v23, v14
	v_pk_fma_f16 v15, v12, v9, v15
	v_pk_fma_f16 v17, v12, v24, v17
	v_pk_fma_f16 v19, v12, v10, v19
	v_pk_fma_f16 v16, v12, v25, v16
	v_pk_fma_f16 v12, v12, v11, v21
	ds_read_b128 v[8:11], v73 offset:976
	s_waitcnt lgkmcnt(0)
	v_mul_u32_u24_sdwa v21, v8, s25 dst_sel:DWORD dst_unused:UNUSED_PAD src0_sel:WORD_0 src1_sel:DWORD
	v_mul_u32_u24_sdwa v8, v8, s25 dst_sel:DWORD dst_unused:UNUSED_PAD src0_sel:WORD_1 src1_sel:DWORD
	v_mul_u32_u24_sdwa v22, v9, s25 dst_sel:DWORD dst_unused:UNUSED_PAD src0_sel:WORD_0 src1_sel:DWORD
	v_mul_u32_u24_sdwa v9, v9, s25 dst_sel:DWORD dst_unused:UNUSED_PAD src0_sel:WORD_1 src1_sel:DWORD
	v_mul_u32_u24_sdwa v23, v10, s25 dst_sel:DWORD dst_unused:UNUSED_PAD src0_sel:WORD_0 src1_sel:DWORD
	v_mul_u32_u24_sdwa v10, v10, s25 dst_sel:DWORD dst_unused:UNUSED_PAD src0_sel:WORD_1 src1_sel:DWORD
	v_mul_u32_u24_sdwa v24, v11, s25 dst_sel:DWORD dst_unused:UNUSED_PAD src0_sel:WORD_0 src1_sel:DWORD
	v_mul_u32_u24_sdwa v11, v11, s25 dst_sel:DWORD dst_unused:UNUSED_PAD src0_sel:WORD_1 src1_sel:DWORD
	v_pk_fma_f16 v20, v13, v21, v20
	v_pk_fma_f16 v18, v13, v8, v18
	v_pk_fma_f16 v21, v13, v22, v14
	v_pk_fma_f16 v22, v13, v9, v15
	v_pk_fma_f16 v23, v13, v23, v17
	v_pk_fma_f16 v19, v13, v10, v19
	v_pk_fma_f16 v24, v13, v24, v16
	v_pk_fma_f16 v25, v13, v11, v12
	ds_read2_b32 v[12:13], v84 offset0:192 offset1:224
	ds_read_b128 v[8:11], v73 offset:992
	s_waitcnt lgkmcnt(0)
	v_mul_u32_u24_sdwa v14, v8, s25 dst_sel:DWORD dst_unused:UNUSED_PAD src0_sel:WORD_0 src1_sel:DWORD
	v_mul_u32_u24_sdwa v8, v8, s25 dst_sel:DWORD dst_unused:UNUSED_PAD src0_sel:WORD_1 src1_sel:DWORD
	v_mul_u32_u24_sdwa v16, v9, s25 dst_sel:DWORD dst_unused:UNUSED_PAD src0_sel:WORD_0 src1_sel:DWORD
	v_mul_u32_u24_sdwa v9, v9, s25 dst_sel:DWORD dst_unused:UNUSED_PAD src0_sel:WORD_1 src1_sel:DWORD
	;; [unrolled: 2-line block ×4, first 2 shown]
	v_pk_fma_f16 v14, v12, v14, v20
	v_pk_fma_f16 v15, v12, v8, v18
	;; [unrolled: 1-line block ×8, first 2 shown]
	ds_read_b128 v[8:11], v73 offset:1008
	s_waitcnt lgkmcnt(0)
	s_barrier
	s_load_dword s6, s[4:5], 0x4
	v_mul_u32_u24_sdwa v21, v8, s25 dst_sel:DWORD dst_unused:UNUSED_PAD src0_sel:WORD_0 src1_sel:DWORD
	v_mul_u32_u24_sdwa v8, v8, s25 dst_sel:DWORD dst_unused:UNUSED_PAD src0_sel:WORD_1 src1_sel:DWORD
	v_mul_u32_u24_sdwa v22, v9, s25 dst_sel:DWORD dst_unused:UNUSED_PAD src0_sel:WORD_0 src1_sel:DWORD
	v_mul_u32_u24_sdwa v9, v9, s25 dst_sel:DWORD dst_unused:UNUSED_PAD src0_sel:WORD_1 src1_sel:DWORD
	s_waitcnt lgkmcnt(0)
	s_lshl_b32 s6, s6, 6
	v_mul_u32_u24_sdwa v23, v10, s25 dst_sel:DWORD dst_unused:UNUSED_PAD src0_sel:WORD_0 src1_sel:DWORD
	v_mul_u32_u24_sdwa v10, v10, s25 dst_sel:DWORD dst_unused:UNUSED_PAD src0_sel:WORD_1 src1_sel:DWORD
	v_mul_u32_u24_sdwa v24, v11, s25 dst_sel:DWORD dst_unused:UNUSED_PAD src0_sel:WORD_0 src1_sel:DWORD
	v_mul_u32_u24_sdwa v11, v11, s25 dst_sel:DWORD dst_unused:UNUSED_PAD src0_sel:WORD_1 src1_sel:DWORD
	s_add_i32 s2, s6, s2
	v_pk_fma_f16 v92, v13, v21, v14
	v_pk_fma_f16 v91, v13, v8, v15
	;; [unrolled: 1-line block ×8, first 2 shown]
	s_cmp_ge_i32 s2, s30
	s_cbranch_scc0 .LBB0_9
.LBB0_10:
	v_cmp_lt_i32_e32 vcc, v67, v63
	s_cmp_lg_u64 s[12:13], 0
	s_cselect_b64 s[4:5], -1, 0
	v_cndmask_b32_e32 v8, v57, v67, vcc
	v_lshlrev_b32_e32 v17, 2, v8
	ds_bpermute_b32 v12, v17, v46
	ds_bpermute_b32 v13, v17, v47
	v_cmp_lt_i32_e32 vcc, v68, v63
	ds_bpermute_b32 v8, v17, v48
	ds_bpermute_b32 v9, v17, v49
	v_cndmask_b32_e32 v10, v57, v68, vcc
	v_cmp_lt_i32_e32 vcc, v66, v63
	v_lshlrev_b32_e32 v23, 2, v10
	s_waitcnt lgkmcnt(2)
	v_pk_add_f32 v[12:13], v[46:47], v[12:13]
	v_cndmask_b32_e32 v10, v57, v66, vcc
	v_cmp_lt_i32_e32 vcc, v65, v63
	ds_bpermute_b32 v15, v23, v13
	v_lshlrev_b32_e32 v24, 2, v10
	v_cndmask_b32_e32 v14, v57, v65, vcc
	v_lshlrev_b32_e32 v25, 2, v14
	ds_bpermute_b32 v14, v23, v12
	ds_bpermute_b32 v18, v17, v42
	ds_bpermute_b32 v19, v17, v43
	s_waitcnt lgkmcnt(4)
	v_pk_add_f32 v[8:9], v[48:49], v[8:9]
	v_cmp_lt_i32_e32 vcc, v64, v63
	s_waitcnt lgkmcnt(2)
	v_pk_add_f32 v[12:13], v[12:13], v[14:15]
	ds_bpermute_b32 v14, v24, v12
	ds_bpermute_b32 v15, v24, v13
	s_waitcnt lgkmcnt(2)
	v_pk_add_f32 v[18:19], v[42:43], v[18:19]
	ds_bpermute_b32 v10, v23, v8
	ds_bpermute_b32 v11, v23, v9
	v_cndmask_b32_e32 v16, v57, v64, vcc
	s_waitcnt lgkmcnt(2)
	v_pk_add_f32 v[12:13], v[12:13], v[14:15]
	ds_bpermute_b32 v14, v17, v44
	ds_bpermute_b32 v15, v17, v45
	;; [unrolled: 1-line block ×3, first 2 shown]
	v_lshlrev_b32_e32 v27, 2, v16
	ds_bpermute_b32 v16, v25, v12
	ds_bpermute_b32 v17, v25, v13
	s_waitcnt lgkmcnt(3)
	v_pk_add_f32 v[14:15], v[44:45], v[14:15]
	ds_bpermute_b32 v20, v23, v14
	ds_bpermute_b32 v21, v23, v15
	;; [unrolled: 1-line block ×3, first 2 shown]
	v_pk_add_f32 v[8:9], v[8:9], v[10:11]
	ds_bpermute_b32 v10, v24, v8
	ds_bpermute_b32 v11, v24, v9
	s_waitcnt lgkmcnt(3)
	v_pk_add_f32 v[14:15], v[14:15], v[20:21]
	s_waitcnt lgkmcnt(2)
	v_pk_add_f32 v[18:19], v[18:19], v[22:23]
	v_pk_add_f32 v[12:13], v[12:13], v[16:17]
	ds_bpermute_b32 v16, v24, v14
	ds_bpermute_b32 v17, v24, v15
	;; [unrolled: 1-line block ×4, first 2 shown]
	s_waitcnt lgkmcnt(4)
	v_pk_add_f32 v[8:9], v[8:9], v[10:11]
	ds_bpermute_b32 v10, v25, v8
	s_waitcnt lgkmcnt(3)
	v_pk_add_f32 v[14:15], v[14:15], v[16:17]
	ds_bpermute_b32 v11, v25, v9
	;; [unrolled: 3-line block ×3, first 2 shown]
	ds_bpermute_b32 v17, v25, v15
	ds_bpermute_b32 v20, v25, v18
	;; [unrolled: 1-line block ×3, first 2 shown]
	s_waitcnt lgkmcnt(4)
	v_pk_add_f32 v[8:9], v[8:9], v[10:11]
	ds_bpermute_b32 v10, v27, v8
	s_waitcnt lgkmcnt(3)
	v_pk_add_f32 v[14:15], v[14:15], v[16:17]
	ds_bpermute_b32 v11, v27, v9
	;; [unrolled: 3-line block ×3, first 2 shown]
	ds_bpermute_b32 v23, v27, v13
	ds_bpermute_b32 v16, v27, v14
	;; [unrolled: 1-line block ×5, first 2 shown]
	s_cmp_eq_u32 s3, 0
	s_cselect_b64 s[6:7], -1, 0
	s_and_b64 s[4:5], s[6:7], s[4:5]
	v_lshlrev_b32_e32 v28, 1, v40
	s_waitcnt lgkmcnt(6)
	v_pk_add_f32 v[24:25], v[8:9], v[10:11]
	s_waitcnt lgkmcnt(4)
	v_pk_add_f32 v[22:23], v[12:13], v[22:23]
	;; [unrolled: 2-line block ×4, first 2 shown]
	s_and_b64 vcc, exec, s[4:5]
	s_cbranch_vccz .LBB0_12
; %bb.11:
	s_ashr_i32 s29, s28, 31
	s_lshl_b64 s[4:5], s[28:29], 2
	s_add_u32 s4, s12, s4
	s_addc_u32 s5, s13, s5
	v_mov_b32_e32 v8, 0
	global_load_dwordx4 v[30:33], v8, s[4:5]
	global_load_dwordx4 v[14:17], v8, s[4:5] offset:16
	v_max_f32_e32 v8, v0, v0
	v_max_f32_e32 v9, v1, v1
	s_mov_b32 s5, 0x3fb8aa3b
	v_max_f32_e32 v10, v2, v2
	s_mov_b32 s2, 0xc2ce8ed0
	s_mov_b32 s4, 0x42b17218
	v_mov_b32_e32 v29, 0x7f800000
	s_waitcnt vmcnt(1)
	v_max_f32_e32 v11, v30, v30
	v_max_f32_e32 v8, v8, v11
	;; [unrolled: 1-line block ×3, first 2 shown]
	v_sub_f32_e32 v0, v0, v8
	v_max_f32_e32 v9, v9, v12
	v_sub_f32_e32 v11, v30, v8
	v_mul_f32_e32 v26, 0x3fb8aa3b, v0
	v_max_f32_e32 v13, v32, v32
	v_sub_f32_e32 v1, v1, v9
	v_mul_f32_e32 v27, 0x3fb8aa3b, v11
	v_fma_f32 v35, v0, s5, -v26
	v_rndne_f32_e32 v36, v26
	v_max_f32_e32 v10, v10, v13
	v_sub_f32_e32 v12, v31, v9
	v_mul_f32_e32 v30, 0x3fb8aa3b, v1
	v_fma_f32 v37, v11, s5, -v27
	v_rndne_f32_e32 v38, v27
	v_fmac_f32_e32 v35, 0x32a5705f, v0
	v_sub_f32_e32 v26, v26, v36
	v_sub_f32_e32 v2, v2, v10
	v_mul_f32_e32 v31, 0x3fb8aa3b, v12
	v_fma_f32 v39, v1, s5, -v30
	v_rndne_f32_e32 v42, v30
	v_fmac_f32_e32 v37, 0x32a5705f, v11
	v_sub_f32_e32 v27, v27, v38
	v_add_f32_e32 v26, v26, v35
	v_sub_f32_e32 v13, v32, v10
	v_mul_f32_e32 v32, 0x3fb8aa3b, v2
	v_fma_f32 v43, v12, s5, -v31
	v_rndne_f32_e32 v44, v31
	v_cvt_i32_f32_e32 v36, v36
	v_fmac_f32_e32 v39, 0x32a5705f, v1
	v_sub_f32_e32 v30, v30, v42
	v_add_f32_e32 v27, v27, v37
	v_exp_f32_e32 v26, v26
	v_fma_f32 v45, v2, s5, -v32
	v_rndne_f32_e32 v46, v32
	v_cvt_i32_f32_e32 v38, v38
	v_fmac_f32_e32 v43, 0x32a5705f, v12
	v_sub_f32_e32 v31, v31, v44
	v_add_f32_e32 v30, v30, v39
	v_exp_f32_e32 v27, v27
	v_cvt_i32_f32_e32 v42, v42
	v_fmac_f32_e32 v45, 0x32a5705f, v2
	v_sub_f32_e32 v32, v32, v46
	v_add_f32_e32 v31, v31, v43
	v_exp_f32_e32 v30, v30
	v_cvt_i32_f32_e32 v44, v44
	v_add_f32_e32 v32, v32, v45
	v_exp_f32_e32 v31, v31
	v_cvt_i32_f32_e32 v46, v46
	v_exp_f32_e32 v32, v32
	v_ldexp_f32 v26, v26, v36
	v_cmp_ngt_f32_e32 vcc, s2, v0
	v_ldexp_f32 v27, v27, v38
	v_ldexp_f32 v30, v30, v42
	v_cndmask_b32_e32 v26, 0, v26, vcc
	v_cmp_ngt_f32_e32 vcc, s2, v11
	v_ldexp_f32 v31, v31, v44
	v_ldexp_f32 v32, v32, v46
	v_cndmask_b32_e32 v27, 0, v27, vcc
	v_cmp_ngt_f32_e32 vcc, s2, v1
	v_mul_f32_e32 v34, 0x3fb8aa3b, v13
	v_fma_f32 v47, v13, s5, -v34
	v_cndmask_b32_e32 v30, 0, v30, vcc
	v_cmp_ngt_f32_e32 vcc, s2, v12
	v_rndne_f32_e32 v48, v34
	v_fmac_f32_e32 v47, 0x32a5705f, v13
	v_cndmask_b32_e32 v31, 0, v31, vcc
	v_cmp_ngt_f32_e32 vcc, s2, v2
	v_sub_f32_e32 v34, v34, v48
	v_add_f32_e32 v34, v34, v47
	v_cndmask_b32_e32 v32, 0, v32, vcc
	v_cmp_nlt_f32_e32 vcc, s4, v0
	v_cvt_i32_f32_e32 v48, v48
	v_exp_f32_e32 v34, v34
	v_cndmask_b32_e32 v0, v29, v26, vcc
	v_cmp_nlt_f32_e32 vcc, s4, v11
	v_cvt_f16_f32_e32 v11, v0
	v_mul_u32_u24_e32 v11, 0x10001, v11
	v_cndmask_b32_e32 v26, v29, v27, vcc
	v_cmp_nlt_f32_e32 vcc, s4, v1
	v_pk_mul_f16 v92, v92, v11
	v_ldexp_f32 v11, v34, v48
	v_cndmask_b32_e32 v1, v29, v30, vcc
	v_cvt_f16_f32_e32 v30, v1
	v_cmp_nlt_f32_e32 vcc, s4, v12
	v_mul_u32_u24_e32 v12, 0x10001, v30
	s_nop 0
	v_cndmask_b32_e32 v27, v29, v31, vcc
	v_cmp_nlt_f32_e32 vcc, s4, v2
	v_pk_mul_f16 v91, v91, v12
	v_max_f32_e32 v30, v3, v3
	v_cndmask_b32_e32 v2, v29, v32, vcc
	v_cmp_ngt_f32_e32 vcc, s2, v13
	v_cvt_f16_f32_e32 v31, v2
	v_pk_fma_f32 v[24:25], v[24:25], v[0:1], v[26:27]
	v_cndmask_b32_e32 v12, 0, v11, vcc
	v_max_f32_e32 v11, v33, v33
	v_max_f32_e32 v11, v30, v11
	v_sub_f32_e32 v3, v3, v11
	v_mul_f32_e32 v30, 0x3fb8aa3b, v3
	v_fma_f32 v32, v3, s5, -v30
	v_rndne_f32_e32 v34, v30
	v_fmac_f32_e32 v32, 0x32a5705f, v3
	v_sub_f32_e32 v30, v30, v34
	v_add_f32_e32 v30, v30, v32
	v_exp_f32_e32 v32, v30
	v_cvt_i32_f32_e32 v34, v34
	v_cmp_nlt_f32_e32 vcc, s4, v13
	v_sub_f32_e32 v13, v33, v11
	s_nop 0
	v_cndmask_b32_e32 v30, v29, v12, vcc
	v_mul_u32_u24_e32 v12, 0x10001, v31
	v_mul_f32_e32 v31, 0x3fb8aa3b, v13
	v_pk_mul_f16 v90, v90, v12
	v_ldexp_f32 v12, v32, v34
	v_fma_f32 v32, v13, s5, -v31
	v_rndne_f32_e32 v33, v31
	v_fmac_f32_e32 v32, 0x32a5705f, v13
	v_sub_f32_e32 v31, v31, v33
	v_add_f32_e32 v31, v31, v32
	v_exp_f32_e32 v31, v31
	v_cvt_i32_f32_e32 v32, v33
	v_cmp_ngt_f32_e32 vcc, s2, v3
	v_max_f32_e32 v33, v4, v4
	s_nop 0
	v_cndmask_b32_e32 v12, 0, v12, vcc
	v_cmp_nlt_f32_e32 vcc, s4, v3
	s_nop 1
	v_cndmask_b32_e32 v3, v29, v12, vcc
	v_ldexp_f32 v12, v31, v32
	v_cmp_ngt_f32_e32 vcc, s2, v13
	v_cvt_f16_f32_e32 v32, v3
	s_nop 0
	v_cndmask_b32_e32 v31, 0, v12, vcc
	s_waitcnt vmcnt(0)
	v_max_f32_e32 v12, v14, v14
	v_max_f32_e32 v12, v33, v12
	v_sub_f32_e32 v4, v4, v12
	v_mul_f32_e32 v33, 0x3fb8aa3b, v4
	v_fma_f32 v34, v4, s5, -v33
	v_rndne_f32_e32 v35, v33
	v_fmac_f32_e32 v34, 0x32a5705f, v4
	v_sub_f32_e32 v33, v33, v35
	v_add_f32_e32 v33, v33, v34
	v_exp_f32_e32 v33, v33
	v_cvt_i32_f32_e32 v34, v35
	v_sub_f32_e32 v14, v14, v12
	v_cmp_nlt_f32_e32 vcc, s4, v13
	v_mul_u32_u24_e32 v13, 0x10001, v32
	v_mul_f32_e32 v32, 0x3fb8aa3b, v14
	v_pk_mul_f16 v89, v89, v13
	v_ldexp_f32 v13, v33, v34
	v_fma_f32 v33, v14, s5, -v32
	v_rndne_f32_e32 v34, v32
	v_fmac_f32_e32 v33, 0x32a5705f, v14
	v_sub_f32_e32 v32, v32, v34
	v_add_f32_e32 v32, v32, v33
	v_exp_f32_e32 v32, v32
	v_cvt_i32_f32_e32 v33, v34
	v_cndmask_b32_e32 v31, v29, v31, vcc
	v_cmp_ngt_f32_e32 vcc, s2, v4
	v_max_f32_e32 v34, v5, v5
	v_pk_fma_f32 v[22:23], v[22:23], v[2:3], v[30:31]
	v_cndmask_b32_e32 v13, 0, v13, vcc
	v_cmp_nlt_f32_e32 vcc, s4, v4
	s_nop 1
	v_cndmask_b32_e32 v4, v29, v13, vcc
	v_ldexp_f32 v13, v32, v33
	v_cmp_ngt_f32_e32 vcc, s2, v14
	v_cvt_f16_f32_e32 v33, v4
	s_nop 0
	v_cndmask_b32_e32 v32, 0, v13, vcc
	v_max_f32_e32 v13, v15, v15
	v_max_f32_e32 v13, v34, v13
	v_sub_f32_e32 v5, v5, v13
	v_mul_f32_e32 v34, 0x3fb8aa3b, v5
	v_fma_f32 v35, v5, s5, -v34
	v_rndne_f32_e32 v36, v34
	v_fmac_f32_e32 v35, 0x32a5705f, v5
	v_sub_f32_e32 v34, v34, v36
	v_add_f32_e32 v34, v34, v35
	v_exp_f32_e32 v34, v34
	v_cvt_i32_f32_e32 v35, v36
	v_sub_f32_e32 v15, v15, v13
	v_cmp_nlt_f32_e32 vcc, s4, v14
	v_mul_u32_u24_e32 v14, 0x10001, v33
	v_mul_f32_e32 v33, 0x3fb8aa3b, v15
	v_pk_mul_f16 v88, v88, v14
	v_ldexp_f32 v14, v34, v35
	v_fma_f32 v34, v15, s5, -v33
	v_rndne_f32_e32 v35, v33
	v_fmac_f32_e32 v34, 0x32a5705f, v15
	v_sub_f32_e32 v33, v33, v35
	v_add_f32_e32 v33, v33, v34
	v_exp_f32_e32 v33, v33
	v_cvt_i32_f32_e32 v34, v35
	v_cndmask_b32_e32 v32, v29, v32, vcc
	v_cmp_ngt_f32_e32 vcc, s2, v5
	v_max_f32_e32 v35, v6, v6
	s_nop 0
	v_cndmask_b32_e32 v14, 0, v14, vcc
	v_cmp_nlt_f32_e32 vcc, s4, v5
	s_nop 1
	v_cndmask_b32_e32 v5, v29, v14, vcc
	v_ldexp_f32 v14, v33, v34
	v_cmp_ngt_f32_e32 vcc, s2, v15
	v_cvt_f16_f32_e32 v34, v5
	s_nop 0
	v_cndmask_b32_e32 v33, 0, v14, vcc
	v_max_f32_e32 v14, v16, v16
	v_max_f32_e32 v14, v35, v14
	v_sub_f32_e32 v6, v6, v14
	v_mul_f32_e32 v35, 0x3fb8aa3b, v6
	v_fma_f32 v36, v6, s5, -v35
	v_rndne_f32_e32 v37, v35
	v_fmac_f32_e32 v36, 0x32a5705f, v6
	v_sub_f32_e32 v35, v35, v37
	v_add_f32_e32 v35, v35, v36
	v_exp_f32_e32 v35, v35
	v_cvt_i32_f32_e32 v36, v37
	v_sub_f32_e32 v16, v16, v14
	v_cmp_nlt_f32_e32 vcc, s4, v15
	v_mul_u32_u24_e32 v15, 0x10001, v34
	v_mul_f32_e32 v34, 0x3fb8aa3b, v16
	v_pk_mul_f16 v87, v87, v15
	v_ldexp_f32 v15, v35, v36
	v_fma_f32 v35, v16, s5, -v34
	v_rndne_f32_e32 v36, v34
	v_fmac_f32_e32 v35, 0x32a5705f, v16
	v_sub_f32_e32 v34, v34, v36
	v_add_f32_e32 v34, v34, v35
	v_exp_f32_e32 v34, v34
	v_cvt_i32_f32_e32 v35, v36
	v_cndmask_b32_e32 v33, v29, v33, vcc
	v_cmp_ngt_f32_e32 vcc, s2, v6
	v_max_f32_e32 v36, v7, v7
	v_pk_fma_f32 v[20:21], v[20:21], v[4:5], v[32:33]
	v_cndmask_b32_e32 v15, 0, v15, vcc
	v_cmp_nlt_f32_e32 vcc, s4, v6
	s_nop 1
	v_cndmask_b32_e32 v6, v29, v15, vcc
	v_ldexp_f32 v15, v34, v35
	v_cmp_ngt_f32_e32 vcc, s2, v16
	v_cvt_f16_f32_e32 v35, v6
	s_nop 0
	v_cndmask_b32_e32 v34, 0, v15, vcc
	v_max_f32_e32 v15, v17, v17
	v_max_f32_e32 v15, v36, v15
	v_sub_f32_e32 v7, v7, v15
	v_mul_f32_e32 v36, 0x3fb8aa3b, v7
	v_fma_f32 v37, v7, s5, -v36
	v_rndne_f32_e32 v38, v36
	v_fmac_f32_e32 v37, 0x32a5705f, v7
	v_sub_f32_e32 v36, v36, v38
	v_add_f32_e32 v36, v36, v37
	v_exp_f32_e32 v36, v36
	v_cvt_i32_f32_e32 v37, v38
	v_cmp_nlt_f32_e32 vcc, s4, v16
	v_sub_f32_e32 v17, v17, v15
	s_nop 0
	v_cndmask_b32_e32 v16, v29, v34, vcc
	v_mul_u32_u24_e32 v34, 0x10001, v35
	v_mul_f32_e32 v35, 0x3fb8aa3b, v17
	v_pk_mul_f16 v86, v86, v34
	v_ldexp_f32 v34, v36, v37
	v_fma_f32 v36, v17, s5, -v35
	v_rndne_f32_e32 v37, v35
	v_fmac_f32_e32 v36, 0x32a5705f, v17
	v_sub_f32_e32 v35, v35, v37
	v_add_f32_e32 v35, v35, v36
	v_cmp_ngt_f32_e32 vcc, s2, v7
	v_exp_f32_e32 v35, v35
	v_cvt_i32_f32_e32 v36, v37
	v_cndmask_b32_e32 v34, 0, v34, vcc
	v_cmp_nlt_f32_e32 vcc, s4, v7
	s_nop 1
	v_cndmask_b32_e32 v7, v29, v34, vcc
	v_cvt_f16_f32_e32 v0, v7
	v_ldexp_f32 v34, v35, v36
	v_cmp_ngt_f32_e32 vcc, s2, v17
	v_mul_u32_u24_e32 v0, 0x10001, v0
	s_nop 0
	v_cndmask_b32_e32 v34, 0, v34, vcc
	v_cmp_nlt_f32_e32 vcc, s4, v17
	v_pk_mul_f16 v85, v85, v0
	s_nop 0
	v_cndmask_b32_e32 v17, v29, v34, vcc
	v_pk_fma_f32 v[18:19], v[18:19], v[6:7], v[16:17]
	v_mov_b64_e32 v[0:1], v[8:9]
	v_mov_b64_e32 v[2:3], v[10:11]
	;; [unrolled: 1-line block ×4, first 2 shown]
.LBB0_12:
	v_cmp_gt_i32_e32 vcc, s22, v41
	s_and_saveexec_b64 s[4:5], vcc
	s_cbranch_execz .LBB0_45
; %bb.13:
	s_load_dword s8, s[0:1], 0xd4
	v_mov_b32_e32 v10, 1.0
	s_waitcnt lgkmcnt(0)
	s_cmp_lg_u32 s8, 1
	s_cselect_b64 s[0:1], -1, 0
	s_cmp_eq_u32 s8, 1
	s_cselect_b64 s[6:7], -1, 0
	s_and_b64 vcc, exec, s[0:1]
	s_cbranch_vccnz .LBB0_15
; %bb.14:
	v_div_scale_f32 v8, s[4:5], v24, v24, 1.0
	v_rcp_f32_e32 v9, v8
	v_div_scale_f32 v10, vcc, 1.0, v24, 1.0
	v_fma_f32 v11, -v8, v9, 1.0
	v_fmac_f32_e32 v9, v11, v9
	v_mul_f32_e32 v11, v10, v9
	v_fma_f32 v12, -v8, v11, v10
	v_fmac_f32_e32 v11, v12, v9
	v_fma_f32 v8, -v8, v11, v10
	v_div_fmas_f32 v8, v8, v9, v11
	v_div_fixup_f32 v10, v8, v24, 1.0
.LBB0_15:
	s_mul_i32 s33, s33, s22
	v_add_u32_e32 v8, s33, v41
	v_mul_lo_u32 v8, v8, s23
	v_add_u32_e32 v8, s28, v8
	v_cvt_f32_f16_sdwa v13, v92 dst_sel:DWORD dst_unused:UNUSED_PAD src0_sel:WORD_1
	v_cvt_f32_f16_e32 v12, v92
	v_mul_lo_u32 v8, s8, v8
	v_add_u32_e32 v8, s3, v8
	v_cmp_eq_u32_e32 vcc, 0, v40
	v_lshl_add_u32 v14, v8, 6, v28
	v_mov_b32_e32 v15, 0
	s_and_b64 s[4:5], vcc, s[0:1]
	v_lshl_add_u64 v[14:15], v[14:15], 2, s[16:17]
	v_pk_mul_f32 v[10:11], v[10:11], v[12:13] op_sel_hi:[0,1]
	global_store_dwordx2 v[14:15], v[10:11], off
	s_and_saveexec_b64 s[0:1], s[4:5]
	s_cbranch_execz .LBB0_17
; %bb.16:
	v_ashrrev_i32_e32 v9, 31, v8
	v_lshl_add_u64 v[10:11], v[8:9], 3, s[18:19]
	v_mov_b32_e32 v12, v0
	v_mov_b32_e32 v13, v24
	global_store_dwordx2 v[10:11], v[12:13], off
.LBB0_17:
	s_or_b64 exec, exec, s[0:1]
	v_cndmask_b32_e64 v0, 0, 1, s[6:7]
	v_cmp_ne_u32_e64 s[0:1], 1, v0
	s_andn2_b64 vcc, exec, s[6:7]
	v_mov_b32_e32 v0, 1.0
	s_cbranch_vccnz .LBB0_19
; %bb.18:
	v_div_scale_f32 v0, s[2:3], v25, v25, 1.0
	v_rcp_f32_e32 v9, v0
	v_div_scale_f32 v10, vcc, 1.0, v25, 1.0
	v_fma_f32 v11, -v0, v9, 1.0
	v_fmac_f32_e32 v9, v11, v9
	v_mul_f32_e32 v11, v10, v9
	v_fma_f32 v12, -v0, v11, v10
	v_fmac_f32_e32 v11, v12, v9
	v_fma_f32 v0, -v0, v11, v10
	v_div_fmas_f32 v0, v0, v9, v11
	v_div_fixup_f32 v0, v0, v25, 1.0
.LBB0_19:
	v_cvt_f32_f16_sdwa v11, v91 dst_sel:DWORD dst_unused:UNUSED_PAD src0_sel:WORD_1
	v_cvt_f32_f16_e32 v10, v91
	v_add_u32_e32 v8, s8, v8
	v_lshl_add_u32 v12, v8, 6, v28
	v_mov_b32_e32 v13, 0
	v_lshl_add_u64 v[12:13], v[12:13], 2, s[16:17]
	v_pk_mul_f32 v[10:11], v[0:1], v[10:11] op_sel_hi:[0,1]
	global_store_dwordx2 v[12:13], v[10:11], off
	s_and_saveexec_b64 s[2:3], s[4:5]
	s_cbranch_execz .LBB0_21
; %bb.20:
	v_ashrrev_i32_e32 v9, 31, v8
	v_lshl_add_u64 v[10:11], v[8:9], 3, s[18:19]
	v_mov_b32_e32 v24, v1
	global_store_dwordx2 v[10:11], v[24:25], off
.LBB0_21:
	s_or_b64 exec, exec, s[2:3]
	s_and_b64 vcc, exec, s[0:1]
	v_mov_b32_e32 v10, 1.0
	s_cbranch_vccnz .LBB0_23
; %bb.22:
	v_div_scale_f32 v0, s[2:3], v22, v22, 1.0
	v_rcp_f32_e32 v1, v0
	v_div_scale_f32 v9, vcc, 1.0, v22, 1.0
	v_fma_f32 v10, -v0, v1, 1.0
	v_fmac_f32_e32 v1, v10, v1
	v_mul_f32_e32 v10, v9, v1
	v_fma_f32 v11, -v0, v10, v9
	v_fmac_f32_e32 v10, v11, v1
	v_fma_f32 v0, -v0, v10, v9
	v_div_fmas_f32 v0, v0, v1, v10
	v_div_fixup_f32 v10, v0, v22, 1.0
.LBB0_23:
	v_add_u32_e32 v0, s8, v8
	v_cvt_f32_f16_sdwa v9, v90 dst_sel:DWORD dst_unused:UNUSED_PAD src0_sel:WORD_1
	v_cvt_f32_f16_e32 v8, v90
	v_lshl_add_u32 v12, v0, 6, v28
	v_mov_b32_e32 v13, 0
	v_lshl_add_u64 v[12:13], v[12:13], 2, s[16:17]
	v_pk_mul_f32 v[8:9], v[10:11], v[8:9] op_sel_hi:[0,1]
	global_store_dwordx2 v[12:13], v[8:9], off
	s_and_saveexec_b64 s[2:3], s[4:5]
	s_cbranch_execz .LBB0_25
; %bb.24:
	v_ashrrev_i32_e32 v1, 31, v0
	v_lshl_add_u64 v[8:9], v[0:1], 3, s[18:19]
	v_mov_b32_e32 v10, v2
	v_mov_b32_e32 v11, v22
	global_store_dwordx2 v[8:9], v[10:11], off
.LBB0_25:
	s_or_b64 exec, exec, s[2:3]
	s_and_b64 vcc, exec, s[0:1]
	v_mov_b32_e32 v2, 1.0
	s_cbranch_vccnz .LBB0_27
; %bb.26:
	v_div_scale_f32 v1, s[2:3], v23, v23, 1.0
	v_rcp_f32_e32 v2, v1
	v_div_scale_f32 v8, vcc, 1.0, v23, 1.0
	v_fma_f32 v9, -v1, v2, 1.0
	v_fmac_f32_e32 v2, v9, v2
	v_mul_f32_e32 v9, v8, v2
	v_fma_f32 v10, -v1, v9, v8
	v_fmac_f32_e32 v9, v10, v2
	v_fma_f32 v1, -v1, v9, v8
	v_div_fmas_f32 v1, v1, v2, v9
	v_div_fixup_f32 v2, v1, v23, 1.0
.LBB0_27:
	v_cvt_f32_f16_sdwa v9, v89 dst_sel:DWORD dst_unused:UNUSED_PAD src0_sel:WORD_1
	v_cvt_f32_f16_e32 v8, v89
	v_add_u32_e32 v0, s8, v0
	v_lshl_add_u32 v10, v0, 6, v28
	v_mov_b32_e32 v11, 0
	v_lshl_add_u64 v[10:11], v[10:11], 2, s[16:17]
	v_pk_mul_f32 v[8:9], v[2:3], v[8:9] op_sel_hi:[0,1]
	global_store_dwordx2 v[10:11], v[8:9], off
	s_and_saveexec_b64 s[2:3], s[4:5]
	s_cbranch_execz .LBB0_29
; %bb.28:
	v_ashrrev_i32_e32 v1, 31, v0
	v_lshl_add_u64 v[8:9], v[0:1], 3, s[18:19]
	v_mov_b32_e32 v22, v3
	global_store_dwordx2 v[8:9], v[22:23], off
.LBB0_29:
	s_or_b64 exec, exec, s[2:3]
	s_and_b64 vcc, exec, s[0:1]
	v_mov_b32_e32 v2, 1.0
	s_cbranch_vccnz .LBB0_31
; %bb.30:
	v_div_scale_f32 v1, s[2:3], v20, v20, 1.0
	v_rcp_f32_e32 v2, v1
	v_div_scale_f32 v3, vcc, 1.0, v20, 1.0
	v_fma_f32 v8, -v1, v2, 1.0
	v_fmac_f32_e32 v2, v8, v2
	v_mul_f32_e32 v8, v3, v2
	v_fma_f32 v9, -v1, v8, v3
	v_fmac_f32_e32 v8, v9, v2
	v_fma_f32 v1, -v1, v8, v3
	v_div_fmas_f32 v1, v1, v2, v8
	v_div_fixup_f32 v2, v1, v20, 1.0
.LBB0_31:
	v_cvt_f32_f16_sdwa v9, v88 dst_sel:DWORD dst_unused:UNUSED_PAD src0_sel:WORD_1
	v_cvt_f32_f16_e32 v8, v88
	v_add_u32_e32 v0, s8, v0
	v_lshl_add_u32 v10, v0, 6, v28
	v_mov_b32_e32 v11, 0
	v_lshl_add_u64 v[10:11], v[10:11], 2, s[16:17]
	v_pk_mul_f32 v[2:3], v[2:3], v[8:9] op_sel_hi:[0,1]
	global_store_dwordx2 v[10:11], v[2:3], off
	s_and_saveexec_b64 s[2:3], s[4:5]
	s_cbranch_execz .LBB0_33
; %bb.32:
	v_ashrrev_i32_e32 v1, 31, v0
	v_lshl_add_u64 v[2:3], v[0:1], 3, s[18:19]
	v_mov_b32_e32 v8, v4
	v_mov_b32_e32 v9, v20
	global_store_dwordx2 v[2:3], v[8:9], off
.LBB0_33:
	s_or_b64 exec, exec, s[2:3]
	s_and_b64 vcc, exec, s[0:1]
	v_mov_b32_e32 v2, 1.0
	s_cbranch_vccnz .LBB0_35
; %bb.34:
	v_div_scale_f32 v1, s[2:3], v21, v21, 1.0
	v_rcp_f32_e32 v2, v1
	v_div_scale_f32 v3, vcc, 1.0, v21, 1.0
	v_fma_f32 v4, -v1, v2, 1.0
	v_fmac_f32_e32 v2, v4, v2
	v_mul_f32_e32 v4, v3, v2
	v_fma_f32 v8, -v1, v4, v3
	v_fmac_f32_e32 v4, v8, v2
	v_fma_f32 v1, -v1, v4, v3
	v_div_fmas_f32 v1, v1, v2, v4
	v_div_fixup_f32 v2, v1, v21, 1.0
.LBB0_35:
	v_cvt_f32_f16_sdwa v9, v87 dst_sel:DWORD dst_unused:UNUSED_PAD src0_sel:WORD_1
	v_cvt_f32_f16_e32 v8, v87
	v_add_u32_e32 v0, s8, v0
	v_lshl_add_u32 v10, v0, 6, v28
	v_mov_b32_e32 v11, 0
	v_lshl_add_u64 v[10:11], v[10:11], 2, s[16:17]
	v_pk_mul_f32 v[2:3], v[2:3], v[8:9] op_sel_hi:[0,1]
	global_store_dwordx2 v[10:11], v[2:3], off
	s_and_saveexec_b64 s[2:3], s[4:5]
	s_cbranch_execz .LBB0_37
; %bb.36:
	v_ashrrev_i32_e32 v1, 31, v0
	v_lshl_add_u64 v[2:3], v[0:1], 3, s[18:19]
	v_mov_b32_e32 v20, v5
	global_store_dwordx2 v[2:3], v[20:21], off
.LBB0_37:
	s_or_b64 exec, exec, s[2:3]
	s_and_b64 vcc, exec, s[0:1]
	v_mov_b32_e32 v2, 1.0
	s_cbranch_vccnz .LBB0_39
; %bb.38:
	v_div_scale_f32 v1, s[2:3], v18, v18, 1.0
	v_rcp_f32_e32 v2, v1
	v_div_scale_f32 v3, vcc, 1.0, v18, 1.0
	v_fma_f32 v4, -v1, v2, 1.0
	v_fmac_f32_e32 v2, v4, v2
	v_mul_f32_e32 v4, v3, v2
	v_fma_f32 v5, -v1, v4, v3
	v_fmac_f32_e32 v4, v5, v2
	v_fma_f32 v1, -v1, v4, v3
	v_div_fmas_f32 v1, v1, v2, v4
	v_div_fixup_f32 v2, v1, v18, 1.0
.LBB0_39:
	v_cvt_f32_f16_sdwa v5, v86 dst_sel:DWORD dst_unused:UNUSED_PAD src0_sel:WORD_1
	v_cvt_f32_f16_e32 v4, v86
	v_add_u32_e32 v0, s8, v0
	v_lshl_add_u32 v8, v0, 6, v28
	v_mov_b32_e32 v9, 0
	v_lshl_add_u64 v[8:9], v[8:9], 2, s[16:17]
	v_pk_mul_f32 v[2:3], v[2:3], v[4:5] op_sel_hi:[0,1]
	global_store_dwordx2 v[8:9], v[2:3], off
	s_and_saveexec_b64 s[2:3], s[4:5]
	s_cbranch_execz .LBB0_41
; %bb.40:
	v_ashrrev_i32_e32 v1, 31, v0
	v_lshl_add_u64 v[2:3], v[0:1], 3, s[18:19]
	v_mov_b32_e32 v4, v6
	v_mov_b32_e32 v5, v18
	global_store_dwordx2 v[2:3], v[4:5], off
.LBB0_41:
	s_or_b64 exec, exec, s[2:3]
	s_and_b64 vcc, exec, s[0:1]
	v_mov_b32_e32 v2, 1.0
	s_cbranch_vccnz .LBB0_43
; %bb.42:
	v_div_scale_f32 v1, s[0:1], v19, v19, 1.0
	v_rcp_f32_e32 v2, v1
	v_div_scale_f32 v3, vcc, 1.0, v19, 1.0
	v_fma_f32 v4, -v1, v2, 1.0
	v_fmac_f32_e32 v2, v4, v2
	v_mul_f32_e32 v4, v3, v2
	v_fma_f32 v5, -v1, v4, v3
	v_fmac_f32_e32 v4, v5, v2
	v_fma_f32 v1, -v1, v4, v3
	v_div_fmas_f32 v1, v1, v2, v4
	v_div_fixup_f32 v2, v1, v19, 1.0
.LBB0_43:
	v_cvt_f32_f16_sdwa v5, v85 dst_sel:DWORD dst_unused:UNUSED_PAD src0_sel:WORD_1
	v_cvt_f32_f16_e32 v4, v85
	v_add_u32_e32 v0, s8, v0
	v_lshl_add_u32 v8, v0, 6, v28
	v_mov_b32_e32 v9, 0
	v_lshl_add_u64 v[8:9], v[8:9], 2, s[16:17]
	v_pk_mul_f32 v[2:3], v[2:3], v[4:5] op_sel_hi:[0,1]
	global_store_dwordx2 v[8:9], v[2:3], off
	s_and_b64 exec, exec, s[4:5]
	s_cbranch_execz .LBB0_45
; %bb.44:
	v_ashrrev_i32_e32 v1, 31, v0
	v_lshl_add_u64 v[0:1], v[0:1], 3, s[18:19]
	v_mov_b32_e32 v18, v7
	global_store_dwordx2 v[0:1], v[18:19], off
.LBB0_45:
	s_endpgm
	.section	.rodata,"a",@progbits
	.p2align	6, 0x0
	.amdhsa_kernel _ZL15flash_attn_tileILi64ELi64ELi8ELi8ELb0EEvPKcS1_S1_S1_S1_PKiPfP15HIP_vector_typeIfLj2EEffffjfiS5_IjLj3EEiiiiiiiiiiiliiliiiiil
		.amdhsa_group_segment_fixed_size 25600
		.amdhsa_private_segment_fixed_size 0
		.amdhsa_kernarg_size 464
		.amdhsa_user_sgpr_count 2
		.amdhsa_user_sgpr_dispatch_ptr 0
		.amdhsa_user_sgpr_queue_ptr 0
		.amdhsa_user_sgpr_kernarg_segment_ptr 1
		.amdhsa_user_sgpr_dispatch_id 0
		.amdhsa_user_sgpr_kernarg_preload_length 0
		.amdhsa_user_sgpr_kernarg_preload_offset 0
		.amdhsa_user_sgpr_private_segment_size 0
		.amdhsa_uses_dynamic_stack 0
		.amdhsa_enable_private_segment 0
		.amdhsa_system_sgpr_workgroup_id_x 1
		.amdhsa_system_sgpr_workgroup_id_y 1
		.amdhsa_system_sgpr_workgroup_id_z 1
		.amdhsa_system_sgpr_workgroup_info 0
		.amdhsa_system_vgpr_workitem_id 1
		.amdhsa_next_free_vgpr 142
		.amdhsa_next_free_sgpr 91
		.amdhsa_accum_offset 144
		.amdhsa_reserve_vcc 1
		.amdhsa_float_round_mode_32 0
		.amdhsa_float_round_mode_16_64 0
		.amdhsa_float_denorm_mode_32 3
		.amdhsa_float_denorm_mode_16_64 3
		.amdhsa_dx10_clamp 1
		.amdhsa_ieee_mode 1
		.amdhsa_fp16_overflow 0
		.amdhsa_tg_split 0
		.amdhsa_exception_fp_ieee_invalid_op 0
		.amdhsa_exception_fp_denorm_src 0
		.amdhsa_exception_fp_ieee_div_zero 0
		.amdhsa_exception_fp_ieee_overflow 0
		.amdhsa_exception_fp_ieee_underflow 0
		.amdhsa_exception_fp_ieee_inexact 0
		.amdhsa_exception_int_div_zero 0
	.end_amdhsa_kernel
	.section	.text._ZL15flash_attn_tileILi64ELi64ELi8ELi8ELb0EEvPKcS1_S1_S1_S1_PKiPfP15HIP_vector_typeIfLj2EEffffjfiS5_IjLj3EEiiiiiiiiiiiliiliiiiil,"axG",@progbits,_ZL15flash_attn_tileILi64ELi64ELi8ELi8ELb0EEvPKcS1_S1_S1_S1_PKiPfP15HIP_vector_typeIfLj2EEffffjfiS5_IjLj3EEiiiiiiiiiiiliiliiiiil,comdat
.Lfunc_end0:
	.size	_ZL15flash_attn_tileILi64ELi64ELi8ELi8ELb0EEvPKcS1_S1_S1_S1_PKiPfP15HIP_vector_typeIfLj2EEffffjfiS5_IjLj3EEiiiiiiiiiiiliiliiiiil, .Lfunc_end0-_ZL15flash_attn_tileILi64ELi64ELi8ELi8ELb0EEvPKcS1_S1_S1_S1_PKiPfP15HIP_vector_typeIfLj2EEffffjfiS5_IjLj3EEiiiiiiiiiiiliiliiiiil
                                        ; -- End function
	.set _ZL15flash_attn_tileILi64ELi64ELi8ELi8ELb0EEvPKcS1_S1_S1_S1_PKiPfP15HIP_vector_typeIfLj2EEffffjfiS5_IjLj3EEiiiiiiiiiiiliiliiiiil.num_vgpr, 142
	.set _ZL15flash_attn_tileILi64ELi64ELi8ELi8ELb0EEvPKcS1_S1_S1_S1_PKiPfP15HIP_vector_typeIfLj2EEffffjfiS5_IjLj3EEiiiiiiiiiiiliiliiiiil.num_agpr, 0
	.set _ZL15flash_attn_tileILi64ELi64ELi8ELi8ELb0EEvPKcS1_S1_S1_S1_PKiPfP15HIP_vector_typeIfLj2EEffffjfiS5_IjLj3EEiiiiiiiiiiiliiliiiiil.numbered_sgpr, 42
	.set _ZL15flash_attn_tileILi64ELi64ELi8ELi8ELb0EEvPKcS1_S1_S1_S1_PKiPfP15HIP_vector_typeIfLj2EEffffjfiS5_IjLj3EEiiiiiiiiiiiliiliiiiil.num_named_barrier, 0
	.set _ZL15flash_attn_tileILi64ELi64ELi8ELi8ELb0EEvPKcS1_S1_S1_S1_PKiPfP15HIP_vector_typeIfLj2EEffffjfiS5_IjLj3EEiiiiiiiiiiiliiliiiiil.private_seg_size, 0
	.set _ZL15flash_attn_tileILi64ELi64ELi8ELi8ELb0EEvPKcS1_S1_S1_S1_PKiPfP15HIP_vector_typeIfLj2EEffffjfiS5_IjLj3EEiiiiiiiiiiiliiliiiiil.uses_vcc, 1
	.set _ZL15flash_attn_tileILi64ELi64ELi8ELi8ELb0EEvPKcS1_S1_S1_S1_PKiPfP15HIP_vector_typeIfLj2EEffffjfiS5_IjLj3EEiiiiiiiiiiiliiliiiiil.uses_flat_scratch, 0
	.set _ZL15flash_attn_tileILi64ELi64ELi8ELi8ELb0EEvPKcS1_S1_S1_S1_PKiPfP15HIP_vector_typeIfLj2EEffffjfiS5_IjLj3EEiiiiiiiiiiiliiliiiiil.has_dyn_sized_stack, 0
	.set _ZL15flash_attn_tileILi64ELi64ELi8ELi8ELb0EEvPKcS1_S1_S1_S1_PKiPfP15HIP_vector_typeIfLj2EEffffjfiS5_IjLj3EEiiiiiiiiiiiliiliiiiil.has_recursion, 0
	.set _ZL15flash_attn_tileILi64ELi64ELi8ELi8ELb0EEvPKcS1_S1_S1_S1_PKiPfP15HIP_vector_typeIfLj2EEffffjfiS5_IjLj3EEiiiiiiiiiiiliiliiiiil.has_indirect_call, 0
	.section	.AMDGPU.csdata,"",@progbits
; Kernel info:
; codeLenInByte = 29208
; TotalNumSgprs: 48
; NumVgprs: 142
; NumAgprs: 0
; TotalNumVgprs: 142
; ScratchSize: 0
; MemoryBound: 0
; FloatMode: 240
; IeeeMode: 1
; LDSByteSize: 25600 bytes/workgroup (compile time only)
; SGPRBlocks: 12
; VGPRBlocks: 17
; NumSGPRsForWavesPerEU: 97
; NumVGPRsForWavesPerEU: 142
; AccumOffset: 144
; Occupancy: 3
; WaveLimiterHint : 1
; COMPUTE_PGM_RSRC2:SCRATCH_EN: 0
; COMPUTE_PGM_RSRC2:USER_SGPR: 2
; COMPUTE_PGM_RSRC2:TRAP_HANDLER: 0
; COMPUTE_PGM_RSRC2:TGID_X_EN: 1
; COMPUTE_PGM_RSRC2:TGID_Y_EN: 1
; COMPUTE_PGM_RSRC2:TGID_Z_EN: 1
; COMPUTE_PGM_RSRC2:TIDIG_COMP_CNT: 1
; COMPUTE_PGM_RSRC3_GFX90A:ACCUM_OFFSET: 35
; COMPUTE_PGM_RSRC3_GFX90A:TG_SPLIT: 0
	.section	.text._ZL25flash_attn_mask_to_KV_maxILi8EEvPK7__half2Piiii,"axG",@progbits,_ZL25flash_attn_mask_to_KV_maxILi8EEvPK7__half2Piiii,comdat
	.globl	_ZL25flash_attn_mask_to_KV_maxILi8EEvPK7__half2Piiii ; -- Begin function _ZL25flash_attn_mask_to_KV_maxILi8EEvPK7__half2Piiii
	.p2align	8
	.type	_ZL25flash_attn_mask_to_KV_maxILi8EEvPK7__half2Piiii,@function
_ZL25flash_attn_mask_to_KV_maxILi8EEvPK7__half2Piiii: ; @_ZL25flash_attn_mask_to_KV_maxILi8EEvPK7__half2Piiii
; %bb.0:
	s_load_dwordx4 s[4:7], s[0:1], 0x0
	v_cmp_gt_u32_e32 vcc, 32, v0
	s_and_saveexec_b64 s[8:9], vcc
; %bb.1:
	v_lshlrev_b32_e32 v1, 2, v0
	v_mov_b32_e32 v2, 1
	ds_write_b32 v1, v2
; %bb.2:
	s_or_b64 exec, exec, s[8:9]
	s_load_dwordx4 s[8:11], s[0:1], 0x10
	s_load_dword s33, s[0:1], 0x20
	v_and_b32_e32 v2, 31, v0
	v_lshlrev_b32_e32 v6, 2, v2
	v_lshrrev_b32_e32 v1, 3, v0
	s_waitcnt lgkmcnt(0)
	s_mul_i32 s1, s2, s9
	s_mul_i32 s0, s10, s3
	s_lshl_b32 s1, s1, 3
	s_add_i32 s0, s0, s1
	s_ashr_i32 s1, s0, 31
	s_lshl_b64 s[0:1], s[0:1], 2
	s_add_u32 s10, s4, s0
	s_addc_u32 s11, s5, s1
	v_cmp_eq_u32_e64 s[0:1], 0, v2
	v_mbcnt_lo_u32_b32 v2, -1, 0
	s_lshl_b32 s8, s8, 8
	s_mov_b64 s[12:13], 0
	v_mov_b32_e32 v3, 0
	s_movk_i32 s42, 0x204
	v_mbcnt_hi_u32_b32 v7, -1, v2
	s_barrier
                                        ; implicit-def: $sgpr4_sgpr5
	s_branch .LBB1_5
.LBB1_3:                                ;   in Loop: Header=BB1_5 Depth=1
	s_or_b64 exec, exec, s[14:15]
	s_waitcnt lgkmcnt(0)
	s_barrier
	ds_read_b32 v10, v6
	s_waitcnt lgkmcnt(0)
	s_barrier
	ds_bpermute_b32 v2, v2, v10
	v_cmp_ne_u32_e32 vcc, 0, v10
	s_waitcnt lgkmcnt(0)
	v_cmp_ne_u32_e64 s[4:5], 0, v2
	s_and_b64 s[4:5], vcc, s[4:5]
	s_nop 0
	v_cndmask_b32_e64 v2, 0, 1, s[4:5]
	ds_bpermute_b32 v2, v4, v2
	s_waitcnt lgkmcnt(0)
	v_cmp_ne_u32_e32 vcc, 0, v2
	s_and_b64 s[4:5], vcc, s[4:5]
	v_cndmask_b32_e64 v2, 0, 1, s[4:5]
	ds_bpermute_b32 v2, v5, v2
	s_waitcnt lgkmcnt(0)
	v_cmp_ne_u32_e32 vcc, 0, v2
	s_and_b64 s[4:5], vcc, s[4:5]
	;; [unrolled: 5-line block ×3, first 2 shown]
	v_cndmask_b32_e64 v2, 0, 1, s[4:5]
	ds_bpermute_b32 v2, v9, v2
	s_xor_b64 s[4:5], s[4:5], -1
	s_waitcnt lgkmcnt(0)
	v_cmp_eq_u32_e32 vcc, 0, v2
	s_or_b64 s[4:5], vcc, s[4:5]
.LBB1_4:                                ;   in Loop: Header=BB1_5 Depth=1
	s_and_b64 s[14:15], exec, s[4:5]
	s_or_b64 s[12:13], s[14:15], s[12:13]
	v_mov_b32_e32 v2, s8
	s_mov_b32 s8, s43
	s_andn2_b64 exec, exec, s[12:13]
	s_cbranch_execz .LBB1_36
.LBB1_5:                                ; =>This Inner Loop Header: Depth=1
	s_add_i32 s43, s8, 0xffffff00
	s_or_b64 s[4:5], s[4:5], exec
	s_cmp_lt_i32 s43, 0
	s_cbranch_scc1 .LBB1_4
; %bb.6:                                ;   in Loop: Header=BB1_5 Depth=1
	s_lshr_b32 s4, s43, 1
	v_add_u32_e32 v2, s4, v0
	v_lshl_add_u64 v[4:5], v[2:3], 2, s[10:11]
	global_load_dword v4, v[4:5], off
	v_mov_b32_e32 v5, 0
	s_waitcnt vmcnt(0)
	v_cmp_class_f16_e64 s[4:5], v4, s42
	v_cmp_class_f16_sdwa s[14:15], v4, s42 src0_sel:WORD_1 src1_sel:DWORD
	s_and_b64 s[14:15], s[4:5], s[14:15]
	s_and_saveexec_b64 s[4:5], s[14:15]
	s_cbranch_execz .LBB1_34
; %bb.7:                                ;   in Loop: Header=BB1_5 Depth=1
	v_add_u32_e32 v4, s9, v2
	v_ashrrev_i32_e32 v5, 31, v4
	v_lshl_add_u64 v[8:9], v[4:5], 2, s[10:11]
	global_load_dword v2, v[8:9], off
	v_mov_b32_e32 v5, 0
	s_waitcnt vmcnt(0)
	v_cmp_class_f16_e64 s[16:17], v2, s42
	s_and_saveexec_b64 s[14:15], s[16:17]
	s_cbranch_execz .LBB1_33
; %bb.8:                                ;   in Loop: Header=BB1_5 Depth=1
	v_cmp_class_f16_sdwa s[18:19], v2, s42 src0_sel:WORD_1 src1_sel:DWORD
	v_mov_b32_e32 v5, 0
	s_and_saveexec_b64 s[16:17], s[18:19]
	s_cbranch_execz .LBB1_32
; %bb.9:                                ;   in Loop: Header=BB1_5 Depth=1
	v_add_u32_e32 v4, s9, v4
	v_ashrrev_i32_e32 v5, 31, v4
	v_lshl_add_u64 v[8:9], v[4:5], 2, s[10:11]
	global_load_dword v2, v[8:9], off
	v_mov_b32_e32 v5, 0
	s_waitcnt vmcnt(0)
	v_cmp_class_f16_e64 s[20:21], v2, s42
	s_and_saveexec_b64 s[18:19], s[20:21]
	s_cbranch_execz .LBB1_31
; %bb.10:                               ;   in Loop: Header=BB1_5 Depth=1
	v_cmp_class_f16_sdwa s[22:23], v2, s42 src0_sel:WORD_1 src1_sel:DWORD
	v_mov_b32_e32 v5, 0
	s_and_saveexec_b64 s[20:21], s[22:23]
	s_cbranch_execz .LBB1_30
; %bb.11:                               ;   in Loop: Header=BB1_5 Depth=1
	v_add_u32_e32 v4, s9, v4
	v_ashrrev_i32_e32 v5, 31, v4
	v_lshl_add_u64 v[8:9], v[4:5], 2, s[10:11]
	global_load_dword v2, v[8:9], off
	v_mov_b32_e32 v5, 0
	s_waitcnt vmcnt(0)
	v_cmp_class_f16_e64 s[24:25], v2, s42
	s_and_saveexec_b64 s[22:23], s[24:25]
	s_cbranch_execz .LBB1_29
; %bb.12:                               ;   in Loop: Header=BB1_5 Depth=1
	v_cmp_class_f16_sdwa s[26:27], v2, s42 src0_sel:WORD_1 src1_sel:DWORD
	v_mov_b32_e32 v5, 0
	s_and_saveexec_b64 s[24:25], s[26:27]
	s_cbranch_execz .LBB1_28
; %bb.13:                               ;   in Loop: Header=BB1_5 Depth=1
	;; [unrolled: 15-line block ×5, first 2 shown]
	v_add_u32_e32 v4, s9, v4
	v_ashrrev_i32_e32 v5, 31, v4
	v_lshl_add_u64 v[4:5], v[4:5], 2, s[10:11]
	global_load_dword v2, v[4:5], off
	v_mov_b32_e32 v5, 0
	s_waitcnt vmcnt(0)
	v_cmp_class_f16_e64 s[44:45], v2, s42
	s_and_saveexec_b64 s[40:41], s[44:45]
; %bb.20:                               ;   in Loop: Header=BB1_5 Depth=1
	v_cmp_class_f16_sdwa s[44:45], v2, s42 src0_sel:WORD_1 src1_sel:DWORD
	s_nop 1
	v_cndmask_b32_e64 v5, 0, 1, s[44:45]
; %bb.21:                               ;   in Loop: Header=BB1_5 Depth=1
	s_or_b64 exec, exec, s[40:41]
.LBB1_22:                               ;   in Loop: Header=BB1_5 Depth=1
	s_or_b64 exec, exec, s[38:39]
.LBB1_23:                               ;   in Loop: Header=BB1_5 Depth=1
	s_or_b64 exec, exec, s[36:37]
.LBB1_24:                               ;   in Loop: Header=BB1_5 Depth=1
	s_or_b64 exec, exec, s[34:35]
.LBB1_25:                               ;   in Loop: Header=BB1_5 Depth=1
	s_or_b64 exec, exec, s[30:31]
.LBB1_26:                               ;   in Loop: Header=BB1_5 Depth=1
	s_or_b64 exec, exec, s[28:29]
.LBB1_27:                               ;   in Loop: Header=BB1_5 Depth=1
	s_or_b64 exec, exec, s[26:27]
.LBB1_28:                               ;   in Loop: Header=BB1_5 Depth=1
	s_or_b64 exec, exec, s[24:25]
.LBB1_29:                               ;   in Loop: Header=BB1_5 Depth=1
	s_or_b64 exec, exec, s[22:23]
.LBB1_30:                               ;   in Loop: Header=BB1_5 Depth=1
	s_or_b64 exec, exec, s[20:21]
.LBB1_31:                               ;   in Loop: Header=BB1_5 Depth=1
	s_or_b64 exec, exec, s[18:19]
.LBB1_32:                               ;   in Loop: Header=BB1_5 Depth=1
	s_or_b64 exec, exec, s[16:17]
.LBB1_33:                               ;   in Loop: Header=BB1_5 Depth=1
	s_or_b64 exec, exec, s[14:15]
.LBB1_34:                               ;   in Loop: Header=BB1_5 Depth=1
	s_or_b64 exec, exec, s[4:5]
	v_and_b32_e32 v2, 0x60, v7
	v_add_u32_e32 v9, 32, v2
	v_xor_b32_e32 v2, 16, v7
	v_cmp_lt_i32_e32 vcc, v2, v9
	v_xor_b32_e32 v11, 1, v7
	s_nop 0
	v_cndmask_b32_e32 v2, v7, v2, vcc
	v_lshlrev_b32_e32 v2, 2, v2
	ds_bpermute_b32 v4, v2, v5
	v_cmp_ne_u32_e32 vcc, 0, v5
	s_waitcnt lgkmcnt(0)
	v_cmp_ne_u32_e64 s[4:5], 0, v4
	v_xor_b32_e32 v4, 8, v7
	s_and_b64 s[4:5], vcc, s[4:5]
	v_cmp_lt_i32_e32 vcc, v4, v9
	v_cndmask_b32_e64 v5, 0, 1, s[4:5]
	s_nop 0
	v_cndmask_b32_e32 v4, v7, v4, vcc
	v_lshlrev_b32_e32 v4, 2, v4
	ds_bpermute_b32 v5, v4, v5
	s_waitcnt lgkmcnt(0)
	v_cmp_ne_u32_e32 vcc, 0, v5
	v_xor_b32_e32 v5, 4, v7
	s_and_b64 s[4:5], vcc, s[4:5]
	v_cmp_lt_i32_e32 vcc, v5, v9
	v_cndmask_b32_e64 v8, 0, 1, s[4:5]
	s_nop 0
	v_cndmask_b32_e32 v5, v7, v5, vcc
	v_lshlrev_b32_e32 v5, 2, v5
	ds_bpermute_b32 v8, v5, v8
	s_waitcnt lgkmcnt(0)
	v_cmp_ne_u32_e32 vcc, 0, v8
	;; [unrolled: 10-line block ×3, first 2 shown]
	s_and_b64 s[4:5], vcc, s[4:5]
	v_cmp_lt_i32_e32 vcc, v11, v9
	v_cndmask_b32_e64 v10, 0, 1, s[4:5]
	s_nop 0
	v_cndmask_b32_e32 v9, v7, v11, vcc
	v_lshlrev_b32_e32 v9, 2, v9
	ds_bpermute_b32 v10, v9, v10
	s_and_saveexec_b64 s[14:15], s[0:1]
	s_cbranch_execz .LBB1_3
; %bb.35:                               ;   in Loop: Header=BB1_5 Depth=1
	s_waitcnt lgkmcnt(0)
	v_cmp_ne_u32_e32 vcc, 0, v10
	s_and_b64 s[4:5], vcc, s[4:5]
	v_cndmask_b32_e64 v10, 0, 1, s[4:5]
	ds_write_b32 v1, v10
	s_branch .LBB1_3
.LBB1_36:
	s_or_b64 exec, exec, s[12:13]
	v_cmp_eq_u32_e32 vcc, 0, v0
	s_and_saveexec_b64 s[0:1], vcc
	s_cbranch_execz .LBB1_38
; %bb.37:
	s_mul_i32 s0, s33, s3
	s_add_i32 s0, s0, s2
	s_ashr_i32 s1, s0, 31
	s_lshl_b64 s[0:1], s[0:1], 2
	s_add_u32 s0, s6, s0
	s_addc_u32 s1, s7, s1
	v_mov_b32_e32 v0, 0
	global_store_dword v0, v2, s[0:1]
.LBB1_38:
	s_endpgm
	.section	.rodata,"a",@progbits
	.p2align	6, 0x0
	.amdhsa_kernel _ZL25flash_attn_mask_to_KV_maxILi8EEvPK7__half2Piiii
		.amdhsa_group_segment_fixed_size 128
		.amdhsa_private_segment_fixed_size 0
		.amdhsa_kernarg_size 288
		.amdhsa_user_sgpr_count 2
		.amdhsa_user_sgpr_dispatch_ptr 0
		.amdhsa_user_sgpr_queue_ptr 0
		.amdhsa_user_sgpr_kernarg_segment_ptr 1
		.amdhsa_user_sgpr_dispatch_id 0
		.amdhsa_user_sgpr_kernarg_preload_length 0
		.amdhsa_user_sgpr_kernarg_preload_offset 0
		.amdhsa_user_sgpr_private_segment_size 0
		.amdhsa_uses_dynamic_stack 0
		.amdhsa_enable_private_segment 0
		.amdhsa_system_sgpr_workgroup_id_x 1
		.amdhsa_system_sgpr_workgroup_id_y 1
		.amdhsa_system_sgpr_workgroup_id_z 0
		.amdhsa_system_sgpr_workgroup_info 0
		.amdhsa_system_vgpr_workitem_id 0
		.amdhsa_next_free_vgpr 12
		.amdhsa_next_free_sgpr 46
		.amdhsa_accum_offset 12
		.amdhsa_reserve_vcc 1
		.amdhsa_float_round_mode_32 0
		.amdhsa_float_round_mode_16_64 0
		.amdhsa_float_denorm_mode_32 3
		.amdhsa_float_denorm_mode_16_64 3
		.amdhsa_dx10_clamp 1
		.amdhsa_ieee_mode 1
		.amdhsa_fp16_overflow 0
		.amdhsa_tg_split 0
		.amdhsa_exception_fp_ieee_invalid_op 0
		.amdhsa_exception_fp_denorm_src 0
		.amdhsa_exception_fp_ieee_div_zero 0
		.amdhsa_exception_fp_ieee_overflow 0
		.amdhsa_exception_fp_ieee_underflow 0
		.amdhsa_exception_fp_ieee_inexact 0
		.amdhsa_exception_int_div_zero 0
	.end_amdhsa_kernel
	.section	.text._ZL25flash_attn_mask_to_KV_maxILi8EEvPK7__half2Piiii,"axG",@progbits,_ZL25flash_attn_mask_to_KV_maxILi8EEvPK7__half2Piiii,comdat
.Lfunc_end1:
	.size	_ZL25flash_attn_mask_to_KV_maxILi8EEvPK7__half2Piiii, .Lfunc_end1-_ZL25flash_attn_mask_to_KV_maxILi8EEvPK7__half2Piiii
                                        ; -- End function
	.set _ZL25flash_attn_mask_to_KV_maxILi8EEvPK7__half2Piiii.num_vgpr, 12
	.set _ZL25flash_attn_mask_to_KV_maxILi8EEvPK7__half2Piiii.num_agpr, 0
	.set _ZL25flash_attn_mask_to_KV_maxILi8EEvPK7__half2Piiii.numbered_sgpr, 46
	.set _ZL25flash_attn_mask_to_KV_maxILi8EEvPK7__half2Piiii.num_named_barrier, 0
	.set _ZL25flash_attn_mask_to_KV_maxILi8EEvPK7__half2Piiii.private_seg_size, 0
	.set _ZL25flash_attn_mask_to_KV_maxILi8EEvPK7__half2Piiii.uses_vcc, 1
	.set _ZL25flash_attn_mask_to_KV_maxILi8EEvPK7__half2Piiii.uses_flat_scratch, 0
	.set _ZL25flash_attn_mask_to_KV_maxILi8EEvPK7__half2Piiii.has_dyn_sized_stack, 0
	.set _ZL25flash_attn_mask_to_KV_maxILi8EEvPK7__half2Piiii.has_recursion, 0
	.set _ZL25flash_attn_mask_to_KV_maxILi8EEvPK7__half2Piiii.has_indirect_call, 0
	.section	.AMDGPU.csdata,"",@progbits
; Kernel info:
; codeLenInByte = 1292
; TotalNumSgprs: 52
; NumVgprs: 12
; NumAgprs: 0
; TotalNumVgprs: 12
; ScratchSize: 0
; MemoryBound: 0
; FloatMode: 240
; IeeeMode: 1
; LDSByteSize: 128 bytes/workgroup (compile time only)
; SGPRBlocks: 6
; VGPRBlocks: 1
; NumSGPRsForWavesPerEU: 52
; NumVGPRsForWavesPerEU: 12
; AccumOffset: 12
; Occupancy: 8
; WaveLimiterHint : 0
; COMPUTE_PGM_RSRC2:SCRATCH_EN: 0
; COMPUTE_PGM_RSRC2:USER_SGPR: 2
; COMPUTE_PGM_RSRC2:TRAP_HANDLER: 0
; COMPUTE_PGM_RSRC2:TGID_X_EN: 1
; COMPUTE_PGM_RSRC2:TGID_Y_EN: 1
; COMPUTE_PGM_RSRC2:TGID_Z_EN: 0
; COMPUTE_PGM_RSRC2:TIDIG_COMP_CNT: 0
; COMPUTE_PGM_RSRC3_GFX90A:ACCUM_OFFSET: 2
; COMPUTE_PGM_RSRC3_GFX90A:TG_SPLIT: 0
	.section	.text._ZL33flash_attn_stream_k_fixup_uniformILi64ELi8ELi8EEvPfPK15HIP_vector_typeIfLj2EEiiiiiiS1_IjLj3EES5_S5_,"axG",@progbits,_ZL33flash_attn_stream_k_fixup_uniformILi64ELi8ELi8EEvPfPK15HIP_vector_typeIfLj2EEiiiiiiS1_IjLj3EES5_S5_,comdat
	.globl	_ZL33flash_attn_stream_k_fixup_uniformILi64ELi8ELi8EEvPfPK15HIP_vector_typeIfLj2EEiiiiiiS1_IjLj3EES5_S5_ ; -- Begin function _ZL33flash_attn_stream_k_fixup_uniformILi64ELi8ELi8EEvPfPK15HIP_vector_typeIfLj2EEiiiiiiS1_IjLj3EES5_S5_
	.p2align	8
	.type	_ZL33flash_attn_stream_k_fixup_uniformILi64ELi8ELi8EEvPfPK15HIP_vector_typeIfLj2EEiiiiiiS1_IjLj3EES5_S5_,@function
_ZL33flash_attn_stream_k_fixup_uniformILi64ELi8ELi8EEvPfPK15HIP_vector_typeIfLj2EEiiiiiiS1_IjLj3EES5_S5_: ; @_ZL33flash_attn_stream_k_fixup_uniformILi64ELi8ELi8EEvPfPK15HIP_vector_typeIfLj2EEiiiiiiS1_IjLj3EES5_S5_
; %bb.0:
	s_load_dwordx8 s[8:15], s[0:1], 0x1c
	s_load_dwordx2 s[6:7], s[0:1], 0x10
	s_load_dwordx4 s[20:23], s[0:1], 0x3c
	s_waitcnt lgkmcnt(0)
	s_mul_hi_u32 s5, s11, s2
	s_add_i32 s5, s2, s5
	s_lshr_b32 s5, s5, s12
	s_mul_i32 s11, s5, s13
	s_sub_i32 s11, s2, s11
	s_mul_hi_u32 s12, s11, s14
	s_add_i32 s12, s11, s12
	s_lshr_b32 s16, s12, s15
	s_mul_i32 s12, s16, s20
	s_sub_i32 s11, s11, s12
	;; [unrolled: 5-line block ×3, first 2 shown]
	s_lshl_b32 s11, s12, 3
	s_lshl_b32 s12, s17, 3
	s_add_i32 s12, s12, s3
	s_cmp_lt_i32 s12, s6
	s_cselect_b64 s[12:13], -1, 0
	s_add_i32 s14, s11, s4
	s_cmp_lt_i32 s14, s9
	s_cselect_b64 s[14:15], -1, 0
	s_and_b64 s[12:13], s[12:13], s[14:15]
	s_andn2_b64 vcc, exec, s[12:13]
	s_cbranch_vccnz .LBB2_6
; %bb.1:
	s_load_dwordx4 s[12:15], s[0:1], 0x0
	s_mul_i32 s0, s5, s6
	s_add_i32 s0, s0, s3
	s_mul_i32 s0, s0, s7
	s_mul_i32 s16, s16, s9
	s_add_i32 s0, s0, s4
	s_add_i32 s0, s0, s16
	s_mul_i32 s1, s7, s17
	s_add_i32 s0, s0, s11
	s_lshl_b32 s1, s1, 9
	s_lshl_b32 s0, s0, 6
	s_add_i32 s1, s1, s0
	v_or_b32_e32 v4, s1, v0
	s_waitcnt lgkmcnt(0)
	v_mov_b32_e32 v2, s12
	v_mov_b32_e32 v3, s13
	v_ashrrev_i32_e32 v5, 31, v4
	v_lshl_add_u64 v[2:3], v[4:5], 2, v[2:3]
	global_load_dword v5, v[2:3], off
	s_mul_i32 s5, s10, s2
	s_lshl_b32 s11, s3, 3
	s_add_i32 s9, s5, s10
	s_add_i32 s0, s11, s4
	s_lshl_b32 s1, s9, 6
	s_add_i32 s0, s0, s1
	s_sub_i32 s0, s0, 64
	s_ashr_i32 s1, s0, 31
	s_lshl_b64 s[0:1], s[0:1], 3
	s_add_u32 s0, s14, s0
	s_addc_u32 s1, s15, s1
	s_load_dword s12, s[0:1], 0x4
	s_add_i32 s6, s9, -2
	s_cmp_lt_i32 s6, s5
	s_cbranch_scc1 .LBB2_4
; %bb.2:
	s_lshl_b32 s6, s8, 8
	s_ashr_i32 s7, s6, 31
	s_lshl_b64 s[6:7], s[6:7], 2
	s_add_u32 s6, s14, s6
	s_addc_u32 s7, s15, s7
	s_add_i32 s2, s2, 1
	s_load_dword s0, s[0:1], 0x0
	s_mul_i32 s1, s10, s2
	s_lshl_b32 s3, s3, 9
	s_lshl_b32 s10, s4, 6
	s_lshl_b32 s2, s1, 12
	s_add_i32 s3, s10, s3
	s_lshl_b32 s1, s1, 6
	s_add_i32 s3, s3, s2
	s_add_i32 s1, s4, s1
	s_lshl_b32 s2, s8, 6
	s_add_i32 s1, s1, s2
	v_or_b32_e32 v0, s3, v0
	s_add_i32 s1, s1, s11
	s_add_i32 s9, s9, -1
	v_add_u32_e32 v0, 0xffffe000, v0
	s_add_i32 s2, s1, 0xffffff80
	s_waitcnt lgkmcnt(0)
	v_mov_b32_e32 v7, s0
	v_mov_b32_e32 v4, s12
	s_mov_b32 s4, 0x3fb8aa3b
	s_mov_b32 s8, 0xc2ce8ed0
	;; [unrolled: 1-line block ×3, first 2 shown]
	v_mov_b32_e32 v6, 0x7f800000
	s_mov_b32 s11, 0xc1a00000
.LBB2_3:                                ; =>This Inner Loop Header: Depth=1
	v_ashrrev_i32_e32 v1, 31, v0
	v_lshl_add_u64 v[8:9], v[0:1], 2, s[6:7]
	global_load_dword v9, v[8:9], off
	s_ashr_i32 s3, s2, 31
	s_lshl_b64 s[0:1], s[2:3], 3
	s_add_u32 s0, s14, s0
	s_addc_u32 s1, s15, s1
	s_load_dwordx2 s[0:1], s[0:1], 0x0
	v_max_f32_e32 v1, v7, v7
	s_add_i32 s9, s9, -1
	s_sub_i32 s2, s2, 64
	v_add_u32_e32 v0, 0xfffff000, v0
	s_waitcnt lgkmcnt(0)
	v_max_f32_e64 v10, s0, s0
	v_max_f32_e32 v1, v1, v10
	v_sub_f32_e32 v11, s0, v1
	v_sub_f32_e32 v10, v7, v1
	v_mul_f32_e32 v12, 0x3fb8aa3b, v11
	v_mov_b32_e32 v7, v1
	v_mul_f32_e32 v1, 0x3fb8aa3b, v10
	v_fma_f32 v15, v11, s4, -v12
	v_rndne_f32_e32 v16, v12
	v_fma_f32 v13, v10, s4, -v1
	v_rndne_f32_e32 v14, v1
	v_fmac_f32_e32 v15, 0x32a5705f, v11
	v_sub_f32_e32 v12, v12, v16
	v_fmac_f32_e32 v13, 0x32a5705f, v10
	v_sub_f32_e32 v1, v1, v14
	v_add_f32_e32 v12, v12, v15
	v_cvt_i32_f32_e32 v16, v16
	v_add_f32_e32 v1, v1, v13
	v_exp_f32_e32 v12, v12
	v_cvt_i32_f32_e32 v14, v14
	v_exp_f32_e32 v1, v1
	v_cmp_ngt_f32_e32 vcc, s8, v11
	v_ldexp_f32 v12, v12, v16
	v_mov_b32_e32 v8, s1
	v_ldexp_f32 v1, v1, v14
	v_cmp_ngt_f32_e64 s[0:1], s8, v10
	v_cndmask_b32_e32 v12, 0, v12, vcc
	v_cmp_nlt_f32_e32 vcc, s10, v11
	v_cndmask_b32_e64 v1, 0, v1, s[0:1]
	v_cmp_nlt_f32_e64 s[0:1], s10, v10
	v_cndmask_b32_e32 v12, v6, v12, vcc
	v_cmp_le_f32_e32 vcc, s11, v11
	v_cndmask_b32_e64 v1, v6, v1, s[0:1]
	v_cmp_le_f32_e64 s[0:1], s11, v10
	v_cndmask_b32_e32 v12, 0, v12, vcc
	s_cmp_le_i32 s9, s5
	v_cndmask_b32_e64 v10, 0, v1, s[0:1]
	s_waitcnt vmcnt(0)
	v_pk_mul_f32 v[8:9], v[8:9], v[12:13] op_sel_hi:[1,0]
	s_nop 0
	v_pk_fma_f32 v[4:5], v[4:5], v[10:11], v[8:9] op_sel_hi:[1,0,1]
	s_cbranch_scc0 .LBB2_3
	s_branch .LBB2_5
.LBB2_4:
	s_waitcnt lgkmcnt(0)
	v_mov_b32_e32 v4, s12
.LBB2_5:
	s_waitcnt vmcnt(0)
	v_div_scale_f32 v0, s[0:1], v4, v4, v5
	v_rcp_f32_e32 v1, v0
	v_div_scale_f32 v6, vcc, v5, v4, v5
	v_fma_f32 v7, -v0, v1, 1.0
	v_fmac_f32_e32 v1, v7, v1
	v_mul_f32_e32 v7, v6, v1
	v_fma_f32 v8, -v0, v7, v6
	v_fmac_f32_e32 v7, v8, v1
	v_fma_f32 v0, -v0, v7, v6
	v_div_fmas_f32 v0, v0, v1, v7
	v_div_fixup_f32 v0, v0, v4, v5
	global_store_dword v[2:3], v0, off
.LBB2_6:
	s_endpgm
	.section	.rodata,"a",@progbits
	.p2align	6, 0x0
	.amdhsa_kernel _ZL33flash_attn_stream_k_fixup_uniformILi64ELi8ELi8EEvPfPK15HIP_vector_typeIfLj2EEiiiiiiS1_IjLj3EES5_S5_
		.amdhsa_group_segment_fixed_size 0
		.amdhsa_private_segment_fixed_size 0
		.amdhsa_kernarg_size 76
		.amdhsa_user_sgpr_count 2
		.amdhsa_user_sgpr_dispatch_ptr 0
		.amdhsa_user_sgpr_queue_ptr 0
		.amdhsa_user_sgpr_kernarg_segment_ptr 1
		.amdhsa_user_sgpr_dispatch_id 0
		.amdhsa_user_sgpr_kernarg_preload_length 0
		.amdhsa_user_sgpr_kernarg_preload_offset 0
		.amdhsa_user_sgpr_private_segment_size 0
		.amdhsa_uses_dynamic_stack 0
		.amdhsa_enable_private_segment 0
		.amdhsa_system_sgpr_workgroup_id_x 1
		.amdhsa_system_sgpr_workgroup_id_y 1
		.amdhsa_system_sgpr_workgroup_id_z 1
		.amdhsa_system_sgpr_workgroup_info 0
		.amdhsa_system_vgpr_workitem_id 0
		.amdhsa_next_free_vgpr 17
		.amdhsa_next_free_sgpr 24
		.amdhsa_accum_offset 20
		.amdhsa_reserve_vcc 1
		.amdhsa_float_round_mode_32 0
		.amdhsa_float_round_mode_16_64 0
		.amdhsa_float_denorm_mode_32 3
		.amdhsa_float_denorm_mode_16_64 3
		.amdhsa_dx10_clamp 1
		.amdhsa_ieee_mode 1
		.amdhsa_fp16_overflow 0
		.amdhsa_tg_split 0
		.amdhsa_exception_fp_ieee_invalid_op 0
		.amdhsa_exception_fp_denorm_src 0
		.amdhsa_exception_fp_ieee_div_zero 0
		.amdhsa_exception_fp_ieee_overflow 0
		.amdhsa_exception_fp_ieee_underflow 0
		.amdhsa_exception_fp_ieee_inexact 0
		.amdhsa_exception_int_div_zero 0
	.end_amdhsa_kernel
	.section	.text._ZL33flash_attn_stream_k_fixup_uniformILi64ELi8ELi8EEvPfPK15HIP_vector_typeIfLj2EEiiiiiiS1_IjLj3EES5_S5_,"axG",@progbits,_ZL33flash_attn_stream_k_fixup_uniformILi64ELi8ELi8EEvPfPK15HIP_vector_typeIfLj2EEiiiiiiS1_IjLj3EES5_S5_,comdat
.Lfunc_end2:
	.size	_ZL33flash_attn_stream_k_fixup_uniformILi64ELi8ELi8EEvPfPK15HIP_vector_typeIfLj2EEiiiiiiS1_IjLj3EES5_S5_, .Lfunc_end2-_ZL33flash_attn_stream_k_fixup_uniformILi64ELi8ELi8EEvPfPK15HIP_vector_typeIfLj2EEiiiiiiS1_IjLj3EES5_S5_
                                        ; -- End function
	.set _ZL33flash_attn_stream_k_fixup_uniformILi64ELi8ELi8EEvPfPK15HIP_vector_typeIfLj2EEiiiiiiS1_IjLj3EES5_S5_.num_vgpr, 17
	.set _ZL33flash_attn_stream_k_fixup_uniformILi64ELi8ELi8EEvPfPK15HIP_vector_typeIfLj2EEiiiiiiS1_IjLj3EES5_S5_.num_agpr, 0
	.set _ZL33flash_attn_stream_k_fixup_uniformILi64ELi8ELi8EEvPfPK15HIP_vector_typeIfLj2EEiiiiiiS1_IjLj3EES5_S5_.numbered_sgpr, 24
	.set _ZL33flash_attn_stream_k_fixup_uniformILi64ELi8ELi8EEvPfPK15HIP_vector_typeIfLj2EEiiiiiiS1_IjLj3EES5_S5_.num_named_barrier, 0
	.set _ZL33flash_attn_stream_k_fixup_uniformILi64ELi8ELi8EEvPfPK15HIP_vector_typeIfLj2EEiiiiiiS1_IjLj3EES5_S5_.private_seg_size, 0
	.set _ZL33flash_attn_stream_k_fixup_uniformILi64ELi8ELi8EEvPfPK15HIP_vector_typeIfLj2EEiiiiiiS1_IjLj3EES5_S5_.uses_vcc, 1
	.set _ZL33flash_attn_stream_k_fixup_uniformILi64ELi8ELi8EEvPfPK15HIP_vector_typeIfLj2EEiiiiiiS1_IjLj3EES5_S5_.uses_flat_scratch, 0
	.set _ZL33flash_attn_stream_k_fixup_uniformILi64ELi8ELi8EEvPfPK15HIP_vector_typeIfLj2EEiiiiiiS1_IjLj3EES5_S5_.has_dyn_sized_stack, 0
	.set _ZL33flash_attn_stream_k_fixup_uniformILi64ELi8ELi8EEvPfPK15HIP_vector_typeIfLj2EEiiiiiiS1_IjLj3EES5_S5_.has_recursion, 0
	.set _ZL33flash_attn_stream_k_fixup_uniformILi64ELi8ELi8EEvPfPK15HIP_vector_typeIfLj2EEiiiiiiS1_IjLj3EES5_S5_.has_indirect_call, 0
	.section	.AMDGPU.csdata,"",@progbits
; Kernel info:
; codeLenInByte = 840
; TotalNumSgprs: 30
; NumVgprs: 17
; NumAgprs: 0
; TotalNumVgprs: 17
; ScratchSize: 0
; MemoryBound: 0
; FloatMode: 240
; IeeeMode: 1
; LDSByteSize: 0 bytes/workgroup (compile time only)
; SGPRBlocks: 3
; VGPRBlocks: 2
; NumSGPRsForWavesPerEU: 30
; NumVGPRsForWavesPerEU: 17
; AccumOffset: 20
; Occupancy: 8
; WaveLimiterHint : 0
; COMPUTE_PGM_RSRC2:SCRATCH_EN: 0
; COMPUTE_PGM_RSRC2:USER_SGPR: 2
; COMPUTE_PGM_RSRC2:TRAP_HANDLER: 0
; COMPUTE_PGM_RSRC2:TGID_X_EN: 1
; COMPUTE_PGM_RSRC2:TGID_Y_EN: 1
; COMPUTE_PGM_RSRC2:TGID_Z_EN: 1
; COMPUTE_PGM_RSRC2:TIDIG_COMP_CNT: 0
; COMPUTE_PGM_RSRC3_GFX90A:ACCUM_OFFSET: 4
; COMPUTE_PGM_RSRC3_GFX90A:TG_SPLIT: 0
	.section	.text._ZL33flash_attn_stream_k_fixup_generalILi64ELi8ELi8EEvPfPK15HIP_vector_typeIfLj2EEiiiiS1_IjLj3EES5_S5_S5_,"axG",@progbits,_ZL33flash_attn_stream_k_fixup_generalILi64ELi8ELi8EEvPfPK15HIP_vector_typeIfLj2EEiiiiS1_IjLj3EES5_S5_S5_,comdat
	.globl	_ZL33flash_attn_stream_k_fixup_generalILi64ELi8ELi8EEvPfPK15HIP_vector_typeIfLj2EEiiiiS1_IjLj3EES5_S5_S5_ ; -- Begin function _ZL33flash_attn_stream_k_fixup_generalILi64ELi8ELi8EEvPfPK15HIP_vector_typeIfLj2EEiiiiS1_IjLj3EES5_S5_S5_
	.p2align	8
	.type	_ZL33flash_attn_stream_k_fixup_generalILi64ELi8ELi8EEvPfPK15HIP_vector_typeIfLj2EEiiiiS1_IjLj3EES5_S5_S5_,@function
_ZL33flash_attn_stream_k_fixup_generalILi64ELi8ELi8EEvPfPK15HIP_vector_typeIfLj2EEiiiiS1_IjLj3EES5_S5_S5_: ; @_ZL33flash_attn_stream_k_fixup_generalILi64ELi8ELi8EEvPfPK15HIP_vector_typeIfLj2EEiiiiS1_IjLj3EES5_S5_S5_
; %bb.0:
	s_load_dwordx4 s[8:11], s[0:1], 0x10
	s_load_dword s22, s[0:1], 0x50
	s_mov_b32 s12, 0
	s_waitcnt lgkmcnt(0)
	s_mul_hi_i32 s13, s11, s2
	s_cmp_lg_u64 s[12:13], 0
	s_mul_i32 s5, s11, s2
	s_cbranch_scc0 .LBB3_20
; %bb.1:
	s_add_u32 s6, s22, 0
	s_addc_u32 s7, 0, 0
	s_xor_b64 s[6:7], s[6:7], 0
	v_cvt_f32_u32_e32 v1, s6
	v_cvt_f32_u32_e32 v2, s7
	s_sub_u32 s12, 0, s6
	s_subb_u32 s18, 0, s7
	v_fmamk_f32 v1, v2, 0x4f800000, v1
	v_rcp_f32_e32 v1, v1
	s_nop 0
	v_mul_f32_e32 v1, 0x5f7ffffc, v1
	v_mul_f32_e32 v2, 0x2f800000, v1
	v_trunc_f32_e32 v2, v2
	v_fmamk_f32 v1, v2, 0xcf800000, v1
	v_cvt_u32_f32_e32 v2, v2
	v_cvt_u32_f32_e32 v1, v1
	v_readfirstlane_b32 s19, v2
	v_readfirstlane_b32 s14, v1
	s_mul_i32 s15, s12, s19
	s_mul_hi_u32 s21, s12, s14
	s_mul_i32 s20, s18, s14
	s_add_i32 s15, s21, s15
	s_add_i32 s15, s15, s20
	s_mul_i32 s23, s12, s14
	s_mul_i32 s21, s14, s15
	s_mul_hi_u32 s24, s14, s23
	s_mul_hi_u32 s20, s14, s15
	s_add_u32 s21, s24, s21
	s_addc_u32 s20, 0, s20
	s_mul_hi_u32 s25, s19, s23
	s_mul_i32 s23, s19, s23
	s_add_u32 s21, s21, s23
	s_mul_hi_u32 s24, s19, s15
	s_addc_u32 s20, s20, s25
	s_addc_u32 s21, s24, 0
	s_mul_i32 s15, s19, s15
	s_add_u32 s15, s20, s15
	s_addc_u32 s20, 0, s21
	s_add_u32 s21, s14, s15
	s_cselect_b64 s[14:15], -1, 0
	s_cmp_lg_u64 s[14:15], 0
	s_addc_u32 s19, s19, s20
	s_mul_i32 s14, s12, s19
	s_mul_hi_u32 s15, s12, s21
	s_add_i32 s14, s15, s14
	s_mul_i32 s18, s18, s21
	s_add_i32 s14, s14, s18
	s_mul_i32 s12, s12, s21
	s_mul_hi_u32 s18, s19, s12
	s_mul_i32 s20, s19, s12
	s_mul_i32 s24, s21, s14
	s_mul_hi_u32 s12, s21, s12
	s_mul_hi_u32 s23, s21, s14
	s_add_u32 s12, s12, s24
	s_addc_u32 s23, 0, s23
	s_add_u32 s12, s12, s20
	s_mul_hi_u32 s15, s19, s14
	s_addc_u32 s12, s23, s18
	s_addc_u32 s15, s15, 0
	s_mul_i32 s14, s19, s14
	s_add_u32 s12, s12, s14
	s_addc_u32 s18, 0, s15
	s_add_u32 s20, s21, s12
	s_cselect_b64 s[14:15], -1, 0
	s_cmp_lg_u64 s[14:15], 0
	s_addc_u32 s18, s19, s18
	s_ashr_i32 s14, s13, 31
	s_add_u32 s12, s5, s14
	s_mov_b32 s15, s14
	s_addc_u32 s13, s13, s14
	s_xor_b64 s[12:13], s[12:13], s[14:15]
	s_mul_i32 s21, s12, s18
	s_mul_hi_u32 s23, s12, s20
	s_mul_hi_u32 s19, s12, s18
	s_add_u32 s21, s23, s21
	s_addc_u32 s19, 0, s19
	s_mul_hi_u32 s24, s13, s20
	s_mul_i32 s20, s13, s20
	s_add_u32 s20, s21, s20
	s_mul_hi_u32 s23, s13, s18
	s_addc_u32 s19, s19, s24
	s_addc_u32 s20, s23, 0
	s_mul_i32 s18, s13, s18
	s_add_u32 s23, s19, s18
	s_addc_u32 s24, 0, s20
	s_mul_i32 s18, s6, s24
	s_mul_hi_u32 s19, s6, s23
	s_add_i32 s18, s19, s18
	s_mul_i32 s19, s7, s23
	s_add_i32 s25, s18, s19
	s_sub_i32 s20, s13, s25
	s_mul_i32 s18, s6, s23
	s_sub_u32 s12, s12, s18
	s_cselect_b64 s[18:19], -1, 0
	s_cmp_lg_u64 s[18:19], 0
	s_subb_u32 s26, s20, s7
	s_sub_u32 s27, s12, s6
	s_cselect_b64 s[20:21], -1, 0
	s_cmp_lg_u64 s[20:21], 0
	s_subb_u32 s20, s26, 0
	s_cmp_ge_u32 s20, s7
	s_cselect_b32 s21, -1, 0
	s_cmp_ge_u32 s27, s6
	s_cselect_b32 s26, -1, 0
	s_cmp_eq_u32 s20, s7
	s_cselect_b32 s20, s26, s21
	s_add_u32 s21, s23, 1
	s_addc_u32 s26, s24, 0
	s_add_u32 s27, s23, 2
	s_addc_u32 s28, s24, 0
	s_cmp_lg_u32 s20, 0
	s_cselect_b32 s20, s27, s21
	s_cselect_b32 s21, s28, s26
	s_cmp_lg_u64 s[18:19], 0
	s_subb_u32 s13, s13, s25
	s_cmp_ge_u32 s13, s7
	s_cselect_b32 s18, -1, 0
	s_cmp_ge_u32 s12, s6
	s_cselect_b32 s6, -1, 0
	s_cmp_eq_u32 s13, s7
	s_cselect_b32 s6, s6, s18
	s_cmp_lg_u32 s6, 0
	s_cselect_b32 s7, s21, s24
	s_cselect_b32 s6, s20, s23
	s_xor_b64 s[12:13], s[14:15], 0
	s_xor_b64 s[6:7], s[6:7], s[12:13]
	s_sub_u32 s6, s6, s12
	s_load_dwordx4 s[12:15], s[0:1], 0x44
	s_cbranch_execnz .LBB3_3
.LBB3_2:
	v_cvt_f32_u32_e32 v1, s22
	s_sub_i32 s6, 0, s22
	v_rcp_iflag_f32_e32 v1, v1
	s_nop 0
	v_mul_f32_e32 v1, 0x4f7ffffe, v1
	v_cvt_u32_f32_e32 v1, v1
	s_nop 0
	v_readfirstlane_b32 s7, v1
	s_mul_i32 s6, s6, s7
	s_mul_hi_u32 s6, s7, s6
	s_add_i32 s7, s7, s6
	s_mul_hi_u32 s6, s5, s7
	s_waitcnt lgkmcnt(0)
	s_mul_i32 s15, s6, s22
	s_sub_i32 s5, s5, s15
	s_add_i32 s7, s6, 1
	s_sub_i32 s15, s5, s22
	s_cmp_ge_u32 s5, s22
	s_cselect_b32 s6, s7, s6
	s_cselect_b32 s5, s15, s5
	s_add_i32 s7, s6, 1
	s_cmp_ge_u32 s5, s22
	s_cselect_b32 s6, s7, s6
.LBB3_3:
	s_add_i32 s5, s2, 1
	s_mul_hi_i32 s21, s11, s5
	s_mov_b32 s20, 0
	s_cmp_lg_u64 s[20:21], 0
	s_mul_i32 s5, s11, s5
	s_cbranch_scc0 .LBB3_21
; %bb.4:
	s_add_u32 s16, s22, 0
	s_addc_u32 s17, 0, 0
	s_xor_b64 s[18:19], s[16:17], 0
	v_cvt_f32_u32_e32 v1, s18
	v_cvt_f32_u32_e32 v2, s19
	s_sub_u32 s7, 0, s18
	s_waitcnt lgkmcnt(0)
	s_subb_u32 s15, 0, s19
	v_fmamk_f32 v1, v2, 0x4f800000, v1
	v_rcp_f32_e32 v1, v1
	s_nop 0
	v_mul_f32_e32 v1, 0x5f7ffffc, v1
	v_mul_f32_e32 v2, 0x2f800000, v1
	v_trunc_f32_e32 v2, v2
	v_fmamk_f32 v1, v2, 0xcf800000, v1
	v_cvt_u32_f32_e32 v2, v2
	v_cvt_u32_f32_e32 v1, v1
	v_readfirstlane_b32 s20, v2
	v_readfirstlane_b32 s23, v1
	s_mul_i32 s24, s7, s20
	s_mul_hi_u32 s26, s7, s23
	s_mul_i32 s25, s15, s23
	s_add_i32 s24, s26, s24
	s_add_i32 s24, s24, s25
	s_mul_i32 s27, s7, s23
	s_mul_i32 s26, s23, s24
	s_mul_hi_u32 s28, s23, s27
	s_mul_hi_u32 s25, s23, s24
	s_add_u32 s26, s28, s26
	s_addc_u32 s25, 0, s25
	s_mul_hi_u32 s29, s20, s27
	s_mul_i32 s27, s20, s27
	s_add_u32 s26, s26, s27
	s_mul_hi_u32 s28, s20, s24
	s_addc_u32 s25, s25, s29
	s_addc_u32 s26, s28, 0
	s_mul_i32 s24, s20, s24
	s_add_u32 s24, s25, s24
	s_addc_u32 s26, 0, s26
	s_add_u32 s23, s23, s24
	s_cselect_b64 s[24:25], -1, 0
	s_cmp_lg_u64 s[24:25], 0
	s_addc_u32 s20, s20, s26
	s_mul_i32 s24, s7, s20
	s_mul_hi_u32 s25, s7, s23
	s_add_i32 s24, s25, s24
	s_mul_i32 s15, s15, s23
	s_add_i32 s24, s24, s15
	s_mul_i32 s7, s7, s23
	s_mul_hi_u32 s25, s20, s7
	s_mul_i32 s26, s20, s7
	s_mul_i32 s28, s23, s24
	s_mul_hi_u32 s7, s23, s7
	s_mul_hi_u32 s27, s23, s24
	s_add_u32 s7, s7, s28
	s_addc_u32 s27, 0, s27
	s_add_u32 s7, s7, s26
	s_mul_hi_u32 s15, s20, s24
	s_addc_u32 s7, s27, s25
	s_addc_u32 s15, s15, 0
	s_mul_i32 s24, s20, s24
	s_add_u32 s7, s7, s24
	s_addc_u32 s15, 0, s15
	s_add_u32 s7, s23, s7
	s_cselect_b64 s[24:25], -1, 0
	s_cmp_lg_u64 s[24:25], 0
	s_addc_u32 s15, s20, s15
	s_ashr_i32 s24, s21, 31
	s_add_u32 s20, s5, s24
	s_mov_b32 s25, s24
	s_addc_u32 s21, s21, s24
	s_xor_b64 s[20:21], s[20:21], s[24:25]
	s_mul_i32 s26, s20, s15
	s_mul_hi_u32 s27, s20, s7
	s_mul_hi_u32 s23, s20, s15
	s_add_u32 s26, s27, s26
	s_addc_u32 s23, 0, s23
	s_mul_hi_u32 s28, s21, s7
	s_mul_i32 s7, s21, s7
	s_add_u32 s7, s26, s7
	s_mul_hi_u32 s27, s21, s15
	s_addc_u32 s7, s23, s28
	s_addc_u32 s23, s27, 0
	s_mul_i32 s15, s21, s15
	s_add_u32 s7, s7, s15
	s_addc_u32 s15, 0, s23
	s_mul_i32 s23, s18, s15
	s_mul_hi_u32 s26, s18, s7
	s_add_i32 s23, s26, s23
	s_mul_i32 s26, s19, s7
	s_add_i32 s23, s23, s26
	s_sub_i32 s28, s21, s23
	s_mul_i32 s26, s18, s7
	s_sub_u32 s20, s20, s26
	s_cselect_b64 s[26:27], -1, 0
	s_cmp_lg_u64 s[26:27], 0
	s_subb_u32 s30, s28, s19
	s_sub_u32 s31, s20, s18
	s_cselect_b64 s[28:29], -1, 0
	s_cmp_lg_u64 s[28:29], 0
	s_subb_u32 s28, s30, 0
	s_cmp_ge_u32 s28, s19
	s_cselect_b32 s29, -1, 0
	s_cmp_ge_u32 s31, s18
	s_cselect_b32 s30, -1, 0
	s_cmp_eq_u32 s28, s19
	s_cselect_b32 s28, s30, s29
	s_add_u32 s29, s7, 1
	s_addc_u32 s30, s15, 0
	s_add_u32 s31, s7, 2
	s_addc_u32 s33, s15, 0
	s_cmp_lg_u32 s28, 0
	s_cselect_b32 s28, s31, s29
	s_cselect_b32 s29, s33, s30
	s_cmp_lg_u64 s[26:27], 0
	s_subb_u32 s21, s21, s23
	s_cmp_ge_u32 s21, s19
	s_cselect_b32 s23, -1, 0
	s_cmp_ge_u32 s20, s18
	s_cselect_b32 s18, -1, 0
	s_cmp_eq_u32 s21, s19
	s_cselect_b32 s18, s18, s23
	s_cmp_lg_u32 s18, 0
	s_cselect_b32 s19, s29, s15
	s_cselect_b32 s18, s28, s7
	s_xor_b64 s[20:21], s[24:25], 0
	s_xor_b64 s[18:19], s[18:19], s[20:21]
	s_sub_u32 s18, s18, s20
	s_cbranch_execnz .LBB3_6
.LBB3_5:
	v_cvt_f32_u32_e32 v1, s22
	s_sub_i32 s7, 0, s22
	v_rcp_iflag_f32_e32 v1, v1
	s_nop 0
	v_mul_f32_e32 v1, 0x4f7ffffe, v1
	v_cvt_u32_f32_e32 v1, v1
	s_waitcnt lgkmcnt(0)
	v_readfirstlane_b32 s15, v1
	s_mul_i32 s7, s7, s15
	s_mul_hi_u32 s7, s15, s7
	s_add_i32 s15, s15, s7
	s_mul_hi_u32 s7, s5, s15
	s_mul_i32 s16, s7, s22
	s_sub_i32 s5, s5, s16
	s_add_i32 s15, s7, 1
	s_sub_i32 s16, s5, s22
	s_cmp_ge_u32 s5, s22
	s_cselect_b32 s7, s15, s7
	s_cselect_b32 s5, s16, s5
	s_add_i32 s15, s7, 1
	s_cmp_ge_u32 s5, s22
	s_cselect_b32 s18, s15, s7
.LBB3_6:
	s_cmp_eq_u32 s6, s18
	s_waitcnt lgkmcnt(0)
	s_mul_hi_u32 s5, s6, s12
	s_cselect_b64 s[16:17], -1, 0
	s_add_i32 s5, s5, s6
	s_lshr_b32 s7, s5, s13
	s_mul_i32 s5, s7, s14
	s_cmp_eq_u32 s5, s6
	s_mul_hi_u32 s5, s18, s12
	s_cselect_b64 s[20:21], -1, 0
	s_add_i32 s5, s5, s18
	s_lshr_b32 s5, s5, s13
	s_cmp_eq_u32 s7, s5
	s_mul_i32 s5, s5, s14
	s_cselect_b64 s[24:25], -1, 0
	s_cmp_lg_u32 s5, s18
	s_cselect_b64 s[18:19], -1, 0
	s_and_b64 s[18:19], s[24:25], s[18:19]
	s_or_b64 s[16:17], s[16:17], s[20:21]
	s_or_b64 s[16:17], s[16:17], s[18:19]
	s_and_b64 vcc, exec, s[16:17]
	s_cbranch_vccnz .LBB3_23
; %bb.7:
	s_load_dwordx8 s[24:31], s[0:1], 0x20
	s_load_dword s15, s[0:1], 0x40
	s_waitcnt lgkmcnt(0)
	s_mul_hi_u32 s5, s6, s24
	s_add_i32 s5, s5, s6
	s_lshr_b32 s5, s5, s25
	s_mul_i32 s16, s5, s26
	s_sub_i32 s16, s6, s16
	s_mul_hi_u32 s17, s16, s27
	s_add_i32 s17, s16, s17
	s_lshr_b32 s20, s17, s28
	s_mul_i32 s17, s20, s29
	s_sub_i32 s16, s16, s17
	;; [unrolled: 5-line block ×3, first 2 shown]
	s_mul_hi_u32 s16, s15, s12
	s_add_i32 s15, s15, s16
	s_lshr_b32 s23, s15, s13
	s_lshl_b32 s15, s23, 3
	s_lshl_b32 s21, s17, 3
	s_add_i32 s15, s15, s3
	s_cmp_lt_i32 s15, s8
	s_cselect_b64 s[16:17], -1, 0
	s_add_i32 s15, s21, s4
	s_cmp_lt_i32 s15, s10
	s_cselect_b64 s[18:19], -1, 0
	s_and_b64 s[16:17], s[16:17], s[18:19]
	s_andn2_b64 vcc, exec, s[16:17]
	s_cbranch_vccnz .LBB3_23
; %bb.8:
	s_load_dwordx4 s[16:19], s[0:1], 0x0
	s_mov_b32 s0, 0
	s_lshl_b32 s15, s3, 3
	s_lshl_b32 s24, s22, 8
	s_mov_b32 s25, s0
	s_add_i32 s15, s15, s4
	s_waitcnt lgkmcnt(0)
	v_mov_b32_e32 v2, s16
	v_mov_b32_e32 v3, s17
	s_lshl_b64 s[16:17], s[24:25], 2
	s_add_u32 s16, s18, s16
	s_mul_i32 s1, s5, s8
	s_addc_u32 s17, s19, s17
	s_add_i32 s1, s1, s3
	s_mul_i32 s1, s1, s9
	s_mul_i32 s20, s20, s10
	s_add_i32 s1, s1, s4
	s_add_i32 s1, s1, s20
	s_mul_i32 s5, s9, s23
	s_add_i32 s1, s1, s21
	s_lshl_b32 s5, s5, 9
	s_lshl_b32 s1, s1, 6
	s_add_i32 s5, s5, s1
	v_or_b32_e32 v4, s5, v0
	v_ashrrev_i32_e32 v5, 31, v4
	v_lshl_add_u64 v[2:3], v[4:5], 2, v[2:3]
	global_load_dword v1, v[2:3], off
	v_cvt_f32_u32_e32 v4, s22
	s_lshl_b32 s1, s2, 6
	s_add_i32 s4, s15, s1
	s_ashr_i32 s5, s4, 31
	s_lshl_b64 s[4:5], s[4:5], 3
	v_rcp_iflag_f32_e32 v4, v4
	s_add_u32 s4, s18, s4
	s_addc_u32 s5, s19, s5
	s_load_dwordx2 s[4:5], s[4:5], 0x0
	v_mul_f32_e32 v4, 0x4f7ffffe, v4
	v_cvt_u32_f32_e32 v7, v4
	s_add_i32 s24, s2, -1
	v_lshl_or_b32 v6, s15, 6, v0
	s_waitcnt lgkmcnt(0)
	v_mov_b32_e32 v0, s5
	v_mov_b32_e32 v9, s4
	s_mov_b32 s10, 0x3fb8aa3b
	s_mov_b32 s20, 0xc2ce8ed0
	;; [unrolled: 1-line block ×4, first 2 shown]
	v_mov_b32_e32 v8, 0x7f800000
	s_mul_hi_i32 s1, s24, s11
	s_cmp_lg_u64 s[0:1], 0
	s_mul_i32 s8, s24, s11
	s_cbranch_scc0 .LBB3_19
.LBB3_9:
	s_add_u32 s2, s22, 0
	s_addc_u32 s3, 0, 0
	s_xor_b64 s[2:3], s[2:3], 0
	v_cvt_f32_u32_e32 v4, s2
	v_cvt_f32_u32_e32 v5, s3
	s_sub_u32 s9, 0, s2
	s_subb_u32 s25, 0, s3
	v_fmac_f32_e32 v4, 0x4f800000, v5
	v_rcp_f32_e32 v4, v4
	s_nop 0
	v_mul_f32_e32 v4, 0x5f7ffffc, v4
	v_mul_f32_e32 v5, 0x2f800000, v4
	v_trunc_f32_e32 v5, v5
	v_fmac_f32_e32 v4, 0xcf800000, v5
	v_cvt_u32_f32_e32 v5, v5
	v_cvt_u32_f32_e32 v4, v4
	v_readfirstlane_b32 s26, v5
	v_readfirstlane_b32 s4, v4
	s_mul_i32 s5, s9, s26
	s_mul_hi_u32 s28, s9, s4
	s_mul_i32 s27, s25, s4
	s_add_i32 s5, s28, s5
	s_mul_i32 s29, s9, s4
	s_add_i32 s5, s5, s27
	s_mul_i32 s28, s4, s5
	s_mul_hi_u32 s30, s4, s29
	s_mul_hi_u32 s27, s4, s5
	s_add_u32 s28, s30, s28
	s_addc_u32 s27, 0, s27
	s_mul_hi_u32 s31, s26, s29
	s_mul_i32 s29, s26, s29
	s_add_u32 s28, s28, s29
	s_mul_hi_u32 s30, s26, s5
	s_addc_u32 s27, s27, s31
	s_addc_u32 s28, s30, 0
	s_mul_i32 s5, s26, s5
	s_add_u32 s5, s27, s5
	s_addc_u32 s27, 0, s28
	s_add_u32 s28, s4, s5
	s_cselect_b64 s[4:5], -1, 0
	s_cmp_lg_u64 s[4:5], 0
	s_addc_u32 s26, s26, s27
	s_mul_i32 s4, s9, s26
	s_mul_hi_u32 s5, s9, s28
	s_add_i32 s4, s5, s4
	s_mul_i32 s25, s25, s28
	s_add_i32 s4, s4, s25
	s_mul_i32 s9, s9, s28
	s_mul_hi_u32 s25, s26, s9
	s_mul_i32 s27, s26, s9
	s_mul_i32 s30, s28, s4
	s_mul_hi_u32 s9, s28, s9
	s_mul_hi_u32 s29, s28, s4
	s_add_u32 s9, s9, s30
	s_addc_u32 s29, 0, s29
	s_add_u32 s9, s9, s27
	s_mul_hi_u32 s5, s26, s4
	s_addc_u32 s9, s29, s25
	s_addc_u32 s5, s5, 0
	s_mul_i32 s4, s26, s4
	s_add_u32 s4, s9, s4
	s_addc_u32 s9, 0, s5
	s_add_u32 s25, s28, s4
	s_cselect_b64 s[4:5], -1, 0
	s_cmp_lg_u64 s[4:5], 0
	s_addc_u32 s9, s26, s9
	s_ashr_i32 s4, s1, 31
	s_add_u32 s26, s8, s4
	s_mov_b32 s5, s4
	s_addc_u32 s27, s1, s4
	s_xor_b64 s[26:27], s[26:27], s[4:5]
	s_mul_i32 s28, s26, s9
	s_mul_hi_u32 s29, s26, s25
	s_mul_hi_u32 s1, s26, s9
	s_add_u32 s28, s29, s28
	s_addc_u32 s1, 0, s1
	s_mul_hi_u32 s30, s27, s25
	s_mul_i32 s25, s27, s25
	s_add_u32 s25, s28, s25
	s_mul_hi_u32 s29, s27, s9
	s_addc_u32 s1, s1, s30
	s_addc_u32 s25, s29, 0
	s_mul_i32 s9, s27, s9
	s_add_u32 s1, s1, s9
	s_addc_u32 s9, 0, s25
	s_mul_i32 s25, s2, s9
	s_mul_hi_u32 s28, s2, s1
	s_add_i32 s25, s28, s25
	s_mul_i32 s28, s3, s1
	s_add_i32 s25, s25, s28
	s_sub_i32 s30, s27, s25
	s_mul_i32 s28, s2, s1
	s_sub_u32 s26, s26, s28
	s_cselect_b64 s[28:29], -1, 0
	s_cmp_lg_u64 s[28:29], 0
	s_subb_u32 s33, s30, s3
	s_sub_u32 s34, s26, s2
	s_cselect_b64 s[30:31], -1, 0
	s_cmp_lg_u64 s[30:31], 0
	s_subb_u32 s30, s33, 0
	s_cmp_ge_u32 s30, s3
	s_cselect_b32 s31, -1, 0
	s_cmp_ge_u32 s34, s2
	s_cselect_b32 s33, -1, 0
	s_cmp_eq_u32 s30, s3
	s_cselect_b32 s30, s33, s31
	s_add_u32 s31, s1, 1
	s_addc_u32 s33, s9, 0
	s_add_u32 s34, s1, 2
	s_addc_u32 s35, s9, 0
	s_cmp_lg_u32 s30, 0
	s_cselect_b32 s30, s34, s31
	s_cselect_b32 s31, s35, s33
	s_cmp_lg_u64 s[28:29], 0
	s_subb_u32 s25, s27, s25
	s_cmp_ge_u32 s25, s3
	s_cselect_b32 s27, -1, 0
	s_cmp_ge_u32 s26, s2
	s_cselect_b32 s2, -1, 0
	s_cmp_eq_u32 s25, s3
	s_cselect_b32 s2, s2, s27
	s_cmp_lg_u32 s2, 0
	s_cselect_b32 s3, s31, s9
	s_cselect_b32 s2, s30, s1
	s_xor_b64 s[4:5], s[4:5], 0
	s_xor_b64 s[2:3], s[2:3], s[4:5]
	s_sub_u32 s4, s2, s4
	s_cbranch_execnz .LBB3_11
.LBB3_10:
	s_sub_i32 s1, 0, s22
	v_readfirstlane_b32 s2, v7
	s_mul_i32 s1, s1, s2
	s_mul_hi_u32 s1, s2, s1
	s_add_i32 s2, s2, s1
	s_mul_hi_u32 s1, s8, s2
	s_mul_i32 s3, s1, s22
	s_sub_i32 s3, s8, s3
	s_add_i32 s2, s1, 1
	s_sub_i32 s4, s3, s22
	s_cmp_ge_u32 s3, s22
	s_cselect_b32 s1, s2, s1
	s_cselect_b32 s3, s4, s3
	s_add_i32 s2, s1, 1
	s_cmp_ge_u32 s3, s22
	s_cselect_b32 s4, s2, s1
.LBB3_11:
	s_cmp_lg_u32 s6, s4
	s_cbranch_scc0 .LBB3_15
; %bb.12:
	s_add_i32 s1, s24, s22
	s_lshl_b32 s1, s1, 6
	s_add_i32 s2, s1, s15
	s_mov_b32 s3, s0
	s_lshl_b64 s[2:3], s[2:3], 3
	s_add_u32 s8, s18, s2
	s_mul_hi_u32 s1, s4, s12
	s_addc_u32 s9, s19, s3
	s_add_i32 s1, s1, s4
	s_lshr_b32 s1, s1, s13
	s_mul_i32 s2, s1, s14
	s_cmp_eq_u32 s2, s4
	s_cselect_b64 s[2:3], -1, 0
	s_cmp_lt_u32 s1, s7
	s_cselect_b64 s[26:27], -1, 0
	s_or_b64 s[26:27], s[26:27], s[2:3]
	s_mov_b64 s[2:3], -1
	s_and_b64 vcc, exec, s[26:27]
	s_mov_b32 s1, s24
	s_mov_b32 s25, s6
	s_cbranch_vccnz .LBB3_14
; %bb.13:
	s_add_i32 s1, s24, -1
	s_mov_b64 s[2:3], 0
	s_mov_b32 s25, s4
.LBB3_14:
	v_lshl_add_u32 v4, s24, 12, v6
	v_ashrrev_i32_e32 v5, 31, v4
	v_lshl_add_u64 v[4:5], v[4:5], 2, s[16:17]
	global_load_dword v5, v[4:5], off
	s_load_dwordx2 s[4:5], s[8:9], 0x0
	v_max_f32_e32 v4, v9, v9
	s_waitcnt lgkmcnt(0)
	v_max_f32_e64 v10, s4, s4
	v_max_f32_e32 v10, v4, v10
	v_sub_f32_e32 v11, v9, v10
	v_sub_f32_e32 v13, s4, v10
	v_mul_f32_e32 v4, 0x3fb8aa3b, v11
	v_mul_f32_e32 v12, 0x3fb8aa3b, v13
	v_fma_f32 v14, v11, s10, -v4
	v_rndne_f32_e32 v15, v4
	v_fma_f32 v16, v13, s10, -v12
	v_rndne_f32_e32 v17, v12
	v_fmac_f32_e32 v14, 0x32a5705f, v11
	v_sub_f32_e32 v4, v4, v15
	v_fmac_f32_e32 v16, 0x32a5705f, v13
	v_sub_f32_e32 v12, v12, v17
	v_add_f32_e32 v4, v4, v14
	v_cvt_i32_f32_e32 v15, v15
	v_add_f32_e32 v12, v12, v16
	v_exp_f32_e32 v14, v4
	v_cvt_i32_f32_e32 v17, v17
	v_exp_f32_e32 v12, v12
	v_cmp_ngt_f32_e32 vcc, s20, v11
	v_ldexp_f32 v14, v14, v15
	v_mov_b32_e32 v4, s5
	v_ldexp_f32 v12, v12, v17
	v_cndmask_b32_e32 v14, 0, v14, vcc
	v_cmp_ngt_f32_e32 vcc, s20, v13
	s_nop 1
	v_cndmask_b32_e32 v12, 0, v12, vcc
	v_cmp_nlt_f32_e32 vcc, s21, v11
	s_nop 1
	v_cndmask_b32_e32 v14, v8, v14, vcc
	v_cmp_nlt_f32_e32 vcc, s21, v13
	s_nop 1
	v_cndmask_b32_e32 v15, v8, v12, vcc
	v_cmp_le_f32_e32 vcc, s23, v11
	s_nop 1
	v_cndmask_b32_e32 v12, 0, v14, vcc
	v_cmp_le_f32_e32 vcc, s23, v13
	s_nop 1
	v_cndmask_b32_e32 v14, 0, v15, vcc
	s_waitcnt vmcnt(0)
	v_pk_mul_f32 v[4:5], v[4:5], v[14:15] op_sel_hi:[1,0]
	s_nop 0
	v_pk_fma_f32 v[4:5], v[0:1], v[12:13], v[4:5] op_sel_hi:[1,0,1]
	s_cbranch_execz .LBB3_16
	s_branch .LBB3_17
.LBB3_15:
                                        ; implicit-def: $vgpr4_vgpr5
                                        ; implicit-def: $sgpr2_sgpr3
                                        ; implicit-def: $vgpr10
                                        ; implicit-def: $sgpr1
                                        ; implicit-def: $sgpr25
.LBB3_16:
	s_add_i32 s1, s24, -1
	s_mov_b64 s[2:3], 0
	s_mov_b32 s25, s6
	v_mov_b32_e32 v10, v9
	s_waitcnt vmcnt(0)
	v_mov_b64_e32 v[4:5], v[0:1]
.LBB3_17:
	s_andn2_b64 vcc, exec, s[2:3]
	s_cbranch_vccz .LBB3_22
; %bb.18:
	s_mov_b32 s6, s25
	s_mov_b32 s24, s1
	v_mov_b32_e32 v9, v10
	s_waitcnt vmcnt(0)
	v_mov_b64_e32 v[0:1], v[4:5]
	s_mul_hi_i32 s1, s24, s11
	s_cmp_lg_u64 s[0:1], 0
	s_mul_i32 s8, s24, s11
	s_cbranch_scc1 .LBB3_9
.LBB3_19:
                                        ; implicit-def: $sgpr4_sgpr5
	s_branch .LBB3_10
.LBB3_20:
                                        ; implicit-def: $sgpr6_sgpr7
	s_load_dwordx4 s[12:15], s[0:1], 0x44
	s_branch .LBB3_2
.LBB3_21:
                                        ; implicit-def: $sgpr18_sgpr19
	s_branch .LBB3_5
.LBB3_22:
	v_div_scale_f32 v0, s[0:1], v4, v4, v5
	s_waitcnt vmcnt(0)
	v_rcp_f32_e32 v1, v0
	v_div_scale_f32 v6, vcc, v5, v4, v5
	v_fma_f32 v7, -v0, v1, 1.0
	v_fmac_f32_e32 v1, v7, v1
	v_mul_f32_e32 v7, v6, v1
	v_fma_f32 v8, -v0, v7, v6
	v_fmac_f32_e32 v7, v8, v1
	v_fma_f32 v0, -v0, v7, v6
	v_div_fmas_f32 v0, v0, v1, v7
	v_div_fixup_f32 v0, v0, v4, v5
	global_store_dword v[2:3], v0, off
.LBB3_23:
	s_endpgm
	.section	.rodata,"a",@progbits
	.p2align	6, 0x0
	.amdhsa_kernel _ZL33flash_attn_stream_k_fixup_generalILi64ELi8ELi8EEvPfPK15HIP_vector_typeIfLj2EEiiiiS1_IjLj3EES5_S5_S5_
		.amdhsa_group_segment_fixed_size 0
		.amdhsa_private_segment_fixed_size 0
		.amdhsa_kernarg_size 336
		.amdhsa_user_sgpr_count 2
		.amdhsa_user_sgpr_dispatch_ptr 0
		.amdhsa_user_sgpr_queue_ptr 0
		.amdhsa_user_sgpr_kernarg_segment_ptr 1
		.amdhsa_user_sgpr_dispatch_id 0
		.amdhsa_user_sgpr_kernarg_preload_length 0
		.amdhsa_user_sgpr_kernarg_preload_offset 0
		.amdhsa_user_sgpr_private_segment_size 0
		.amdhsa_uses_dynamic_stack 0
		.amdhsa_enable_private_segment 0
		.amdhsa_system_sgpr_workgroup_id_x 1
		.amdhsa_system_sgpr_workgroup_id_y 1
		.amdhsa_system_sgpr_workgroup_id_z 1
		.amdhsa_system_sgpr_workgroup_info 0
		.amdhsa_system_vgpr_workitem_id 0
		.amdhsa_next_free_vgpr 18
		.amdhsa_next_free_sgpr 36
		.amdhsa_accum_offset 20
		.amdhsa_reserve_vcc 1
		.amdhsa_float_round_mode_32 0
		.amdhsa_float_round_mode_16_64 0
		.amdhsa_float_denorm_mode_32 3
		.amdhsa_float_denorm_mode_16_64 3
		.amdhsa_dx10_clamp 1
		.amdhsa_ieee_mode 1
		.amdhsa_fp16_overflow 0
		.amdhsa_tg_split 0
		.amdhsa_exception_fp_ieee_invalid_op 0
		.amdhsa_exception_fp_denorm_src 0
		.amdhsa_exception_fp_ieee_div_zero 0
		.amdhsa_exception_fp_ieee_overflow 0
		.amdhsa_exception_fp_ieee_underflow 0
		.amdhsa_exception_fp_ieee_inexact 0
		.amdhsa_exception_int_div_zero 0
	.end_amdhsa_kernel
	.section	.text._ZL33flash_attn_stream_k_fixup_generalILi64ELi8ELi8EEvPfPK15HIP_vector_typeIfLj2EEiiiiS1_IjLj3EES5_S5_S5_,"axG",@progbits,_ZL33flash_attn_stream_k_fixup_generalILi64ELi8ELi8EEvPfPK15HIP_vector_typeIfLj2EEiiiiS1_IjLj3EES5_S5_S5_,comdat
.Lfunc_end3:
	.size	_ZL33flash_attn_stream_k_fixup_generalILi64ELi8ELi8EEvPfPK15HIP_vector_typeIfLj2EEiiiiS1_IjLj3EES5_S5_S5_, .Lfunc_end3-_ZL33flash_attn_stream_k_fixup_generalILi64ELi8ELi8EEvPfPK15HIP_vector_typeIfLj2EEiiiiS1_IjLj3EES5_S5_S5_
                                        ; -- End function
	.set _ZL33flash_attn_stream_k_fixup_generalILi64ELi8ELi8EEvPfPK15HIP_vector_typeIfLj2EEiiiiS1_IjLj3EES5_S5_S5_.num_vgpr, 18
	.set _ZL33flash_attn_stream_k_fixup_generalILi64ELi8ELi8EEvPfPK15HIP_vector_typeIfLj2EEiiiiS1_IjLj3EES5_S5_S5_.num_agpr, 0
	.set _ZL33flash_attn_stream_k_fixup_generalILi64ELi8ELi8EEvPfPK15HIP_vector_typeIfLj2EEiiiiS1_IjLj3EES5_S5_S5_.numbered_sgpr, 36
	.set _ZL33flash_attn_stream_k_fixup_generalILi64ELi8ELi8EEvPfPK15HIP_vector_typeIfLj2EEiiiiS1_IjLj3EES5_S5_S5_.num_named_barrier, 0
	.set _ZL33flash_attn_stream_k_fixup_generalILi64ELi8ELi8EEvPfPK15HIP_vector_typeIfLj2EEiiiiS1_IjLj3EES5_S5_S5_.private_seg_size, 0
	.set _ZL33flash_attn_stream_k_fixup_generalILi64ELi8ELi8EEvPfPK15HIP_vector_typeIfLj2EEiiiiS1_IjLj3EES5_S5_S5_.uses_vcc, 1
	.set _ZL33flash_attn_stream_k_fixup_generalILi64ELi8ELi8EEvPfPK15HIP_vector_typeIfLj2EEiiiiS1_IjLj3EES5_S5_S5_.uses_flat_scratch, 0
	.set _ZL33flash_attn_stream_k_fixup_generalILi64ELi8ELi8EEvPfPK15HIP_vector_typeIfLj2EEiiiiS1_IjLj3EES5_S5_S5_.has_dyn_sized_stack, 0
	.set _ZL33flash_attn_stream_k_fixup_generalILi64ELi8ELi8EEvPfPK15HIP_vector_typeIfLj2EEiiiiS1_IjLj3EES5_S5_S5_.has_recursion, 0
	.set _ZL33flash_attn_stream_k_fixup_generalILi64ELi8ELi8EEvPfPK15HIP_vector_typeIfLj2EEiiiiS1_IjLj3EES5_S5_S5_.has_indirect_call, 0
	.section	.AMDGPU.csdata,"",@progbits
; Kernel info:
; codeLenInByte = 2940
; TotalNumSgprs: 42
; NumVgprs: 18
; NumAgprs: 0
; TotalNumVgprs: 18
; ScratchSize: 0
; MemoryBound: 0
; FloatMode: 240
; IeeeMode: 1
; LDSByteSize: 0 bytes/workgroup (compile time only)
; SGPRBlocks: 5
; VGPRBlocks: 2
; NumSGPRsForWavesPerEU: 42
; NumVGPRsForWavesPerEU: 18
; AccumOffset: 20
; Occupancy: 8
; WaveLimiterHint : 0
; COMPUTE_PGM_RSRC2:SCRATCH_EN: 0
; COMPUTE_PGM_RSRC2:USER_SGPR: 2
; COMPUTE_PGM_RSRC2:TRAP_HANDLER: 0
; COMPUTE_PGM_RSRC2:TGID_X_EN: 1
; COMPUTE_PGM_RSRC2:TGID_Y_EN: 1
; COMPUTE_PGM_RSRC2:TGID_Z_EN: 1
; COMPUTE_PGM_RSRC2:TIDIG_COMP_CNT: 0
; COMPUTE_PGM_RSRC3_GFX90A:ACCUM_OFFSET: 4
; COMPUTE_PGM_RSRC3_GFX90A:TG_SPLIT: 0
	.section	.text._ZL26flash_attn_combine_resultsILi64EEvPKfPK15HIP_vector_typeIfLj2EEPfi,"axG",@progbits,_ZL26flash_attn_combine_resultsILi64EEvPKfPK15HIP_vector_typeIfLj2EEPfi,comdat
	.globl	_ZL26flash_attn_combine_resultsILi64EEvPKfPK15HIP_vector_typeIfLj2EEPfi ; -- Begin function _ZL26flash_attn_combine_resultsILi64EEvPKfPK15HIP_vector_typeIfLj2EEPfi
	.p2align	8
	.type	_ZL26flash_attn_combine_resultsILi64EEvPKfPK15HIP_vector_typeIfLj2EEPfi,@function
_ZL26flash_attn_combine_resultsILi64EEvPKfPK15HIP_vector_typeIfLj2EEPfi: ; @_ZL26flash_attn_combine_resultsILi64EEvPKfPK15HIP_vector_typeIfLj2EEPfi
; %bb.0:
	s_load_dwordx2 s[6:7], s[0:1], 0x20
	s_load_dword s19, s[0:1], 0x18
	s_load_dwordx4 s[8:11], s[0:1], 0x0
	s_load_dwordx2 s[14:15], s[0:1], 0x10
	s_waitcnt lgkmcnt(0)
	s_mul_i32 s0, s6, s4
	s_add_i32 s0, s0, s2
	s_mul_i32 s18, s0, s7
	s_add_i32 s18, s18, s3
	s_lshl_b32 s20, s19, 1
	s_mul_i32 s2, s18, s19
	v_cmp_gt_i32_e32 vcc, s20, v0
	s_and_saveexec_b64 s[0:1], vcc
	s_cbranch_execz .LBB4_13
; %bb.1:
	v_xad_u32 v1, v0, -1, s20
	s_ashr_i32 s3, s2, 31
	v_cmp_lt_u32_e32 vcc, 63, v1
	s_mov_b64 s[6:7], -1
	v_mov_b32_e32 v2, v0
	s_and_saveexec_b64 s[4:5], vcc
	s_cbranch_execz .LBB4_10
; %bb.2:
	v_lshrrev_b32_e32 v6, 6, v1
	s_lshl_b64 s[6:7], s[2:3], 3
	v_add_u32_e32 v2, -1, v6
	s_add_u32 s6, s10, s6
	v_or_b32_e32 v1, 64, v0
	v_lshrrev_b32_e32 v3, 1, v2
	s_addc_u32 s7, s11, s7
	s_mov_b32 s21, 0
	v_add_u32_e32 v7, 1, v3
	v_cmp_lt_u32_e32 vcc, 13, v2
	v_mov_b32_e32 v4, 0
	v_mov_b64_e32 v[2:3], v[0:1]
	s_and_saveexec_b64 s[12:13], vcc
	s_cbranch_execz .LBB4_6
; %bb.3:
	v_and_b32_e32 v8, -8, v7
	v_lshl_add_u32 v9, v0, 2, 0
	s_mov_b64 s[16:17], 0
	v_mov_b32_e32 v5, 0
	v_mov_b64_e32 v[2:3], v[0:1]
.LBB4_4:                                ; =>This Inner Loop Header: Depth=1
	v_mov_b32_e32 v4, v2
	v_lshl_add_u64 v[24:25], v[4:5], 2, s[6:7]
	v_mov_b32_e32 v4, v3
	v_add_u32_e32 v10, 0x80, v3
	v_mov_b32_e32 v11, v5
	v_lshl_add_u64 v[26:27], v[4:5], 2, s[6:7]
	v_add_u32_e32 v4, 0x80, v2
	v_lshl_add_u64 v[10:11], v[10:11], 2, s[6:7]
	global_load_dword v1, v[24:25], off
	v_lshl_add_u64 v[24:25], v[4:5], 2, s[6:7]
	v_add_u32_e32 v4, 0x100, v2
	global_load_dword v28, v[26:27], off
	global_load_dword v29, v[24:25], off
	;; [unrolled: 1-line block ×3, first 2 shown]
	v_lshl_add_u64 v[10:11], v[4:5], 2, s[6:7]
	v_add_u32_e32 v4, 0x180, v2
	v_add_u32_e32 v12, 0x100, v3
	v_mov_b32_e32 v13, v5
	v_add_u32_e32 v14, 0x180, v3
	v_mov_b32_e32 v15, v5
	v_lshl_add_u64 v[24:25], v[4:5], 2, s[6:7]
	v_add_u32_e32 v4, 0x200, v2
	v_lshl_add_u64 v[12:13], v[12:13], 2, s[6:7]
	v_lshl_add_u64 v[14:15], v[14:15], 2, s[6:7]
	global_load_dword v26, v[10:11], off
	global_load_dword v27, v[12:13], off
	;; [unrolled: 1-line block ×4, first 2 shown]
	v_lshl_add_u64 v[10:11], v[4:5], 2, s[6:7]
	v_add_u32_e32 v4, 0x280, v2
	v_add_u32_e32 v16, 0x200, v3
	v_mov_b32_e32 v17, v5
	v_add_u32_e32 v18, 0x280, v3
	v_mov_b32_e32 v19, v5
	v_lshl_add_u64 v[12:13], v[4:5], 2, s[6:7]
	v_add_u32_e32 v4, 0x300, v2
	v_add_u32_e32 v20, 0x300, v3
	v_mov_b32_e32 v21, v5
	v_add_u32_e32 v22, 0x380, v3
	v_mov_b32_e32 v23, v5
	v_lshl_add_u64 v[16:17], v[16:17], 2, s[6:7]
	v_lshl_add_u64 v[18:19], v[18:19], 2, s[6:7]
	global_load_dword v14, v[10:11], off
	global_load_dword v15, v[16:17], off
	;; [unrolled: 1-line block ×4, first 2 shown]
	v_lshl_add_u64 v[10:11], v[4:5], 2, s[6:7]
	v_add_u32_e32 v4, 0x380, v2
	v_lshl_add_u64 v[20:21], v[20:21], 2, s[6:7]
	v_lshl_add_u64 v[22:23], v[22:23], 2, s[6:7]
	;; [unrolled: 1-line block ×3, first 2 shown]
	global_load_dword v16, v[10:11], off
	global_load_dword v17, v[20:21], off
	;; [unrolled: 1-line block ×4, first 2 shown]
	v_add_u32_e32 v8, -8, v8
	s_add_i32 s21, s21, 16
	v_cmp_eq_u32_e32 vcc, 0, v8
	v_add_u32_e32 v3, 0x400, v3
	v_mov_b32_e32 v4, s21
	s_or_b64 s[16:17], vcc, s[16:17]
	v_add_u32_e32 v2, 0x400, v2
	s_waitcnt vmcnt(14)
	ds_write2st64_b32 v9, v1, v28 offset1:1
	s_waitcnt vmcnt(12)
	ds_write2st64_b32 v9, v29, v30 offset0:2 offset1:3
	s_waitcnt vmcnt(10)
	ds_write2st64_b32 v9, v26, v27 offset0:4 offset1:5
	;; [unrolled: 2-line block ×7, first 2 shown]
	v_add_u32_e32 v9, 0x1000, v9
	s_andn2_b64 exec, exec, s[16:17]
	s_cbranch_execnz .LBB4_4
; %bb.5:
	s_or_b64 exec, exec, s[16:17]
.LBB4_6:
	s_or_b64 exec, exec, s[12:13]
	v_and_b32_e32 v1, 7, v7
	v_cmp_ne_u32_e32 vcc, 0, v1
	s_and_saveexec_b64 s[12:13], vcc
	s_cbranch_execz .LBB4_9
; %bb.7:
	v_lshlrev_b32_e32 v5, 2, v0
	v_lshl_or_b32 v4, v4, 8, v5
	v_add_u32_e32 v7, 0, v4
	s_mov_b64 s[16:17], 0
	v_mov_b32_e32 v5, 0
.LBB4_8:                                ; =>This Inner Loop Header: Depth=1
	v_mov_b32_e32 v4, v2
	v_lshl_add_u64 v[8:9], v[4:5], 2, s[6:7]
	v_mov_b32_e32 v4, v3
	v_lshl_add_u64 v[10:11], v[4:5], 2, s[6:7]
	global_load_dword v4, v[8:9], off
	global_load_dword v12, v[10:11], off
	v_add_u32_e32 v1, -1, v1
	v_cmp_eq_u32_e32 vcc, 0, v1
	v_add_u32_e32 v2, 0x80, v2
	v_add_u32_e32 v3, 0x80, v3
	s_or_b64 s[16:17], vcc, s[16:17]
	s_waitcnt vmcnt(0)
	ds_write2st64_b32 v7, v4, v12 offset1:1
	v_add_u32_e32 v7, 0x200, v7
	s_andn2_b64 exec, exec, s[16:17]
	s_cbranch_execnz .LBB4_8
.LBB4_9:
	s_or_b64 exec, exec, s[12:13]
	v_add_u32_e32 v1, 1, v6
	v_and_b32_e32 v3, 0x7fffffe, v1
	v_cmp_ne_u32_e32 vcc, v1, v3
	v_lshl_or_b32 v2, v3, 6, v0
	s_orn2_b64 s[6:7], vcc, exec
.LBB4_10:
	s_or_b64 exec, exec, s[4:5]
	s_and_b64 exec, exec, s[6:7]
	s_cbranch_execz .LBB4_13
; %bb.11:
	s_lshl_b64 s[4:5], s[2:3], 3
	s_add_u32 s4, s10, s4
	v_mov_b32_e32 v3, 0
	s_addc_u32 s5, s11, s5
	v_lshl_add_u64 v[4:5], v[2:3], 2, s[4:5]
	v_lshl_add_u32 v1, v2, 2, 0
	s_mov_b64 s[4:5], 0
	s_mov_b64 s[6:7], 0x100
.LBB4_12:                               ; =>This Inner Loop Header: Depth=1
	global_load_dword v3, v[4:5], off
	v_add_u32_e32 v2, 64, v2
	v_cmp_le_i32_e32 vcc, s20, v2
	v_lshl_add_u64 v[4:5], v[4:5], 0, s[6:7]
	s_or_b64 s[4:5], vcc, s[4:5]
	s_waitcnt vmcnt(0)
	ds_write_b32 v1, v3
	v_add_u32_e32 v1, 0x100, v1
	s_andn2_b64 exec, exec, s[4:5]
	s_cbranch_execnz .LBB4_12
.LBB4_13:
	s_or_b64 exec, exec, s[0:1]
	v_mov_b32_e32 v1, 0
	s_waitcnt lgkmcnt(0)
	; wave barrier
	ds_read_b32 v1, v1
	s_cmp_lt_i32 s19, 2
	s_cbranch_scc1 .LBB4_21
; %bb.14:
	s_cmp_eq_u32 s19, 2
	s_cbranch_scc1 .LBB4_18
; %bb.15:
	s_add_i32 s3, s19, -1
	s_and_b32 s4, s3, -2
	s_add_i32 s6, 0, 8
	s_mov_b32 s5, 2
	s_waitcnt lgkmcnt(0)
	v_mov_b32_e32 v4, v1
.LBB4_16:                               ; =>This Inner Loop Header: Depth=1
	v_mov_b32_e32 v2, v1
	v_mov_b32_e32 v1, s6
	;; [unrolled: 1-line block ×3, first 2 shown]
	ds_read2_b32 v[4:5], v1 offset1:2
	s_cmp_lg_u32 s4, s5
	s_cselect_b64 s[10:11], -1, 0
	v_max_f32_e32 v1, v3, v3
	v_max_f32_e32 v6, v2, v2
	s_waitcnt lgkmcnt(0)
	v_cmp_u_f32_e32 vcc, v5, v5
	v_max_f32_e32 v7, v5, v5
	v_max_f32_e32 v8, v4, v4
	v_cndmask_b32_e64 v5, 0, 1, vcc
	v_cmp_u_f32_e32 vcc, v4, v4
	v_readfirstlane_b32 s0, v5
	s_lshl_b32 s0, s0, 1
	v_cndmask_b32_e64 v9, 0, 1, vcc
	v_max_f32_e32 v4, v1, v7
	v_readfirstlane_b32 s1, v9
	s_or_b32 s0, s1, s0
	s_and_b32 s7, s0, 3
	s_cmp_lg_u32 s7, 0
	s_cselect_b64 s[0:1], -1, 0
	s_cmp_eq_u32 s7, 0
	s_cselect_b64 s[12:13], -1, 0
	s_and_b64 s[10:11], s[12:13], s[10:11]
	v_max_f32_e32 v1, v6, v8
	s_add_i32 s5, s5, 2
	s_add_i32 s6, s6, 16
	s_and_b64 vcc, exec, s[10:11]
	s_cbranch_vccnz .LBB4_16
; %bb.17:
	s_add_i32 s5, s5, -4
	s_and_b64 s[6:7], s[0:1], exec
	s_cselect_b32 s5, s5, s3
	s_or_b32 s5, s5, 1
	v_cndmask_b32_e64 v1, v1, v2, s[0:1]
	v_cndmask_b32_e64 v2, v4, v3, s[0:1]
	s_cmp_lg_u32 s3, s4
	v_max_f32_e32 v2, v2, v2
	v_max_f32_e32 v1, v1, v1
	s_cselect_b64 s[6:7], -1, 0
	v_max_f32_e32 v1, v1, v2
	s_or_b64 s[0:1], s[6:7], s[0:1]
	s_and_b64 vcc, exec, s[0:1]
	s_cbranch_vccnz .LBB4_19
	s_branch .LBB4_21
.LBB4_18:
	s_mov_b32 s5, 1
	s_cbranch_execz .LBB4_21
.LBB4_19:
	s_lshl_b32 s1, s5, 3
	s_sub_i32 s0, s19, s5
	s_add_i32 s1, s1, 0
.LBB4_20:                               ; =>This Inner Loop Header: Depth=1
	v_mov_b32_e32 v2, s1
	ds_read_b32 v2, v2
	s_waitcnt lgkmcnt(1)
	v_max_f32_e32 v1, v1, v1
	s_add_i32 s0, s0, -1
	s_add_i32 s1, s1, 8
	s_cmp_eq_u32 s0, 0
	s_waitcnt lgkmcnt(0)
	v_max_f32_e32 v2, v2, v2
	v_max_f32_e32 v1, v1, v2
	s_cbranch_scc0 .LBB4_20
.LBB4_21:
	s_cmp_lt_i32 s19, 1
	s_cbranch_scc1 .LBB4_26
; %bb.22:
	s_lshl_b32 s0, s2, 6
	s_ashr_i32 s1, s0, 31
	s_lshl_b64 s[0:1], s[0:1], 2
	s_add_u32 s16, s8, s0
	s_addc_u32 s17, s9, s1
	s_cmp_lt_u32 s19, 8
	s_cbranch_scc1 .LBB4_27
; %bb.23:
	v_mov_b32_e32 v7, 0
	s_and_b32 s20, s19, 0x7ffffff8
	v_or_b32_e32 v4, 0x1c0, v0
	s_mov_b32 s21, 0
	s_mov_b32 s22, 0x3fb8aa3b
	;; [unrolled: 1-line block ×4, first 2 shown]
	v_mov_b32_e32 v8, 0x7f800000
	s_mov_b32 s25, 0
	v_mov_b32_e32 v2, v7
	v_mov_b32_e32 v3, v7
.LBB4_24:                               ; =>This Inner Loop Header: Depth=1
	v_add_u32_e32 v6, 0xfffffe40, v4
	v_lshl_add_u64 v[26:27], v[6:7], 2, s[16:17]
	v_add_u32_e32 v6, 0xfffffe80, v4
	v_mov_b32_e32 v9, s21
	v_lshl_add_u64 v[30:31], v[6:7], 2, s[16:17]
	v_add_u32_e32 v6, 0xfffffec0, v4
	ds_read2_b64 v[10:13], v9 offset1:1
	ds_read2_b64 v[14:17], v9 offset0:2 offset1:3
	ds_read2_b64 v[18:21], v9 offset0:4 offset1:5
	;; [unrolled: 1-line block ×3, first 2 shown]
	global_load_dword v33, v[26:27], off
	global_load_dword v35, v[30:31], off
	v_lshl_add_u64 v[26:27], v[6:7], 2, s[16:17]
	v_add_u32_e32 v6, 0xffffff00, v4
	v_lshl_add_u64 v[30:31], v[6:7], 2, s[16:17]
	v_add_u32_e32 v6, 0xffffff40, v4
	global_load_dword v37, v[26:27], off
	global_load_dword v39, v[30:31], off
	v_lshl_add_u64 v[26:27], v[6:7], 2, s[16:17]
	v_add_u32_e32 v6, 0xffffff80, v4
	s_waitcnt lgkmcnt(3)
	v_mov_b32_e32 v32, v11
	v_sub_f32_e32 v9, v12, v1
	v_mov_b32_e32 v34, v13
	global_load_dword v11, v[26:27], off
	v_lshl_add_u64 v[12:13], v[6:7], 2, s[16:17]
	s_waitcnt lgkmcnt(2)
	v_mov_b32_e32 v36, v15
	v_subrev_u32_e32 v6, 64, v4
	global_load_dword v15, v[12:13], off
	v_mov_b32_e32 v5, v7
	v_lshl_add_u64 v[12:13], v[6:7], 2, s[16:17]
	v_lshl_add_u64 v[28:29], v[4:5], 2, s[16:17]
	v_sub_f32_e32 v5, v10, v1
	v_mov_b32_e32 v38, v17
	s_waitcnt lgkmcnt(1)
	v_mov_b32_e32 v10, v19
	global_load_dword v17, v[12:13], off
	global_load_dword v19, v[28:29], off
	v_sub_f32_e32 v30, v14, v1
	v_sub_f32_e32 v31, v16, v1
	;; [unrolled: 1-line block ×3, first 2 shown]
	v_mov_b32_e32 v14, v21
	s_waitcnt lgkmcnt(0)
	v_sub_f32_e32 v21, v22, v1
	v_mov_b32_e32 v16, v23
	v_sub_f32_e32 v22, v24, v1
	v_mul_f32_e32 v23, 0x3fb8aa3b, v5
	v_mov_b32_e32 v18, v25
	v_mul_f32_e32 v24, 0x3fb8aa3b, v9
	v_mul_f32_e32 v25, 0x3fb8aa3b, v30
	;; [unrolled: 1-line block ×5, first 2 shown]
	v_fma_f32 v43, v5, s22, -v23
	v_rndne_f32_e32 v44, v23
	v_sub_f32_e32 v20, v20, v1
	v_fma_f32 v45, v9, s22, -v24
	v_rndne_f32_e32 v46, v24
	v_fma_f32 v47, v30, s22, -v25
	v_rndne_f32_e32 v48, v25
	;; [unrolled: 2-line block ×5, first 2 shown]
	v_fmac_f32_e32 v43, 0x32a5705f, v5
	v_sub_f32_e32 v12, v23, v44
	v_mul_f32_e32 v26, 0x3fb8aa3b, v31
	v_mul_f32_e32 v41, 0x3fb8aa3b, v20
	v_fmac_f32_e32 v45, 0x32a5705f, v9
	v_sub_f32_e32 v23, v24, v46
	v_fmac_f32_e32 v47, 0x32a5705f, v30
	v_sub_f32_e32 v25, v25, v48
	;; [unrolled: 2-line block ×5, first 2 shown]
	v_add_f32_e32 v12, v12, v43
	v_fma_f32 v49, v31, s22, -v26
	v_rndne_f32_e32 v50, v26
	v_fma_f32 v53, v20, s22, -v41
	v_rndne_f32_e32 v54, v41
	v_cvt_i32_f32_e32 v13, v44
	v_add_f32_e32 v23, v23, v45
	v_add_f32_e32 v25, v25, v47
	;; [unrolled: 1-line block ×5, first 2 shown]
	v_exp_f32_e32 v12, v12
	v_cvt_i32_f32_e32 v24, v46
	v_cvt_i32_f32_e32 v28, v48
	v_fmac_f32_e32 v49, 0x32a5705f, v31
	v_sub_f32_e32 v26, v26, v50
	v_cvt_i32_f32_e32 v29, v50
	v_cvt_i32_f32_e32 v44, v52
	v_fmac_f32_e32 v53, 0x32a5705f, v20
	v_sub_f32_e32 v41, v41, v54
	v_cvt_i32_f32_e32 v48, v56
	v_cvt_i32_f32_e32 v50, v58
	v_exp_f32_e32 v23, v23
	v_exp_f32_e32 v25, v25
	;; [unrolled: 1-line block ×5, first 2 shown]
	v_add_f32_e32 v26, v26, v49
	v_add_f32_e32 v41, v41, v53
	v_cvt_i32_f32_e32 v46, v54
	v_exp_f32_e32 v26, v26
	v_exp_f32_e32 v41, v41
	v_ldexp_f32 v12, v12, v13
	v_cmp_ngt_f32_e64 s[12:13], s23, v5
	v_ldexp_f32 v13, v23, v24
	v_cmp_ngt_f32_e32 vcc, s23, v9
	v_ldexp_f32 v23, v25, v28
	v_ldexp_f32 v25, v27, v44
	;; [unrolled: 1-line block ×3, first 2 shown]
	v_cmp_ngt_f32_e64 s[8:9], s23, v21
	v_ldexp_f32 v6, v6, v50
	v_cmp_ngt_f32_e64 s[10:11], s23, v22
	v_cndmask_b32_e64 v12, 0, v12, s[12:13]
	v_cmp_nlt_f32_e64 s[12:13], s24, v5
	v_cmp_ngt_f32_e64 s[0:1], s23, v30
	v_cndmask_b32_e32 v13, 0, v13, vcc
	v_cmp_nlt_f32_e32 vcc, s24, v9
	v_cndmask_b32_e64 v27, 0, v27, s[8:9]
	v_cmp_nlt_f32_e64 s[8:9], s24, v21
	v_cndmask_b32_e64 v21, 0, v6, s[10:11]
	v_cndmask_b32_e64 v6, v8, v12, s[12:13]
	v_ldexp_f32 v24, v26, v29
	v_cmp_ngt_f32_e64 s[2:3], s23, v31
	v_cmp_ngt_f32_e64 s[4:5], s23, v40
	v_ldexp_f32 v26, v41, v46
	v_cmp_ngt_f32_e64 s[6:7], s23, v20
	v_cndmask_b32_e64 v9, 0, v23, s[0:1]
	v_cmp_nlt_f32_e64 s[0:1], s24, v30
	v_cndmask_b32_e32 v12, v8, v13, vcc
	s_waitcnt vmcnt(7)
	v_pk_fma_f32 v[2:3], v[6:7], v[32:33], v[2:3] op_sel_hi:[0,1,1]
	v_cndmask_b32_e64 v23, 0, v24, s[2:3]
	v_cmp_nlt_f32_e64 s[2:3], s24, v31
	v_cndmask_b32_e64 v24, 0, v25, s[4:5]
	v_cndmask_b32_e64 v25, 0, v26, s[6:7]
	v_cmp_nlt_f32_e64 s[6:7], s24, v20
	v_cndmask_b32_e64 v20, v8, v9, s[0:1]
	s_waitcnt vmcnt(6)
	v_pk_fma_f32 v[2:3], v[12:13], v[34:35], v[2:3] op_sel_hi:[0,1,1]
	v_cmp_nlt_f32_e64 s[4:5], s24, v40
	v_cmp_nlt_f32_e64 s[10:11], s24, v22
	v_cndmask_b32_e64 v22, v8, v23, s[2:3]
	s_waitcnt vmcnt(5)
	v_pk_fma_f32 v[2:3], v[20:21], v[36:37], v[2:3] op_sel_hi:[0,1,1]
	v_cndmask_b32_e64 v24, v8, v24, s[4:5]
	s_waitcnt vmcnt(4)
	v_pk_fma_f32 v[2:3], v[22:23], v[38:39], v[2:3] op_sel_hi:[0,1,1]
	;; [unrolled: 3-line block ×4, first 2 shown]
	s_add_i32 s25, s25, 8
	s_add_i32 s21, s21, 64
	v_cndmask_b32_e64 v30, v8, v21, s[10:11]
	s_waitcnt vmcnt(1)
	v_pk_fma_f32 v[2:3], v[28:29], v[16:17], v[2:3] op_sel_hi:[0,1,1]
	s_cmp_eq_u32 s20, s25
	v_add_u32_e32 v4, 0x200, v4
	s_waitcnt vmcnt(0)
	v_pk_fma_f32 v[2:3], v[30:31], v[18:19], v[2:3] op_sel_hi:[0,1,1]
	s_cbranch_scc0 .LBB4_24
; %bb.25:
	s_and_b32 s0, s19, 7
	s_cmp_eq_u32 s0, 0
	s_cbranch_scc0 .LBB4_28
	s_branch .LBB4_30
.LBB4_26:
	s_waitcnt lgkmcnt(0)
	v_mov_b32_e32 v1, 0x7fc00000
	s_branch .LBB4_31
.LBB4_27:
	v_mov_b32_e32 v2, 0
	s_mov_b32 s20, 0
	v_mov_b32_e32 v3, v2
	s_and_b32 s0, s19, 7
	s_cmp_eq_u32 s0, 0
	s_cbranch_scc1 .LBB4_30
.LBB4_28:
	s_lshl_b32 s1, s20, 3
	v_lshl_or_b32 v4, s20, 6, v0
	s_add_i32 s1, s1, 0
	s_mov_b32 s2, 0x3fb8aa3b
	s_mov_b32 s3, 0xc2ce8ed0
	s_mov_b32 s4, 0x42b17218
	v_mov_b32_e32 v6, 0x7f800000
	v_mov_b32_e32 v5, 0
.LBB4_29:                               ; =>This Inner Loop Header: Depth=1
	v_lshl_add_u64 v[8:9], v[4:5], 2, s[16:17]
	global_load_dword v9, v[8:9], off
	v_mov_b32_e32 v7, s1
	ds_read_b64 v[10:11], v7
	s_add_i32 s1, s1, 8
	s_add_i32 s0, s0, -1
	v_add_u32_e32 v4, 64, v4
	s_cmp_lg_u32 s0, 0
	s_waitcnt lgkmcnt(0)
	v_sub_f32_e32 v7, v10, v1
	v_mul_f32_e32 v8, 0x3fb8aa3b, v7
	v_fma_f32 v10, v7, s2, -v8
	v_rndne_f32_e32 v12, v8
	v_fmac_f32_e32 v10, 0x32a5705f, v7
	v_sub_f32_e32 v8, v8, v12
	v_add_f32_e32 v8, v8, v10
	v_cvt_i32_f32_e32 v12, v12
	v_exp_f32_e32 v10, v8
	v_cmp_ngt_f32_e32 vcc, s3, v7
	v_mov_b32_e32 v8, v11
	v_ldexp_f32 v10, v10, v12
	v_cndmask_b32_e32 v10, 0, v10, vcc
	v_cmp_nlt_f32_e32 vcc, s4, v7
	s_nop 1
	v_cndmask_b32_e32 v10, v6, v10, vcc
	s_waitcnt vmcnt(0)
	v_pk_fma_f32 v[2:3], v[10:11], v[8:9], v[2:3] op_sel_hi:[0,1,1]
	s_cbranch_scc1 .LBB4_29
.LBB4_30:
	s_waitcnt lgkmcnt(0)
	v_div_scale_f32 v1, s[0:1], v2, v2, v3
	v_rcp_f32_e32 v4, v1
	v_div_scale_f32 v5, vcc, v3, v2, v3
	v_fma_f32 v6, -v1, v4, 1.0
	v_fmac_f32_e32 v4, v6, v4
	v_mul_f32_e32 v6, v5, v4
	v_fma_f32 v7, -v1, v6, v5
	v_fmac_f32_e32 v6, v7, v4
	v_fma_f32 v1, -v1, v6, v5
	v_div_fmas_f32 v1, v1, v4, v6
	v_div_fixup_f32 v1, v1, v2, v3
.LBB4_31:
	s_lshl_b32 s0, s18, 6
	s_ashr_i32 s1, s0, 31
	s_lshl_b64 s[0:1], s[0:1], 2
	s_add_u32 s0, s14, s0
	s_addc_u32 s1, s15, s1
	v_lshlrev_b32_e32 v0, 2, v0
	global_store_dword v0, v1, s[0:1]
	s_endpgm
	.section	.rodata,"a",@progbits
	.p2align	6, 0x0
	.amdhsa_kernel _ZL26flash_attn_combine_resultsILi64EEvPKfPK15HIP_vector_typeIfLj2EEPfi
		.amdhsa_group_segment_fixed_size 0
		.amdhsa_private_segment_fixed_size 0
		.amdhsa_kernarg_size 288
		.amdhsa_user_sgpr_count 2
		.amdhsa_user_sgpr_dispatch_ptr 0
		.amdhsa_user_sgpr_queue_ptr 0
		.amdhsa_user_sgpr_kernarg_segment_ptr 1
		.amdhsa_user_sgpr_dispatch_id 0
		.amdhsa_user_sgpr_kernarg_preload_length 0
		.amdhsa_user_sgpr_kernarg_preload_offset 0
		.amdhsa_user_sgpr_private_segment_size 0
		.amdhsa_uses_dynamic_stack 0
		.amdhsa_enable_private_segment 0
		.amdhsa_system_sgpr_workgroup_id_x 1
		.amdhsa_system_sgpr_workgroup_id_y 1
		.amdhsa_system_sgpr_workgroup_id_z 1
		.amdhsa_system_sgpr_workgroup_info 0
		.amdhsa_system_vgpr_workitem_id 0
		.amdhsa_next_free_vgpr 59
		.amdhsa_next_free_sgpr 26
		.amdhsa_accum_offset 60
		.amdhsa_reserve_vcc 1
		.amdhsa_float_round_mode_32 0
		.amdhsa_float_round_mode_16_64 0
		.amdhsa_float_denorm_mode_32 3
		.amdhsa_float_denorm_mode_16_64 3
		.amdhsa_dx10_clamp 1
		.amdhsa_ieee_mode 1
		.amdhsa_fp16_overflow 0
		.amdhsa_tg_split 0
		.amdhsa_exception_fp_ieee_invalid_op 0
		.amdhsa_exception_fp_denorm_src 0
		.amdhsa_exception_fp_ieee_div_zero 0
		.amdhsa_exception_fp_ieee_overflow 0
		.amdhsa_exception_fp_ieee_underflow 0
		.amdhsa_exception_fp_ieee_inexact 0
		.amdhsa_exception_int_div_zero 0
	.end_amdhsa_kernel
	.section	.text._ZL26flash_attn_combine_resultsILi64EEvPKfPK15HIP_vector_typeIfLj2EEPfi,"axG",@progbits,_ZL26flash_attn_combine_resultsILi64EEvPKfPK15HIP_vector_typeIfLj2EEPfi,comdat
.Lfunc_end4:
	.size	_ZL26flash_attn_combine_resultsILi64EEvPKfPK15HIP_vector_typeIfLj2EEPfi, .Lfunc_end4-_ZL26flash_attn_combine_resultsILi64EEvPKfPK15HIP_vector_typeIfLj2EEPfi
                                        ; -- End function
	.set _ZL26flash_attn_combine_resultsILi64EEvPKfPK15HIP_vector_typeIfLj2EEPfi.num_vgpr, 59
	.set _ZL26flash_attn_combine_resultsILi64EEvPKfPK15HIP_vector_typeIfLj2EEPfi.num_agpr, 0
	.set _ZL26flash_attn_combine_resultsILi64EEvPKfPK15HIP_vector_typeIfLj2EEPfi.numbered_sgpr, 26
	.set _ZL26flash_attn_combine_resultsILi64EEvPKfPK15HIP_vector_typeIfLj2EEPfi.num_named_barrier, 0
	.set _ZL26flash_attn_combine_resultsILi64EEvPKfPK15HIP_vector_typeIfLj2EEPfi.private_seg_size, 0
	.set _ZL26flash_attn_combine_resultsILi64EEvPKfPK15HIP_vector_typeIfLj2EEPfi.uses_vcc, 1
	.set _ZL26flash_attn_combine_resultsILi64EEvPKfPK15HIP_vector_typeIfLj2EEPfi.uses_flat_scratch, 0
	.set _ZL26flash_attn_combine_resultsILi64EEvPKfPK15HIP_vector_typeIfLj2EEPfi.has_dyn_sized_stack, 0
	.set _ZL26flash_attn_combine_resultsILi64EEvPKfPK15HIP_vector_typeIfLj2EEPfi.has_recursion, 0
	.set _ZL26flash_attn_combine_resultsILi64EEvPKfPK15HIP_vector_typeIfLj2EEPfi.has_indirect_call, 0
	.section	.AMDGPU.csdata,"",@progbits
; Kernel info:
; codeLenInByte = 2900
; TotalNumSgprs: 32
; NumVgprs: 59
; NumAgprs: 0
; TotalNumVgprs: 59
; ScratchSize: 0
; MemoryBound: 0
; FloatMode: 240
; IeeeMode: 1
; LDSByteSize: 0 bytes/workgroup (compile time only)
; SGPRBlocks: 3
; VGPRBlocks: 7
; NumSGPRsForWavesPerEU: 32
; NumVGPRsForWavesPerEU: 59
; AccumOffset: 60
; Occupancy: 8
; WaveLimiterHint : 0
; COMPUTE_PGM_RSRC2:SCRATCH_EN: 0
; COMPUTE_PGM_RSRC2:USER_SGPR: 2
; COMPUTE_PGM_RSRC2:TRAP_HANDLER: 0
; COMPUTE_PGM_RSRC2:TGID_X_EN: 1
; COMPUTE_PGM_RSRC2:TGID_Y_EN: 1
; COMPUTE_PGM_RSRC2:TGID_Z_EN: 1
; COMPUTE_PGM_RSRC2:TIDIG_COMP_CNT: 0
; COMPUTE_PGM_RSRC3_GFX90A:ACCUM_OFFSET: 14
; COMPUTE_PGM_RSRC3_GFX90A:TG_SPLIT: 0
	.section	.text._ZL15flash_attn_tileILi64ELi64ELi4ELi8ELb0EEvPKcS1_S1_S1_S1_PKiPfP15HIP_vector_typeIfLj2EEffffjfiS5_IjLj3EEiiiiiiiiiiiliiliiiiil,"axG",@progbits,_ZL15flash_attn_tileILi64ELi64ELi4ELi8ELb0EEvPKcS1_S1_S1_S1_PKiPfP15HIP_vector_typeIfLj2EEffffjfiS5_IjLj3EEiiiiiiiiiiiliiliiiiil,comdat
	.globl	_ZL15flash_attn_tileILi64ELi64ELi4ELi8ELb0EEvPKcS1_S1_S1_S1_PKiPfP15HIP_vector_typeIfLj2EEffffjfiS5_IjLj3EEiiiiiiiiiiiliiliiiiil ; -- Begin function _ZL15flash_attn_tileILi64ELi64ELi4ELi8ELb0EEvPKcS1_S1_S1_S1_PKiPfP15HIP_vector_typeIfLj2EEffffjfiS5_IjLj3EEiiiiiiiiiiiliiliiiiil
	.p2align	8
	.type	_ZL15flash_attn_tileILi64ELi64ELi4ELi8ELb0EEvPKcS1_S1_S1_S1_PKiPfP15HIP_vector_typeIfLj2EEffffjfiS5_IjLj3EEiiiiiiiiiiiliiliiiiil,@function
_ZL15flash_attn_tileILi64ELi64ELi4ELi8ELb0EEvPKcS1_S1_S1_S1_PKiPfP15HIP_vector_typeIfLj2EEffffjfiS5_IjLj3EEiiiiiiiiiiiliiliiiiil: ; @_ZL15flash_attn_tileILi64ELi64ELi4ELi8ELb0EEvPKcS1_S1_S1_S1_PKiPfP15HIP_vector_typeIfLj2EEffffjfiS5_IjLj3EEiiiiiiiiiiiliiliiiiil
; %bb.0:
	s_load_dwordx4 s[20:23], s[0:1], 0x5c
	s_load_dwordx2 s[24:25], s[0:1], 0x80
	s_load_dwordx2 s[28:29], s[0:1], 0xb8
	s_mov_b64 s[26:27], 0
	s_waitcnt lgkmcnt(0)
	s_ashr_i32 s5, s23, 31
	s_lshr_b32 s5, s5, 29
	s_add_i32 s5, s23, s5
	s_ashr_i32 s5, s5, 3
	v_cvt_f32_u32_e32 v1, s5
	s_sub_i32 s6, 0, s5
	v_rcp_iflag_f32_e32 v1, v1
	s_nop 0
	v_mul_f32_e32 v1, 0x4f7ffffe, v1
	v_cvt_u32_f32_e32 v1, v1
	s_nop 0
	v_readfirstlane_b32 s7, v1
	s_mul_i32 s6, s6, s7
	s_mul_hi_u32 s6, s7, s6
	s_add_i32 s7, s7, s6
	s_mul_hi_u32 s6, s4, s7
	s_mul_i32 s7, s6, s5
	s_sub_i32 s7, s4, s7
	s_add_i32 s8, s6, 1
	s_sub_i32 s9, s7, s5
	s_cmp_ge_u32 s7, s5
	s_cselect_b32 s6, s8, s6
	s_cselect_b32 s7, s9, s7
	s_add_i32 s8, s6, 1
	s_cmp_ge_u32 s7, s5
	s_cselect_b32 s30, s8, s6
	s_abs_i32 s5, s25
	v_cvt_f32_u32_e32 v1, s5
	s_lshl_b32 s4, s4, 3
	s_mul_i32 s8, s30, s23
	s_xor_b32 s6, s23, s25
	v_rcp_iflag_f32_e32 v1, v1
	s_sub_i32 s9, 0, s5
	s_sub_i32 s25, s4, s8
	s_abs_i32 s7, s23
	v_mul_f32_e32 v1, 0x4f7ffffe, v1
	v_cvt_u32_f32_e32 v1, v1
	s_ashr_i32 s6, s6, 31
	v_readfirstlane_b32 s4, v1
	s_mul_i32 s9, s9, s4
	s_mul_hi_u32 s8, s4, s9
	s_add_i32 s4, s4, s8
	s_mul_hi_u32 s4, s7, s4
	s_mul_i32 s8, s4, s5
	s_sub_i32 s7, s7, s8
	s_add_i32 s9, s4, 1
	s_sub_i32 s8, s7, s5
	s_cmp_ge_u32 s7, s5
	s_cselect_b32 s4, s9, s4
	s_cselect_b32 s7, s8, s7
	s_add_i32 s8, s4, 1
	s_cmp_ge_u32 s7, s5
	s_cselect_b32 s4, s8, s4
	s_xor_b32 s4, s4, s6
	s_sub_i32 s33, s4, s6
	s_abs_i32 s31, s33
	v_cvt_f32_u32_e32 v1, s31
	s_load_dwordx16 s[4:19], s[0:1], 0x0
	v_rcp_iflag_f32_e32 v1, v1
	s_waitcnt lgkmcnt(0)
	s_cmp_eq_u64 s[10:11], 0
	v_mul_f32_e32 v1, 0x4f7ffffe, v1
	v_cvt_u32_f32_e32 v1, v1
	s_nop 0
	v_readfirstlane_b32 s34, v1
	s_cbranch_scc1 .LBB5_2
; %bb.1:
	s_abs_i32 s28, s28
	v_cvt_f32_u32_e32 v1, s28
	s_sub_i32 s37, 0, s28
	s_abs_i32 s36, s30
	s_ashr_i32 s35, s30, 31
	v_rcp_iflag_f32_e32 v1, v1
	s_load_dwordx2 s[26:27], s[0:1], 0xc8
	v_mul_f32_e32 v1, 0x4f7ffffe, v1
	v_cvt_u32_f32_e32 v1, v1
	s_nop 0
	v_readfirstlane_b32 s38, v1
	s_mul_i32 s37, s37, s38
	s_mul_hi_u32 s37, s38, s37
	s_add_i32 s38, s38, s37
	s_mul_hi_u32 s37, s36, s38
	s_mul_i32 s37, s37, s28
	s_sub_i32 s36, s36, s37
	s_sub_i32 s37, s36, s28
	s_cmp_ge_u32 s36, s28
	s_cselect_b32 s36, s37, s36
	s_sub_i32 s37, s36, s28
	s_cmp_ge_u32 s36, s28
	s_cselect_b32 s28, s37, s36
	s_xor_b32 s28, s28, s35
	s_sub_i32 s28, s28, s35
	s_ashr_i32 s35, s28, 31
	s_waitcnt lgkmcnt(0)
	s_mul_hi_u32 s36, s26, s28
	s_mul_i32 s35, s26, s35
	s_mul_i32 s27, s27, s28
	s_add_i32 s35, s36, s35
	s_add_i32 s35, s35, s27
	s_mul_i32 s26, s26, s28
	s_add_u32 s26, s10, s26
	s_addc_u32 s27, s11, s35
.LBB5_2:
	s_load_dwordx4 s[36:39], s[0:1], 0x70
	v_lshrrev_b32_e32 v2, 10, v0
	v_bfe_u32 v2, v2, 1, 9
	v_lshl_add_u32 v17, s2, 2, v2
	v_mul_hi_u32 v2, s20, v17
	s_waitcnt lgkmcnt(0)
	s_mul_i32 s10, s30, s38
	s_ashr_i32 s28, s10, 31
	s_mul_i32 s11, s25, s37
	s_add_u32 s4, s4, s10
	s_addc_u32 s5, s5, s28
	s_ashr_i32 s10, s11, 31
	v_add_u32_e32 v2, v17, v2
	s_add_u32 s4, s4, s11
	v_lshrrev_b32_e32 v2, s21, v2
	s_addc_u32 s5, s5, s10
	s_ashr_i32 s11, s37, 31
	s_mov_b32 s10, s37
	v_mul_lo_u32 v2, v2, s22
	s_ashr_i32 s37, s36, 31
	v_sub_u32_e32 v4, v17, v2
	s_lshr_b64 s[20:21], s[36:37], 2
	v_mad_u64_u32 v[2:3], s[20:21], s20, v4, 0
	s_lshr_b64 s[38:39], s[10:11], 2
	v_mov_b32_e32 v6, v3
	s_lshr_b32 s10, s37, 2
	v_mad_u64_u32 v[6:7], s[20:21], s10, v4, v[6:7]
	v_bfe_u32 v5, v0, 10, 10
	v_mov_b32_e32 v3, v6
	v_and_b32_e32 v16, 0x3ff, v0
	v_lshlrev_b32_e32 v1, 2, v5
	v_lshl_add_u64 v[6:7], v[2:3], 2, s[4:5]
	v_lshlrev_b32_e32 v2, 3, v16
	v_mov_b32_e32 v3, 0
	v_lshl_add_u64 v[6:7], v[6:7], 0, v[2:3]
	v_and_b32_e32 v34, 4, v1
	s_lshr_b32 s10, s11, 2
	v_bitop3_b32 v3, v1, 5, 1 bitop3:0xc8
	v_mul_lo_u32 v0, s10, v34
	v_mad_u64_u32 v[8:9], s[4:5], s38, v34, 0
	v_mad_u64_u32 v[10:11], s[4:5], s38, v3, 0
	v_or_b32_e32 v9, v9, v0
	v_mov_b32_e32 v0, v11
	v_mad_u64_u32 v[12:13], s[4:5], s10, v3, v[0:1]
	v_bitop3_b32 v3, v1, 6, 2 bitop3:0xc8
	v_mov_b32_e32 v11, v12
	v_mad_u64_u32 v[12:13], s[4:5], s38, v3, 0
	v_mov_b32_e32 v0, v13
	v_mad_u64_u32 v[14:15], s[4:5], s10, v3, v[0:1]
	v_lshl_add_u64 v[8:9], v[8:9], 2, v[6:7]
	v_mov_b32_e32 v13, v14
	v_bitop3_b32 v3, v1, 7, 3 bitop3:0xc8
	v_lshl_add_u64 v[10:11], v[10:11], 2, v[6:7]
	v_lshl_add_u64 v[12:13], v[12:13], 2, v[6:7]
	global_load_dwordx2 v[14:15], v[8:9], off
	global_load_dwordx2 v[18:19], v[10:11], off
	;; [unrolled: 1-line block ×3, first 2 shown]
	v_mad_u64_u32 v[8:9], s[4:5], s38, v3, 0
	v_mov_b32_e32 v0, v9
	v_mad_u64_u32 v[10:11], s[4:5], s10, v3, v[0:1]
	v_mov_b32_e32 v9, v10
	v_lshl_add_u64 v[6:7], v[8:9], 2, v[6:7]
	global_load_dwordx2 v[6:7], v[6:7], off
	s_load_dword s4, s[0:1], 0x40
	v_mov_b32_e32 v0, 0x3400
	v_lshl_add_u32 v3, v16, 2, v0
	v_lshlrev_b32_e32 v0, 9, v5
	v_or_b32_e32 v8, 1, v1
	v_or_b32_e32 v9, 2, v1
	;; [unrolled: 1-line block ×3, first 2 shown]
	v_add_u32_e32 v5, v3, v0
	v_lshl_add_u32 v8, v8, 7, v3
	v_lshl_add_u32 v9, v9, 7, v3
	;; [unrolled: 1-line block ×3, first 2 shown]
	s_cmp_eq_u64 s[14:15], 0
	s_waitcnt vmcnt(3) lgkmcnt(0)
	v_fma_mixlo_f16 v11, s4, v15, 0
	v_fma_mixlo_f16 v10, s4, v14, 0
	s_waitcnt vmcnt(2)
	v_fma_mixlo_f16 v13, s4, v19, 0
	s_waitcnt vmcnt(1)
	v_fma_mixlo_f16 v15, s4, v21, 0
	v_lshlrev_b32_e32 v11, 16, v11
	v_fma_mixlo_f16 v12, s4, v18, 0
	v_fma_mixlo_f16 v14, s4, v20, 0
	v_lshlrev_b32_e32 v13, 16, v13
	v_lshlrev_b32_e32 v15, 16, v15
	v_or_b32_sdwa v10, v11, v10 dst_sel:DWORD dst_unused:UNUSED_PAD src0_sel:DWORD src1_sel:WORD_0
	s_waitcnt vmcnt(0)
	v_fma_mixlo_f16 v7, s4, v7, 0
	v_fma_mixlo_f16 v6, s4, v6, 0
	v_lshlrev_b32_e32 v7, 16, v7
	v_or_b32_sdwa v11, v13, v12 dst_sel:DWORD dst_unused:UNUSED_PAD src0_sel:DWORD src1_sel:WORD_0
	v_or_b32_sdwa v12, v15, v14 dst_sel:DWORD dst_unused:UNUSED_PAD src0_sel:DWORD src1_sel:WORD_0
	;; [unrolled: 1-line block ×3, first 2 shown]
	ds_write_b32 v5, v10
	ds_write_b32 v8, v11
	;; [unrolled: 1-line block ×4, first 2 shown]
	s_waitcnt lgkmcnt(0)
	s_barrier
	s_cbranch_scc1 .LBB5_4
; %bb.3:
	s_load_dword s4, s[0:1], 0xd0
	s_mov_b32 s5, 0
	s_waitcnt lgkmcnt(0)
	s_mul_i32 s4, s4, s30
	s_add_i32 s4, s4, s2
	s_lshl_b64 s[4:5], s[4:5], 2
	s_add_u32 s4, s14, s4
	s_addc_u32 s5, s15, s5
	s_load_dword s24, s[4:5], 0x0
.LBB5_4:
	s_lshl_b32 s2, s3, 6
	s_waitcnt lgkmcnt(0)
	s_cmp_lt_i32 s2, s24
	v_mbcnt_lo_u32_b32 v3, -1, 0
	s_cbranch_scc1 .LBB5_7
; %bb.5:
	v_mbcnt_hi_u32_b32 v29, -1, v3
	v_and_b32_e32 v5, 0x60, v29
	v_add_u32_e32 v35, 32, v5
	v_xor_b32_e32 v38, 16, v29
	v_xor_b32_e32 v39, 8, v29
	;; [unrolled: 1-line block ×5, first 2 shown]
	s_cbranch_execz .LBB5_8
; %bb.6:
	v_mov_b32_e32 v19, 0
	v_mov_b32_e32 v58, 0
	;; [unrolled: 1-line block ×12, first 2 shown]
	s_branch .LBB5_10
.LBB5_7:
                                        ; implicit-def: $vgpr29
                                        ; implicit-def: $vgpr35
                                        ; implicit-def: $vgpr38
                                        ; implicit-def: $vgpr39
                                        ; implicit-def: $vgpr40
                                        ; implicit-def: $vgpr37
                                        ; implicit-def: $vgpr36
.LBB5_8:
	s_sub_i32 s4, 0, s31
	s_mul_i32 s4, s4, s34
	s_mul_hi_u32 s4, s34, s4
	s_add_i32 s34, s34, s4
	s_load_dwordx2 s[4:5], s[0:1], 0x8c
	s_load_dwordx4 s[36:39], s[0:1], 0x98
	s_abs_i32 s20, s25
	s_mul_hi_u32 s21, s20, s34
	s_ashr_i32 s28, s25, 31
	s_waitcnt lgkmcnt(0)
	s_ashr_i32 s11, s4, 2
	s_ashr_i32 s4, s30, 31
	s_mul_hi_u32 s34, s36, s30
	s_mul_i32 s35, s36, s4
	s_add_i32 s34, s34, s35
	s_mul_i32 s35, s37, s30
	s_ashr_i32 s33, s33, 31
	s_ashr_i32 s10, s38, 2
	;; [unrolled: 1-line block ×3, first 2 shown]
	s_add_i32 s34, s34, s35
	s_mul_i32 s35, s36, s30
	s_add_u32 s6, s6, s35
	s_addc_u32 s7, s7, s34
	s_xor_b32 s28, s28, s33
	s_mul_i32 s33, s21, s31
	s_sub_i32 s20, s20, s33
	s_add_i32 s33, s21, 1
	s_sub_i32 s34, s20, s31
	s_cmp_ge_u32 s20, s31
	s_cselect_b32 s21, s33, s21
	s_cselect_b32 s20, s34, s20
	s_add_i32 s33, s21, 1
	s_cmp_ge_u32 s20, s31
	s_load_dwordx2 s[14:15], s[0:1], 0xa8
	s_cselect_b32 s20, s33, s21
	s_xor_b32 s20, s20, s28
	s_sub_i32 s20, s20, s28
	s_mul_i32 s5, s20, s5
	s_ashr_i32 s21, s5, 31
	s_add_u32 s6, s6, s5
	s_waitcnt lgkmcnt(0)
	s_mul_hi_u32 s5, s14, s30
	s_mul_i32 s4, s14, s4
	s_addc_u32 s7, s7, s21
	s_add_i32 s4, s5, s4
	s_mul_i32 s5, s15, s30
	s_add_i32 s4, s4, s5
	s_mul_i32 s5, s14, s30
	s_add_u32 s5, s8, s5
	s_mul_i32 s20, s20, s39
	s_addc_u32 s4, s9, s4
	s_ashr_i32 s9, s20, 31
	v_lshlrev_b32_e32 v41, 2, v16
	s_add_u32 s8, s5, s20
	v_lshrrev_b32_e32 v5, 3, v16
	v_and_b32_e32 v6, 28, v41
	s_addc_u32 s9, s4, s9
	v_add_u32_e32 v1, v5, v1
	v_lshlrev_b32_e32 v5, 2, v6
	s_movk_i32 s4, 0x90
	v_mad_u32_u24 v42, v1, s4, v5
	v_mad_u64_u32 v[28:29], s[4:5], v4, s29, v[16:17]
	v_mul_lo_u32 v24, s11, v1
	v_mul_lo_u32 v30, s10, v1
	v_mbcnt_hi_u32_b32 v29, -1, v3
	v_mov_b32_e32 v23, 0
	v_lshl_add_u32 v26, s11, 5, v24
	v_add_u32_e32 v45, 0x2400, v0
	v_lshl_or_b32 v46, v1, 7, v5
	v_lshl_add_u32 v32, s10, 5, v30
	s_add_u32 s4, s0, 0xd0
	v_and_b32_e32 v1, 0x60, v29
	v_ashrrev_i32_e32 v25, 31, v24
	v_ashrrev_i32_e32 v27, 31, v26
	v_add_u32_e32 v43, 0x3400, v0
	v_mul_u32_u24_e32 v44, 0x90, v16
	v_ashrrev_i32_e32 v31, 31, v30
	v_ashrrev_i32_e32 v33, 31, v32
	s_addc_u32 s5, s1, 0
	v_mov_b32_e32 v0, 0xfeffffff
	v_lshlrev_b32_e32 v22, 2, v6
	v_add_u32_e32 v35, 32, v1
	v_xor_b32_e32 v38, 16, v29
	v_xor_b32_e32 v39, 8, v29
	;; [unrolled: 1-line block ×5, first 2 shown]
	s_mov_b32 s14, 0x3fb8aa3b
	s_mov_b32 s15, 0xc2ce8ed0
	;; [unrolled: 1-line block ×3, first 2 shown]
	v_mov_b32_e32 v47, 0x7f800000
	s_mov_b32 s21, 0x10001
	v_add_u32_e32 v48, v45, v2
	v_add_u32_e32 v49, 0x400, v41
	;; [unrolled: 1-line block ×8, first 2 shown]
	v_mov_b32_e32 v59, v23
	v_mov_b32_e32 v56, v23
	;; [unrolled: 1-line block ×11, first 2 shown]
.LBB5_9:                                ; =>This Inner Loop Header: Depth=1
	s_mul_hi_i32 s29, s2, s11
	s_mul_i32 s28, s2, s11
	s_lshl_b64 s[28:29], s[28:29], 2
	s_add_u32 s28, s6, s28
	s_addc_u32 s29, s7, s29
	v_mov_b32_e32 v62, v1
	v_mov_b32_e32 v63, v0
	v_lshl_add_u64 v[0:1], v[24:25], 2, s[28:29]
	v_lshl_add_u64 v[0:1], v[0:1], 0, v[22:23]
	v_mov_b32_e32 v60, v3
	v_mov_b32_e32 v61, v2
	global_load_dwordx4 v[0:3], v[0:1], off
	v_add_u32_e32 v4, 0x1200, v42
	v_mov_b32_e32 v64, 0
	v_mov_b32_e32 v65, 0
	;; [unrolled: 1-line block ×4, first 2 shown]
	v_cmp_lt_i32_e32 vcc, v38, v35
	s_waitcnt vmcnt(0)
	ds_write_b128 v42, v[0:3]
	v_lshl_add_u64 v[0:1], v[26:27], 2, s[28:29]
	v_lshl_add_u64 v[0:1], v[0:1], 0, v[22:23]
	global_load_dwordx4 v[0:3], v[0:1], off
	s_mul_hi_i32 s29, s2, s10
	s_mul_i32 s28, s2, s10
	s_lshl_b64 s[28:29], s[28:29], 2
	s_add_u32 s28, s8, s28
	s_addc_u32 s29, s9, s29
	s_waitcnt vmcnt(0)
	ds_write_b128 v4, v[0:3]
	s_waitcnt lgkmcnt(0)
	s_barrier
	ds_read_b128 v[68:71], v44
	ds_read_b128 v[0:3], v44 offset:4608
	ds_read_b128 v[72:75], v43
	ds_read_b128 v[12:15], v43 offset:128
	ds_read_b128 v[8:11], v43 offset:256
	;; [unrolled: 1-line block ×3, first 2 shown]
	s_waitcnt lgkmcnt(3)
	;;#ASMSTART
	v_dot2_f32_f16 v64, v68, v72, v64
	;;#ASMEND
	s_nop 0
	;;#ASMSTART
	v_dot2_f32_f16 v64, v69, v73, v64
	;;#ASMEND
	s_nop 0
	;;#ASMSTART
	v_dot2_f32_f16 v64, v70, v74, v64
	;;#ASMEND
	s_nop 0
	;;#ASMSTART
	v_dot2_f32_f16 v64, v71, v75, v64
	;;#ASMEND
	s_waitcnt lgkmcnt(2)
	;;#ASMSTART
	v_dot2_f32_f16 v65, v68, v12, v65
	;;#ASMEND
	s_nop 0
	;;#ASMSTART
	v_dot2_f32_f16 v65, v69, v13, v65
	;;#ASMEND
	s_nop 0
	;;#ASMSTART
	v_dot2_f32_f16 v65, v70, v14, v65
	;;#ASMEND
	s_nop 0
	;;#ASMSTART
	v_dot2_f32_f16 v65, v71, v15, v65
	;;#ASMEND
	;; [unrolled: 16-line block ×3, first 2 shown]
	s_waitcnt lgkmcnt(0)
	;;#ASMSTART
	v_dot2_f32_f16 v67, v68, v4, v67
	;;#ASMEND
	v_mov_b32_e32 v68, 0
	;;#ASMSTART
	v_dot2_f32_f16 v67, v69, v5, v67
	;;#ASMEND
	v_mov_b32_e32 v69, 0
	;;#ASMSTART
	v_dot2_f32_f16 v67, v70, v6, v67
	;;#ASMEND
	s_nop 0
	;;#ASMSTART
	v_dot2_f32_f16 v67, v71, v7, v67
	;;#ASMEND
	;;#ASMSTART
	v_dot2_f32_f16 v68, v0, v72, v68
	;;#ASMEND
	s_nop 0
	;;#ASMSTART
	v_dot2_f32_f16 v68, v1, v73, v68
	;;#ASMEND
	s_nop 0
	;; [unrolled: 4-line block ×3, first 2 shown]
	;;#ASMSTART
	v_dot2_f32_f16 v68, v3, v75, v68
	;;#ASMEND
	;;#ASMSTART
	v_dot2_f32_f16 v69, v0, v12, v69
	;;#ASMEND
	v_mov_b32_e32 v12, 0
	;;#ASMSTART
	v_dot2_f32_f16 v69, v1, v13, v69
	;;#ASMEND
	s_nop 0
	;;#ASMSTART
	v_dot2_f32_f16 v69, v2, v14, v69
	;;#ASMEND
	s_nop 0
	;;#ASMSTART
	v_dot2_f32_f16 v69, v3, v15, v69
	;;#ASMEND
	;;#ASMSTART
	v_dot2_f32_f16 v12, v0, v8, v12
	;;#ASMEND
	v_mov_b32_e32 v8, 0
	;;#ASMSTART
	v_dot2_f32_f16 v12, v1, v9, v12
	;;#ASMEND
	s_nop 0
	;;#ASMSTART
	v_dot2_f32_f16 v12, v2, v10, v12
	;;#ASMEND
	s_nop 0
	;;#ASMSTART
	v_dot2_f32_f16 v12, v3, v11, v12
	;;#ASMEND
	;;#ASMSTART
	v_dot2_f32_f16 v8, v0, v4, v8
	;;#ASMEND
	s_nop 0
	;;#ASMSTART
	v_dot2_f32_f16 v8, v1, v5, v8
	;;#ASMEND
	s_nop 0
	;; [unrolled: 4-line block ×3, first 2 shown]
	;;#ASMSTART
	v_dot2_f32_f16 v8, v3, v7, v8
	;;#ASMEND
	ds_read_b128 v[0:3], v44 offset:16
	ds_read_b128 v[4:7], v44 offset:4624
	;; [unrolled: 1-line block ×6, first 2 shown]
	s_waitcnt lgkmcnt(3)
	;;#ASMSTART
	v_dot2_f32_f16 v64, v0, v70, v64
	;;#ASMEND
	s_nop 0
	;;#ASMSTART
	v_dot2_f32_f16 v64, v1, v71, v64
	;;#ASMEND
	s_nop 0
	;;#ASMSTART
	v_dot2_f32_f16 v64, v2, v72, v64
	;;#ASMEND
	s_nop 0
	;;#ASMSTART
	v_dot2_f32_f16 v64, v3, v73, v64
	;;#ASMEND
	s_waitcnt lgkmcnt(2)
	;;#ASMSTART
	v_dot2_f32_f16 v65, v0, v74, v65
	;;#ASMEND
	s_nop 0
	;;#ASMSTART
	v_dot2_f32_f16 v65, v1, v75, v65
	;;#ASMEND
	s_nop 0
	;;#ASMSTART
	v_dot2_f32_f16 v65, v2, v76, v65
	;;#ASMEND
	s_nop 0
	;;#ASMSTART
	v_dot2_f32_f16 v65, v3, v77, v65
	;;#ASMEND
	;; [unrolled: 16-line block ×4, first 2 shown]
	;;#ASMSTART
	v_dot2_f32_f16 v68, v4, v70, v68
	;;#ASMEND
	s_nop 0
	;;#ASMSTART
	v_dot2_f32_f16 v68, v5, v71, v68
	;;#ASMEND
	s_nop 0
	;;#ASMSTART
	v_dot2_f32_f16 v68, v6, v72, v68
	;;#ASMEND
	s_nop 0
	;;#ASMSTART
	v_dot2_f32_f16 v68, v7, v73, v68
	;;#ASMEND
	;;#ASMSTART
	v_dot2_f32_f16 v69, v4, v74, v69
	;;#ASMEND
	s_nop 0
	;;#ASMSTART
	v_dot2_f32_f16 v69, v5, v75, v69
	;;#ASMEND
	s_nop 0
	;;#ASMSTART
	v_dot2_f32_f16 v69, v6, v76, v69
	;;#ASMEND
	s_nop 0
	;;#ASMSTART
	v_dot2_f32_f16 v69, v7, v77, v69
	;;#ASMEND
	;; [unrolled: 15-line block ×4, first 2 shown]
	ds_read_b128 v[0:3], v44 offset:32
	ds_read_b128 v[4:7], v44 offset:4640
	;; [unrolled: 1-line block ×6, first 2 shown]
	s_waitcnt lgkmcnt(3)
	;;#ASMSTART
	v_dot2_f32_f16 v64, v0, v70, v64
	;;#ASMEND
	s_nop 0
	;;#ASMSTART
	v_dot2_f32_f16 v64, v1, v71, v64
	;;#ASMEND
	s_nop 0
	;;#ASMSTART
	v_dot2_f32_f16 v64, v2, v72, v64
	;;#ASMEND
	s_nop 0
	;;#ASMSTART
	v_dot2_f32_f16 v64, v3, v73, v64
	;;#ASMEND
	s_waitcnt lgkmcnt(2)
	;;#ASMSTART
	v_dot2_f32_f16 v65, v0, v74, v65
	;;#ASMEND
	s_nop 0
	;;#ASMSTART
	v_dot2_f32_f16 v65, v1, v75, v65
	;;#ASMEND
	s_nop 0
	;;#ASMSTART
	v_dot2_f32_f16 v65, v2, v76, v65
	;;#ASMEND
	s_nop 0
	;;#ASMSTART
	v_dot2_f32_f16 v65, v3, v77, v65
	;;#ASMEND
	;; [unrolled: 16-line block ×4, first 2 shown]
	;;#ASMSTART
	v_dot2_f32_f16 v68, v4, v70, v68
	;;#ASMEND
	s_nop 0
	;;#ASMSTART
	v_dot2_f32_f16 v68, v5, v71, v68
	;;#ASMEND
	s_nop 0
	;;#ASMSTART
	v_dot2_f32_f16 v68, v6, v72, v68
	;;#ASMEND
	s_nop 0
	;;#ASMSTART
	v_dot2_f32_f16 v68, v7, v73, v68
	;;#ASMEND
	;;#ASMSTART
	v_dot2_f32_f16 v69, v4, v74, v69
	;;#ASMEND
	s_nop 0
	;;#ASMSTART
	v_dot2_f32_f16 v69, v5, v75, v69
	;;#ASMEND
	s_nop 0
	;;#ASMSTART
	v_dot2_f32_f16 v69, v6, v76, v69
	;;#ASMEND
	s_nop 0
	;;#ASMSTART
	v_dot2_f32_f16 v69, v7, v77, v69
	;;#ASMEND
	;; [unrolled: 15-line block ×4, first 2 shown]
	ds_read_b128 v[0:3], v44 offset:48
	ds_read_b128 v[4:7], v44 offset:4656
	;; [unrolled: 1-line block ×6, first 2 shown]
	s_waitcnt lgkmcnt(3)
	;;#ASMSTART
	v_dot2_f32_f16 v64, v0, v70, v64
	;;#ASMEND
	s_nop 0
	;;#ASMSTART
	v_dot2_f32_f16 v64, v1, v71, v64
	;;#ASMEND
	s_nop 0
	;;#ASMSTART
	v_dot2_f32_f16 v64, v2, v72, v64
	;;#ASMEND
	s_nop 0
	;;#ASMSTART
	v_dot2_f32_f16 v64, v3, v73, v64
	;;#ASMEND
	s_waitcnt lgkmcnt(2)
	;;#ASMSTART
	v_dot2_f32_f16 v65, v0, v74, v65
	;;#ASMEND
	s_nop 0
	;;#ASMSTART
	v_dot2_f32_f16 v65, v1, v75, v65
	;;#ASMEND
	s_nop 0
	;;#ASMSTART
	v_dot2_f32_f16 v65, v2, v76, v65
	;;#ASMEND
	s_nop 0
	;;#ASMSTART
	v_dot2_f32_f16 v65, v3, v77, v65
	;;#ASMEND
	;; [unrolled: 16-line block ×4, first 2 shown]
	;;#ASMSTART
	v_dot2_f32_f16 v68, v4, v70, v68
	;;#ASMEND
	s_nop 0
	;;#ASMSTART
	v_dot2_f32_f16 v68, v5, v71, v68
	;;#ASMEND
	s_nop 0
	;;#ASMSTART
	v_dot2_f32_f16 v68, v6, v72, v68
	;;#ASMEND
	s_nop 0
	;;#ASMSTART
	v_dot2_f32_f16 v68, v7, v73, v68
	;;#ASMEND
	;;#ASMSTART
	v_dot2_f32_f16 v69, v4, v74, v69
	;;#ASMEND
	s_nop 0
	;;#ASMSTART
	v_dot2_f32_f16 v69, v5, v75, v69
	;;#ASMEND
	s_nop 0
	;;#ASMSTART
	v_dot2_f32_f16 v69, v6, v76, v69
	;;#ASMEND
	s_nop 0
	;;#ASMSTART
	v_dot2_f32_f16 v69, v7, v77, v69
	;;#ASMEND
	;;#ASMSTART
	v_dot2_f32_f16 v12, v4, v78, v12
	;;#ASMEND
	s_nop 0
	;;#ASMSTART
	v_dot2_f32_f16 v12, v5, v79, v12
	;;#ASMEND
	s_nop 0
	;;#ASMSTART
	v_dot2_f32_f16 v12, v6, v80, v12
	;;#ASMEND
	s_nop 0
	;;#ASMSTART
	v_dot2_f32_f16 v12, v7, v81, v12
	;;#ASMEND
	;;#ASMSTART
	v_dot2_f32_f16 v8, v4, v82, v8
	;;#ASMEND
	s_nop 0
	;;#ASMSTART
	v_dot2_f32_f16 v8, v5, v83, v8
	;;#ASMEND
	s_nop 0
	;;#ASMSTART
	v_dot2_f32_f16 v8, v6, v84, v8
	;;#ASMEND
	s_nop 0
	;;#ASMSTART
	v_dot2_f32_f16 v8, v7, v85, v8
	;;#ASMEND
	ds_read_b128 v[0:3], v44 offset:64
	ds_read_b128 v[4:7], v44 offset:4672
	;; [unrolled: 1-line block ×6, first 2 shown]
	s_waitcnt lgkmcnt(3)
	;;#ASMSTART
	v_dot2_f32_f16 v64, v0, v70, v64
	;;#ASMEND
	s_nop 0
	;;#ASMSTART
	v_dot2_f32_f16 v64, v1, v71, v64
	;;#ASMEND
	s_nop 0
	;;#ASMSTART
	v_dot2_f32_f16 v64, v2, v72, v64
	;;#ASMEND
	s_nop 0
	;;#ASMSTART
	v_dot2_f32_f16 v64, v3, v73, v64
	;;#ASMEND
	s_waitcnt lgkmcnt(2)
	;;#ASMSTART
	v_dot2_f32_f16 v65, v0, v74, v65
	;;#ASMEND
	s_nop 0
	;;#ASMSTART
	v_dot2_f32_f16 v65, v1, v75, v65
	;;#ASMEND
	s_nop 0
	;;#ASMSTART
	v_dot2_f32_f16 v65, v2, v76, v65
	;;#ASMEND
	s_nop 0
	;;#ASMSTART
	v_dot2_f32_f16 v65, v3, v77, v65
	;;#ASMEND
	;; [unrolled: 16-line block ×4, first 2 shown]
	;;#ASMSTART
	v_dot2_f32_f16 v68, v4, v70, v68
	;;#ASMEND
	s_nop 0
	;;#ASMSTART
	v_dot2_f32_f16 v68, v5, v71, v68
	;;#ASMEND
	s_nop 0
	;;#ASMSTART
	v_dot2_f32_f16 v68, v6, v72, v68
	;;#ASMEND
	s_nop 0
	;;#ASMSTART
	v_dot2_f32_f16 v68, v7, v73, v68
	;;#ASMEND
	;;#ASMSTART
	v_dot2_f32_f16 v69, v4, v74, v69
	;;#ASMEND
	s_nop 0
	;;#ASMSTART
	v_dot2_f32_f16 v69, v5, v75, v69
	;;#ASMEND
	s_nop 0
	;;#ASMSTART
	v_dot2_f32_f16 v69, v6, v76, v69
	;;#ASMEND
	s_nop 0
	;;#ASMSTART
	v_dot2_f32_f16 v69, v7, v77, v69
	;;#ASMEND
	;; [unrolled: 15-line block ×4, first 2 shown]
	ds_read_b128 v[0:3], v44 offset:80
	ds_read_b128 v[4:7], v44 offset:4688
	;; [unrolled: 1-line block ×6, first 2 shown]
	s_waitcnt lgkmcnt(3)
	;;#ASMSTART
	v_dot2_f32_f16 v64, v0, v70, v64
	;;#ASMEND
	s_nop 0
	;;#ASMSTART
	v_dot2_f32_f16 v64, v1, v71, v64
	;;#ASMEND
	s_nop 0
	;;#ASMSTART
	v_dot2_f32_f16 v64, v2, v72, v64
	;;#ASMEND
	s_nop 0
	;;#ASMSTART
	v_dot2_f32_f16 v64, v3, v73, v64
	;;#ASMEND
	s_waitcnt lgkmcnt(2)
	;;#ASMSTART
	v_dot2_f32_f16 v65, v0, v74, v65
	;;#ASMEND
	s_nop 0
	;;#ASMSTART
	v_dot2_f32_f16 v65, v1, v75, v65
	;;#ASMEND
	s_nop 0
	;;#ASMSTART
	v_dot2_f32_f16 v65, v2, v76, v65
	;;#ASMEND
	s_nop 0
	;;#ASMSTART
	v_dot2_f32_f16 v65, v3, v77, v65
	;;#ASMEND
	;; [unrolled: 16-line block ×4, first 2 shown]
	;;#ASMSTART
	v_dot2_f32_f16 v68, v4, v70, v68
	;;#ASMEND
	s_nop 0
	;;#ASMSTART
	v_dot2_f32_f16 v68, v5, v71, v68
	;;#ASMEND
	s_nop 0
	;;#ASMSTART
	v_dot2_f32_f16 v68, v6, v72, v68
	;;#ASMEND
	s_nop 0
	;;#ASMSTART
	v_dot2_f32_f16 v68, v7, v73, v68
	;;#ASMEND
	;;#ASMSTART
	v_dot2_f32_f16 v69, v4, v74, v69
	;;#ASMEND
	s_nop 0
	;;#ASMSTART
	v_dot2_f32_f16 v69, v5, v75, v69
	;;#ASMEND
	s_nop 0
	;;#ASMSTART
	v_dot2_f32_f16 v69, v6, v76, v69
	;;#ASMEND
	s_nop 0
	;;#ASMSTART
	v_dot2_f32_f16 v69, v7, v77, v69
	;;#ASMEND
	;; [unrolled: 15-line block ×4, first 2 shown]
	ds_read_b128 v[0:3], v44 offset:96
	ds_read_b128 v[4:7], v44 offset:4704
	;; [unrolled: 1-line block ×6, first 2 shown]
	s_waitcnt lgkmcnt(3)
	;;#ASMSTART
	v_dot2_f32_f16 v64, v0, v70, v64
	;;#ASMEND
	s_nop 0
	;;#ASMSTART
	v_dot2_f32_f16 v64, v1, v71, v64
	;;#ASMEND
	s_nop 0
	;;#ASMSTART
	v_dot2_f32_f16 v64, v2, v72, v64
	;;#ASMEND
	s_nop 0
	;;#ASMSTART
	v_dot2_f32_f16 v64, v3, v73, v64
	;;#ASMEND
	s_waitcnt lgkmcnt(2)
	;;#ASMSTART
	v_dot2_f32_f16 v65, v0, v74, v65
	;;#ASMEND
	s_nop 0
	;;#ASMSTART
	v_dot2_f32_f16 v65, v1, v75, v65
	;;#ASMEND
	s_nop 0
	;;#ASMSTART
	v_dot2_f32_f16 v65, v2, v76, v65
	;;#ASMEND
	s_nop 0
	;;#ASMSTART
	v_dot2_f32_f16 v65, v3, v77, v65
	;;#ASMEND
	;; [unrolled: 16-line block ×4, first 2 shown]
	;;#ASMSTART
	v_dot2_f32_f16 v68, v4, v70, v68
	;;#ASMEND
	s_nop 0
	;;#ASMSTART
	v_dot2_f32_f16 v68, v5, v71, v68
	;;#ASMEND
	s_nop 0
	;;#ASMSTART
	v_dot2_f32_f16 v68, v6, v72, v68
	;;#ASMEND
	s_nop 0
	;;#ASMSTART
	v_dot2_f32_f16 v68, v7, v73, v68
	;;#ASMEND
	;;#ASMSTART
	v_dot2_f32_f16 v69, v4, v74, v69
	;;#ASMEND
	s_nop 0
	;;#ASMSTART
	v_dot2_f32_f16 v69, v5, v75, v69
	;;#ASMEND
	s_nop 0
	;;#ASMSTART
	v_dot2_f32_f16 v69, v6, v76, v69
	;;#ASMEND
	s_nop 0
	;;#ASMSTART
	v_dot2_f32_f16 v69, v7, v77, v69
	;;#ASMEND
	;; [unrolled: 15-line block ×4, first 2 shown]
	ds_read_b128 v[0:3], v44 offset:112
	ds_read_b128 v[4:7], v44 offset:4720
	;; [unrolled: 1-line block ×6, first 2 shown]
	s_waitcnt lgkmcnt(3)
	;;#ASMSTART
	v_dot2_f32_f16 v64, v0, v70, v64
	;;#ASMEND
	s_nop 0
	;;#ASMSTART
	v_dot2_f32_f16 v64, v1, v71, v64
	;;#ASMEND
	s_nop 0
	;;#ASMSTART
	v_dot2_f32_f16 v64, v2, v72, v64
	;;#ASMEND
	s_nop 0
	;;#ASMSTART
	v_dot2_f32_f16 v64, v3, v73, v64
	;;#ASMEND
	s_waitcnt lgkmcnt(2)
	;;#ASMSTART
	v_dot2_f32_f16 v65, v0, v74, v65
	;;#ASMEND
	s_nop 0
	;;#ASMSTART
	v_dot2_f32_f16 v65, v1, v75, v65
	;;#ASMEND
	s_nop 0
	;;#ASMSTART
	v_dot2_f32_f16 v65, v2, v76, v65
	;;#ASMEND
	s_nop 0
	;;#ASMSTART
	v_dot2_f32_f16 v65, v3, v77, v65
	;;#ASMEND
	;; [unrolled: 16-line block ×3, first 2 shown]
	s_waitcnt lgkmcnt(0)
	;;#ASMSTART
	v_dot2_f32_f16 v67, v0, v82, v67
	;;#ASMEND
	v_add_u32_e32 v0, s2, v28
	;;#ASMSTART
	v_dot2_f32_f16 v67, v1, v83, v67
	;;#ASMEND
	v_cndmask_b32_e32 v1, v29, v38, vcc
	;;#ASMSTART
	v_dot2_f32_f16 v67, v2, v84, v67
	;;#ASMEND
	v_cmp_lt_i32_e32 vcc, v39, v35
	;;#ASMSTART
	v_dot2_f32_f16 v67, v3, v85, v67
	;;#ASMEND
	;;#ASMSTART
	v_dot2_f32_f16 v68, v4, v70, v68
	;;#ASMEND
	v_lshlrev_b32_e32 v3, 2, v1
	;;#ASMSTART
	v_dot2_f32_f16 v68, v5, v71, v68
	;;#ASMEND
	s_nop 0
	;;#ASMSTART
	v_dot2_f32_f16 v68, v6, v72, v68
	;;#ASMEND
	v_cndmask_b32_e32 v1, v29, v39, vcc
	;;#ASMSTART
	v_dot2_f32_f16 v68, v7, v73, v68
	;;#ASMEND
	;;#ASMSTART
	v_dot2_f32_f16 v69, v4, v74, v69
	;;#ASMEND
	v_cmp_lt_i32_e32 vcc, v40, v35
	;;#ASMSTART
	v_dot2_f32_f16 v69, v5, v75, v69
	;;#ASMEND
	s_nop 0
	;;#ASMSTART
	v_dot2_f32_f16 v69, v6, v76, v69
	;;#ASMEND
	s_nop 0
	;;#ASMSTART
	v_dot2_f32_f16 v69, v7, v77, v69
	;;#ASMEND
	;;#ASMSTART
	v_dot2_f32_f16 v12, v4, v78, v12
	;;#ASMEND
	s_nop 0
	;;#ASMSTART
	v_dot2_f32_f16 v12, v5, v79, v12
	;;#ASMEND
	s_nop 0
	;; [unrolled: 4-line block ×3, first 2 shown]
	;;#ASMSTART
	v_dot2_f32_f16 v12, v7, v81, v12
	;;#ASMEND
	;;#ASMSTART
	v_dot2_f32_f16 v8, v4, v82, v8
	;;#ASMEND
	v_lshlrev_b32_e32 v4, 2, v1
	v_cndmask_b32_e32 v1, v29, v40, vcc
	v_cmp_lt_i32_e32 vcc, v37, v35
	;;#ASMSTART
	v_dot2_f32_f16 v8, v5, v83, v8
	;;#ASMEND
	v_lshlrev_b32_e32 v5, 2, v1
	;;#ASMSTART
	v_dot2_f32_f16 v8, v6, v84, v8
	;;#ASMEND
	s_nop 0
	v_cndmask_b32_e32 v1, v29, v37, vcc
	v_cmp_lt_i32_e32 vcc, v36, v35
	v_lshlrev_b32_e32 v6, 2, v1
	;;#ASMSTART
	v_dot2_f32_f16 v8, v7, v85, v8
	;;#ASMEND
	s_nop 0
	v_cndmask_b32_e32 v1, v29, v36, vcc
	v_lshlrev_b32_e32 v7, 2, v1
	v_ashrrev_i32_e32 v1, 31, v0
	v_lshl_add_u64 v[0:1], v[0:1], 1, s[26:27]
	global_load_ushort v2, v[0:1], off
	s_waitcnt vmcnt(0)
	v_cvt_f32_f16_e32 v9, v2
	global_load_ushort v0, v[0:1], off offset:64
	s_barrier
	v_add_f32_e32 v10, v64, v9
	v_add_f32_e32 v2, 0x40051340, v10
	;; [unrolled: 1-line block ×6, first 2 shown]
	s_waitcnt vmcnt(0)
	v_cvt_f32_f16_e32 v11, v0
	v_add_f32_e32 v13, v68, v11
	v_add_f32_e32 v0, 0x40051340, v13
	v_max3_f32 v0, v63, v2, v0
	ds_bpermute_b32 v1, v3, v0
	v_add_f32_e32 v15, v69, v11
	v_add_f32_e32 v2, 0x40051340, v15
	;; [unrolled: 1-line block ×4, first 2 shown]
	s_waitcnt lgkmcnt(0)
	v_max_f32_e32 v1, v1, v1
	v_max_f32_e32 v0, v0, v1
	ds_bpermute_b32 v1, v4, v0
	v_add_f32_e32 v12, 0x40051340, v65
	v_add_f32_e32 v8, 0x40051340, v11
	v_max3_f32 v8, v60, v9, v8
	s_waitcnt lgkmcnt(0)
	v_max_f32_e32 v1, v1, v1
	v_max_f32_e32 v0, v0, v1
	ds_bpermute_b32 v1, v5, v0
	s_waitcnt lgkmcnt(0)
	v_max_f32_e32 v1, v1, v1
	v_max_f32_e32 v0, v0, v1
	ds_bpermute_b32 v1, v6, v0
	;; [unrolled: 4-line block ×3, first 2 shown]
	s_waitcnt lgkmcnt(0)
	v_max_f32_e32 v1, v1, v1
	v_max_f32_e32 v0, v0, v1
	v_add_f32_e32 v1, 0x40051340, v14
	v_max3_f32 v1, v62, v1, v2
	ds_bpermute_b32 v2, v3, v1
	s_waitcnt lgkmcnt(0)
	v_max_f32_e32 v2, v2, v2
	v_max_f32_e32 v1, v1, v2
	ds_bpermute_b32 v2, v4, v1
	s_waitcnt lgkmcnt(0)
	v_max_f32_e32 v2, v2, v2
	v_max_f32_e32 v1, v1, v2
	ds_bpermute_b32 v2, v5, v1
	s_waitcnt lgkmcnt(0)
	v_max_f32_e32 v2, v2, v2
	v_max_f32_e32 v1, v1, v2
	ds_bpermute_b32 v2, v6, v1
	s_waitcnt lgkmcnt(0)
	v_max_f32_e32 v2, v2, v2
	v_max_f32_e32 v1, v1, v2
	ds_bpermute_b32 v2, v7, v1
	s_waitcnt lgkmcnt(0)
	v_max_f32_e32 v2, v2, v2
	v_max_f32_e32 v1, v1, v2
	v_add_f32_e32 v2, 0x40051340, v64
	v_max3_f32 v2, v61, v2, v12
	ds_bpermute_b32 v12, v3, v2
	ds_bpermute_b32 v3, v3, v8
	s_waitcnt lgkmcnt(1)
	v_max_f32_e32 v12, v12, v12
	s_waitcnt lgkmcnt(0)
	v_max_f32_e32 v3, v3, v3
	v_max_f32_e32 v2, v2, v12
	;; [unrolled: 1-line block ×3, first 2 shown]
	ds_bpermute_b32 v12, v4, v2
	ds_bpermute_b32 v4, v4, v3
	s_waitcnt lgkmcnt(1)
	v_max_f32_e32 v12, v12, v12
	s_waitcnt lgkmcnt(0)
	v_max_f32_e32 v4, v4, v4
	v_max_f32_e32 v3, v3, v4
	ds_bpermute_b32 v4, v5, v3
	v_max_f32_e32 v2, v2, v12
	ds_bpermute_b32 v12, v5, v2
	v_sub_f32_e32 v5, v63, v0
	s_waitcnt lgkmcnt(1)
	v_max_f32_e32 v4, v4, v4
	v_max_f32_e32 v3, v3, v4
	ds_bpermute_b32 v4, v6, v3
	s_waitcnt lgkmcnt(1)
	v_max_f32_e32 v12, v12, v12
	v_max_f32_e32 v2, v2, v12
	ds_bpermute_b32 v12, v6, v2
	;; [unrolled: 4-line block ×4, first 2 shown]
	s_waitcnt lgkmcnt(1)
	v_max_f32_e32 v4, v4, v4
	v_max_f32_e32 v3, v3, v4
	v_sub_f32_e32 v4, v10, v0
	v_mul_f32_e32 v6, 0x3fb8aa3b, v4
	v_fma_f32 v7, v4, s14, -v6
	v_rndne_f32_e32 v8, v6
	v_fmac_f32_e32 v7, 0x32a5705f, v4
	v_sub_f32_e32 v6, v6, v8
	v_add_f32_e32 v6, v6, v7
	v_exp_f32_e32 v6, v6
	v_cvt_i32_f32_e32 v7, v8
	v_cmp_ngt_f32_e32 vcc, s15, v4
	s_waitcnt lgkmcnt(0)
	v_max_f32_e32 v12, v12, v12
	v_max_f32_e32 v2, v2, v12
	v_ldexp_f32 v6, v6, v7
	v_cndmask_b32_e32 v6, 0, v6, vcc
	v_cmp_nlt_f32_e32 vcc, s20, v4
	v_sub_f32_e32 v11, v11, v3
	v_sub_f32_e32 v60, v60, v3
	v_cndmask_b32_e32 v4, v47, v6, vcc
	v_sub_f32_e32 v6, v13, v0
	v_mul_f32_e32 v7, 0x3fb8aa3b, v6
	v_fma_f32 v8, v6, s14, -v7
	v_rndne_f32_e32 v9, v7
	v_fmac_f32_e32 v8, 0x32a5705f, v6
	v_sub_f32_e32 v7, v7, v9
	v_add_f32_e32 v7, v7, v8
	v_exp_f32_e32 v7, v7
	v_cvt_i32_f32_e32 v8, v9
	v_cmp_ngt_f32_e32 vcc, s15, v6
	v_ldexp_f32 v7, v7, v8
	s_nop 0
	v_cndmask_b32_e32 v7, 0, v7, vcc
	v_cmp_nlt_f32_e32 vcc, s20, v6
	s_nop 1
	v_cndmask_b32_e32 v6, v47, v7, vcc
	v_mul_f32_e32 v7, 0x3fb8aa3b, v5
	v_fma_f32 v8, v5, s14, -v7
	v_rndne_f32_e32 v9, v7
	v_fmac_f32_e32 v8, 0x32a5705f, v5
	v_sub_f32_e32 v7, v7, v9
	v_add_f32_e32 v7, v7, v8
	v_exp_f32_e32 v7, v7
	v_cvt_i32_f32_e32 v8, v9
	v_cmp_ngt_f32_e32 vcc, s15, v5
	v_sub_f32_e32 v9, v62, v1
	v_ldexp_f32 v7, v7, v8
	v_cndmask_b32_e32 v7, 0, v7, vcc
	v_cmp_nlt_f32_e32 vcc, s20, v5
	s_nop 1
	v_cndmask_b32_e32 v12, v47, v7, vcc
	v_cvt_f16_f32_e32 v5, v12
	v_mul_u32_u24_e32 v8, 0x10001, v5
	v_sub_f32_e32 v5, v14, v1
	v_mul_f32_e32 v7, 0x3fb8aa3b, v5
	v_fma_f32 v10, v5, s14, -v7
	v_rndne_f32_e32 v13, v7
	v_fmac_f32_e32 v10, 0x32a5705f, v5
	v_sub_f32_e32 v7, v7, v13
	v_add_f32_e32 v7, v7, v10
	v_exp_f32_e32 v7, v7
	v_cvt_i32_f32_e32 v10, v13
	v_cmp_ngt_f32_e32 vcc, s15, v5
	v_ldexp_f32 v7, v7, v10
	s_nop 0
	v_cndmask_b32_e32 v7, 0, v7, vcc
	v_cmp_nlt_f32_e32 vcc, s20, v5
	s_nop 1
	v_cndmask_b32_e32 v5, v47, v7, vcc
	v_sub_f32_e32 v7, v15, v1
	v_mul_f32_e32 v10, 0x3fb8aa3b, v7
	v_fma_f32 v13, v7, s14, -v10
	v_rndne_f32_e32 v14, v10
	v_fmac_f32_e32 v13, 0x32a5705f, v7
	v_sub_f32_e32 v10, v10, v14
	v_add_f32_e32 v10, v10, v13
	v_exp_f32_e32 v10, v10
	v_cvt_i32_f32_e32 v13, v14
	v_cmp_ngt_f32_e32 vcc, s15, v7
	v_ldexp_f32 v10, v10, v13
	s_nop 0
	v_cndmask_b32_e32 v10, 0, v10, vcc
	v_cmp_nlt_f32_e32 vcc, s20, v7
	s_nop 1
	v_cndmask_b32_e32 v7, v47, v10, vcc
	v_mul_f32_e32 v10, 0x3fb8aa3b, v9
	v_fma_f32 v13, v9, s14, -v10
	v_rndne_f32_e32 v14, v10
	v_fmac_f32_e32 v13, 0x32a5705f, v9
	v_sub_f32_e32 v10, v10, v14
	v_add_f32_e32 v10, v10, v13
	v_exp_f32_e32 v10, v10
	v_cvt_i32_f32_e32 v13, v14
	v_cmp_ngt_f32_e32 vcc, s15, v9
	v_sub_f32_e32 v14, v64, v2
	v_mul_f32_e32 v15, 0x3fb8aa3b, v14
	v_ldexp_f32 v10, v10, v13
	v_cndmask_b32_e32 v10, 0, v10, vcc
	v_cmp_nlt_f32_e32 vcc, s20, v9
	v_rndne_f32_e32 v62, v15
	s_nop 0
	v_cndmask_b32_e32 v13, v47, v10, vcc
	v_sub_f32_e32 v10, v61, v2
	v_fma_f32 v61, v14, s14, -v15
	v_fmac_f32_e32 v61, 0x32a5705f, v14
	v_sub_f32_e32 v15, v15, v62
	v_add_f32_e32 v15, v15, v61
	v_exp_f32_e32 v15, v15
	v_cvt_i32_f32_e32 v61, v62
	v_cmp_ngt_f32_e32 vcc, s15, v14
	v_cvt_f16_f32_e32 v9, v13
	v_ldexp_f32 v15, v15, v61
	v_cndmask_b32_e32 v15, 0, v15, vcc
	v_cmp_nlt_f32_e32 vcc, s20, v14
	v_mul_u32_u24_e32 v9, 0x10001, v9
	s_nop 0
	v_cndmask_b32_e32 v14, v47, v15, vcc
	v_sub_f32_e32 v15, v65, v2
	v_mul_f32_e32 v61, 0x3fb8aa3b, v15
	v_fma_f32 v62, v15, s14, -v61
	v_rndne_f32_e32 v63, v61
	v_fmac_f32_e32 v62, 0x32a5705f, v15
	v_sub_f32_e32 v61, v61, v63
	v_add_f32_e32 v61, v61, v62
	v_exp_f32_e32 v61, v61
	v_cvt_i32_f32_e32 v62, v63
	v_cmp_ngt_f32_e32 vcc, s15, v15
	v_ldexp_f32 v61, v61, v62
	s_nop 0
	v_cndmask_b32_e32 v61, 0, v61, vcc
	v_cmp_nlt_f32_e32 vcc, s20, v15
	v_mul_f32_e32 v15, 0x3fb8aa3b, v10
	v_rndne_f32_e32 v63, v15
	v_cndmask_b32_e32 v62, v47, v61, vcc
	v_fma_f32 v61, v10, s14, -v15
	v_fmac_f32_e32 v61, 0x32a5705f, v10
	v_sub_f32_e32 v15, v15, v63
	v_add_f32_e32 v15, v15, v61
	v_exp_f32_e32 v15, v15
	v_cvt_i32_f32_e32 v61, v63
	v_cmp_ngt_f32_e32 vcc, s15, v10
	v_ldexp_f32 v15, v15, v61
	s_nop 0
	v_cndmask_b32_e32 v15, 0, v15, vcc
	v_cmp_nlt_f32_e32 vcc, s20, v10
	s_nop 1
	v_cndmask_b32_e32 v64, v47, v15, vcc
	v_sub_f32_e32 v15, v66, v3
	v_mul_f32_e32 v61, 0x3fb8aa3b, v15
	v_fma_f32 v63, v15, s14, -v61
	v_rndne_f32_e32 v65, v61
	v_fmac_f32_e32 v63, 0x32a5705f, v15
	v_sub_f32_e32 v61, v61, v65
	v_add_f32_e32 v61, v61, v63
	v_exp_f32_e32 v61, v61
	v_cvt_i32_f32_e32 v63, v65
	v_cmp_ngt_f32_e32 vcc, s15, v15
	v_cvt_f16_f32_e32 v10, v64
	v_ldexp_f32 v61, v61, v63
	v_cndmask_b32_e32 v61, 0, v61, vcc
	v_cmp_nlt_f32_e32 vcc, s20, v15
	v_mul_u32_u24_e32 v10, 0x10001, v10
	s_nop 0
	v_cndmask_b32_e32 v15, v47, v61, vcc
	v_mul_f32_e32 v61, 0x3fb8aa3b, v11
	v_fma_f32 v63, v11, s14, -v61
	v_rndne_f32_e32 v65, v61
	v_fmac_f32_e32 v63, 0x32a5705f, v11
	v_sub_f32_e32 v61, v61, v65
	v_add_f32_e32 v61, v61, v63
	v_exp_f32_e32 v61, v61
	v_cvt_i32_f32_e32 v63, v65
	v_cmp_ngt_f32_e32 vcc, s15, v11
	v_ldexp_f32 v61, v61, v63
	s_nop 0
	v_cndmask_b32_e32 v61, 0, v61, vcc
	v_cmp_nlt_f32_e32 vcc, s20, v11
	v_mul_f32_e32 v11, 0x3fb8aa3b, v60
	v_rndne_f32_e32 v65, v11
	v_cndmask_b32_e32 v63, v47, v61, vcc
	v_fma_f32 v61, v60, s14, -v11
	v_fmac_f32_e32 v61, 0x32a5705f, v60
	v_sub_f32_e32 v11, v11, v65
	v_add_f32_e32 v11, v11, v61
	v_exp_f32_e32 v11, v11
	v_cvt_i32_f32_e32 v61, v65
	v_cmp_ngt_f32_e32 vcc, s15, v60
	v_pk_add_f32 v[66:67], v[14:15], v[62:63]
	v_ldexp_f32 v11, v11, v61
	v_cndmask_b32_e32 v11, 0, v11, vcc
	v_cmp_nlt_f32_e32 vcc, s20, v60
	v_pk_add_f32 v[60:61], v[4:5], v[6:7]
	s_nop 0
	v_pk_fma_f32 v[20:21], v[20:21], v[12:13], v[60:61]
	v_cvt_pk_f16_f32 v13, v14, v15
	v_cvt_pk_f16_f32 v12, v4, v5
	;; [unrolled: 1-line block ×4, first 2 shown]
	ds_write2_b64 v48, v[12:13], v[4:5] offset1:32
	v_lshl_add_u64 v[4:5], v[30:31], 2, s[28:29]
	v_lshl_add_u64 v[4:5], v[4:5], 0, v[22:23]
	;; [unrolled: 1-line block ×4, first 2 shown]
	global_load_dwordx4 v[4:7], v[4:5], off
	v_cndmask_b32_e32 v65, v47, v11, vcc
	v_cvt_f16_f32_e32 v11, v65
	v_pk_fma_f32 v[18:19], v[18:19], v[64:65], v[66:67]
	v_mul_u32_u24_e32 v11, 0x10001, v11
	v_pk_mul_f16 v11, v59, v11
	s_waitcnt vmcnt(0)
	ds_write_b128 v46, v[4:7]
	global_load_dwordx4 v[4:7], v[12:13], off
	v_add_u32_e32 v12, 0x1000, v46
	s_waitcnt vmcnt(0)
	ds_write_b128 v12, v[4:7]
	s_waitcnt lgkmcnt(0)
	s_barrier
	ds_read2_b32 v[68:69], v41 offset1:32
	ds_read_b128 v[4:7], v45
	ds_read_b128 v[12:15], v45 offset:16
	ds_read_b128 v[60:63], v45 offset:32
	;; [unrolled: 1-line block ×3, first 2 shown]
	s_waitcnt lgkmcnt(3)
	v_mul_u32_u24_sdwa v59, v4, s21 dst_sel:DWORD dst_unused:UNUSED_PAD src0_sel:WORD_0 src1_sel:DWORD
	v_mul_u32_u24_sdwa v4, v4, s21 dst_sel:DWORD dst_unused:UNUSED_PAD src0_sel:WORD_1 src1_sel:DWORD
	v_mul_u32_u24_sdwa v70, v5, s21 dst_sel:DWORD dst_unused:UNUSED_PAD src0_sel:WORD_0 src1_sel:DWORD
	v_pk_mul_f16 v4, v68, v4
	v_mul_u32_u24_sdwa v5, v5, s21 dst_sel:DWORD dst_unused:UNUSED_PAD src0_sel:WORD_1 src1_sel:DWORD
	v_pk_fma_f16 v4, v57, v9, v4
	v_pk_mul_f16 v9, v68, v70
	v_pk_fma_f16 v5, v68, v5, v11
	v_pk_fma_f16 v9, v56, v10, v9
	v_mul_u32_u24_sdwa v10, v6, s21 dst_sel:DWORD dst_unused:UNUSED_PAD src0_sel:WORD_0 src1_sel:DWORD
	v_mul_u32_u24_sdwa v6, v6, s21 dst_sel:DWORD dst_unused:UNUSED_PAD src0_sel:WORD_1 src1_sel:DWORD
	v_mul_u32_u24_sdwa v11, v7, s21 dst_sel:DWORD dst_unused:UNUSED_PAD src0_sel:WORD_0 src1_sel:DWORD
	v_mul_u32_u24_sdwa v7, v7, s21 dst_sel:DWORD dst_unused:UNUSED_PAD src0_sel:WORD_1 src1_sel:DWORD
	v_pk_fma_f16 v6, v69, v6, v4
	v_pk_fma_f16 v7, v69, v7, v5
	ds_read2_b32 v[4:5], v41 offset0:64 offset1:96
	v_pk_mul_f16 v59, v68, v59
	v_pk_fma_f16 v9, v69, v11, v9
	v_pk_fma_f16 v8, v58, v8, v59
	s_waitcnt lgkmcnt(3)
	v_mul_u32_u24_sdwa v11, v12, s21 dst_sel:DWORD dst_unused:UNUSED_PAD src0_sel:WORD_1 src1_sel:DWORD
	v_pk_fma_f16 v8, v69, v10, v8
	v_mul_u32_u24_sdwa v10, v12, s21 dst_sel:DWORD dst_unused:UNUSED_PAD src0_sel:WORD_0 src1_sel:DWORD
	v_mul_u32_u24_sdwa v12, v13, s21 dst_sel:DWORD dst_unused:UNUSED_PAD src0_sel:WORD_0 src1_sel:DWORD
	v_mul_u32_u24_sdwa v13, v13, s21 dst_sel:DWORD dst_unused:UNUSED_PAD src0_sel:WORD_1 src1_sel:DWORD
	s_waitcnt lgkmcnt(0)
	v_pk_fma_f16 v8, v4, v10, v8
	v_pk_fma_f16 v6, v4, v11, v6
	v_pk_fma_f16 v9, v4, v12, v9
	v_pk_fma_f16 v4, v4, v13, v7
	v_mul_u32_u24_sdwa v7, v14, s21 dst_sel:DWORD dst_unused:UNUSED_PAD src0_sel:WORD_0 src1_sel:DWORD
	v_mul_u32_u24_sdwa v10, v14, s21 dst_sel:DWORD dst_unused:UNUSED_PAD src0_sel:WORD_1 src1_sel:DWORD
	v_mul_u32_u24_sdwa v11, v15, s21 dst_sel:DWORD dst_unused:UNUSED_PAD src0_sel:WORD_0 src1_sel:DWORD
	v_mul_u32_u24_sdwa v12, v15, s21 dst_sel:DWORD dst_unused:UNUSED_PAD src0_sel:WORD_1 src1_sel:DWORD
	v_pk_fma_f16 v7, v5, v7, v8
	v_pk_fma_f16 v6, v5, v10, v6
	;; [unrolled: 1-line block ×4, first 2 shown]
	ds_read2_b32 v[4:5], v41 offset0:128 offset1:160
	v_mul_u32_u24_sdwa v10, v60, s21 dst_sel:DWORD dst_unused:UNUSED_PAD src0_sel:WORD_0 src1_sel:DWORD
	v_mul_u32_u24_sdwa v11, v60, s21 dst_sel:DWORD dst_unused:UNUSED_PAD src0_sel:WORD_1 src1_sel:DWORD
	v_mul_u32_u24_sdwa v12, v61, s21 dst_sel:DWORD dst_unused:UNUSED_PAD src0_sel:WORD_0 src1_sel:DWORD
	v_mul_u32_u24_sdwa v13, v61, s21 dst_sel:DWORD dst_unused:UNUSED_PAD src0_sel:WORD_1 src1_sel:DWORD
	s_waitcnt lgkmcnt(0)
	v_pk_fma_f16 v7, v4, v10, v7
	v_pk_fma_f16 v6, v4, v11, v6
	;; [unrolled: 1-line block ×4, first 2 shown]
	v_mul_u32_u24_sdwa v9, v62, s21 dst_sel:DWORD dst_unused:UNUSED_PAD src0_sel:WORD_0 src1_sel:DWORD
	v_mul_u32_u24_sdwa v10, v62, s21 dst_sel:DWORD dst_unused:UNUSED_PAD src0_sel:WORD_1 src1_sel:DWORD
	v_mul_u32_u24_sdwa v11, v63, s21 dst_sel:DWORD dst_unused:UNUSED_PAD src0_sel:WORD_0 src1_sel:DWORD
	v_mul_u32_u24_sdwa v12, v63, s21 dst_sel:DWORD dst_unused:UNUSED_PAD src0_sel:WORD_1 src1_sel:DWORD
	v_pk_fma_f16 v7, v5, v9, v7
	v_pk_fma_f16 v6, v5, v10, v6
	;; [unrolled: 1-line block ×4, first 2 shown]
	ds_read2_b32 v[4:5], v41 offset0:192 offset1:224
	v_mul_u32_u24_sdwa v10, v64, s21 dst_sel:DWORD dst_unused:UNUSED_PAD src0_sel:WORD_0 src1_sel:DWORD
	v_mul_u32_u24_sdwa v11, v64, s21 dst_sel:DWORD dst_unused:UNUSED_PAD src0_sel:WORD_1 src1_sel:DWORD
	v_mul_u32_u24_sdwa v12, v65, s21 dst_sel:DWORD dst_unused:UNUSED_PAD src0_sel:WORD_0 src1_sel:DWORD
	v_mul_u32_u24_sdwa v13, v65, s21 dst_sel:DWORD dst_unused:UNUSED_PAD src0_sel:WORD_1 src1_sel:DWORD
	s_waitcnt lgkmcnt(0)
	v_pk_fma_f16 v7, v4, v10, v7
	v_pk_fma_f16 v6, v4, v11, v6
	;; [unrolled: 1-line block ×4, first 2 shown]
	v_mul_u32_u24_sdwa v9, v66, s21 dst_sel:DWORD dst_unused:UNUSED_PAD src0_sel:WORD_0 src1_sel:DWORD
	v_mul_u32_u24_sdwa v10, v66, s21 dst_sel:DWORD dst_unused:UNUSED_PAD src0_sel:WORD_1 src1_sel:DWORD
	v_mul_u32_u24_sdwa v11, v67, s21 dst_sel:DWORD dst_unused:UNUSED_PAD src0_sel:WORD_0 src1_sel:DWORD
	v_mul_u32_u24_sdwa v12, v67, s21 dst_sel:DWORD dst_unused:UNUSED_PAD src0_sel:WORD_1 src1_sel:DWORD
	v_pk_fma_f16 v13, v5, v9, v7
	v_pk_fma_f16 v10, v5, v10, v6
	;; [unrolled: 1-line block ×4, first 2 shown]
	ds_read2_b32 v[8:9], v49 offset1:32
	ds_read_b128 v[4:7], v45 offset:64
	s_waitcnt lgkmcnt(0)
	v_mul_u32_u24_sdwa v14, v4, s21 dst_sel:DWORD dst_unused:UNUSED_PAD src0_sel:WORD_0 src1_sel:DWORD
	v_mul_u32_u24_sdwa v4, v4, s21 dst_sel:DWORD dst_unused:UNUSED_PAD src0_sel:WORD_1 src1_sel:DWORD
	v_mul_u32_u24_sdwa v15, v5, s21 dst_sel:DWORD dst_unused:UNUSED_PAD src0_sel:WORD_0 src1_sel:DWORD
	v_mul_u32_u24_sdwa v5, v5, s21 dst_sel:DWORD dst_unused:UNUSED_PAD src0_sel:WORD_1 src1_sel:DWORD
	v_pk_fma_f16 v13, v8, v14, v13
	v_pk_fma_f16 v4, v8, v4, v10
	v_pk_fma_f16 v10, v8, v15, v11
	v_pk_fma_f16 v5, v8, v5, v12
	v_mul_u32_u24_sdwa v8, v6, s21 dst_sel:DWORD dst_unused:UNUSED_PAD src0_sel:WORD_0 src1_sel:DWORD
	v_mul_u32_u24_sdwa v6, v6, s21 dst_sel:DWORD dst_unused:UNUSED_PAD src0_sel:WORD_1 src1_sel:DWORD
	v_mul_u32_u24_sdwa v11, v7, s21 dst_sel:DWORD dst_unused:UNUSED_PAD src0_sel:WORD_0 src1_sel:DWORD
	v_mul_u32_u24_sdwa v7, v7, s21 dst_sel:DWORD dst_unused:UNUSED_PAD src0_sel:WORD_1 src1_sel:DWORD
	v_pk_fma_f16 v12, v9, v8, v13
	v_pk_fma_f16 v13, v9, v6, v4
	v_pk_fma_f16 v10, v9, v11, v10
	v_pk_fma_f16 v11, v9, v7, v5
	ds_read2_b32 v[8:9], v49 offset0:64 offset1:96
	ds_read_b128 v[4:7], v45 offset:80
	s_waitcnt lgkmcnt(0)
	v_mul_u32_u24_sdwa v14, v4, s21 dst_sel:DWORD dst_unused:UNUSED_PAD src0_sel:WORD_0 src1_sel:DWORD
	v_mul_u32_u24_sdwa v4, v4, s21 dst_sel:DWORD dst_unused:UNUSED_PAD src0_sel:WORD_1 src1_sel:DWORD
	v_mul_u32_u24_sdwa v15, v5, s21 dst_sel:DWORD dst_unused:UNUSED_PAD src0_sel:WORD_0 src1_sel:DWORD
	v_mul_u32_u24_sdwa v5, v5, s21 dst_sel:DWORD dst_unused:UNUSED_PAD src0_sel:WORD_1 src1_sel:DWORD
	v_pk_fma_f16 v12, v8, v14, v12
	v_pk_fma_f16 v4, v8, v4, v13
	v_pk_fma_f16 v10, v8, v15, v10
	v_pk_fma_f16 v5, v8, v5, v11
	v_mul_u32_u24_sdwa v8, v6, s21 dst_sel:DWORD dst_unused:UNUSED_PAD src0_sel:WORD_0 src1_sel:DWORD
	v_mul_u32_u24_sdwa v6, v6, s21 dst_sel:DWORD dst_unused:UNUSED_PAD src0_sel:WORD_1 src1_sel:DWORD
	v_mul_u32_u24_sdwa v11, v7, s21 dst_sel:DWORD dst_unused:UNUSED_PAD src0_sel:WORD_0 src1_sel:DWORD
	v_mul_u32_u24_sdwa v7, v7, s21 dst_sel:DWORD dst_unused:UNUSED_PAD src0_sel:WORD_1 src1_sel:DWORD
	v_pk_fma_f16 v12, v9, v8, v12
	v_pk_fma_f16 v13, v9, v6, v4
	v_pk_fma_f16 v10, v9, v11, v10
	v_pk_fma_f16 v11, v9, v7, v5
	ds_read2_b32 v[8:9], v49 offset0:128 offset1:160
	;; [unrolled: 19-line block ×3, first 2 shown]
	ds_read_b128 v[4:7], v45 offset:112
	s_waitcnt lgkmcnt(0)
	v_mul_u32_u24_sdwa v14, v4, s21 dst_sel:DWORD dst_unused:UNUSED_PAD src0_sel:WORD_0 src1_sel:DWORD
	v_mul_u32_u24_sdwa v4, v4, s21 dst_sel:DWORD dst_unused:UNUSED_PAD src0_sel:WORD_1 src1_sel:DWORD
	v_mul_u32_u24_sdwa v15, v5, s21 dst_sel:DWORD dst_unused:UNUSED_PAD src0_sel:WORD_0 src1_sel:DWORD
	v_mul_u32_u24_sdwa v5, v5, s21 dst_sel:DWORD dst_unused:UNUSED_PAD src0_sel:WORD_1 src1_sel:DWORD
	v_pk_fma_f16 v12, v8, v14, v12
	v_pk_fma_f16 v4, v8, v4, v13
	;; [unrolled: 1-line block ×4, first 2 shown]
	v_mul_u32_u24_sdwa v8, v6, s21 dst_sel:DWORD dst_unused:UNUSED_PAD src0_sel:WORD_0 src1_sel:DWORD
	v_mul_u32_u24_sdwa v6, v6, s21 dst_sel:DWORD dst_unused:UNUSED_PAD src0_sel:WORD_1 src1_sel:DWORD
	v_mul_u32_u24_sdwa v11, v7, s21 dst_sel:DWORD dst_unused:UNUSED_PAD src0_sel:WORD_0 src1_sel:DWORD
	v_mul_u32_u24_sdwa v7, v7, s21 dst_sel:DWORD dst_unused:UNUSED_PAD src0_sel:WORD_1 src1_sel:DWORD
	v_pk_fma_f16 v12, v9, v8, v12
	v_pk_fma_f16 v13, v9, v6, v4
	;; [unrolled: 1-line block ×4, first 2 shown]
	ds_read2_b32 v[8:9], v50 offset1:32
	ds_read_b128 v[4:7], v45 offset:128
	s_waitcnt lgkmcnt(0)
	v_mul_u32_u24_sdwa v14, v4, s21 dst_sel:DWORD dst_unused:UNUSED_PAD src0_sel:WORD_0 src1_sel:DWORD
	v_mul_u32_u24_sdwa v4, v4, s21 dst_sel:DWORD dst_unused:UNUSED_PAD src0_sel:WORD_1 src1_sel:DWORD
	v_mul_u32_u24_sdwa v15, v5, s21 dst_sel:DWORD dst_unused:UNUSED_PAD src0_sel:WORD_0 src1_sel:DWORD
	v_mul_u32_u24_sdwa v5, v5, s21 dst_sel:DWORD dst_unused:UNUSED_PAD src0_sel:WORD_1 src1_sel:DWORD
	v_pk_fma_f16 v12, v8, v14, v12
	v_pk_fma_f16 v4, v8, v4, v13
	v_pk_fma_f16 v10, v8, v15, v10
	v_pk_fma_f16 v5, v8, v5, v11
	v_mul_u32_u24_sdwa v8, v6, s21 dst_sel:DWORD dst_unused:UNUSED_PAD src0_sel:WORD_0 src1_sel:DWORD
	v_mul_u32_u24_sdwa v6, v6, s21 dst_sel:DWORD dst_unused:UNUSED_PAD src0_sel:WORD_1 src1_sel:DWORD
	v_mul_u32_u24_sdwa v11, v7, s21 dst_sel:DWORD dst_unused:UNUSED_PAD src0_sel:WORD_0 src1_sel:DWORD
	v_mul_u32_u24_sdwa v7, v7, s21 dst_sel:DWORD dst_unused:UNUSED_PAD src0_sel:WORD_1 src1_sel:DWORD
	v_pk_fma_f16 v12, v9, v8, v12
	v_pk_fma_f16 v13, v9, v6, v4
	v_pk_fma_f16 v10, v9, v11, v10
	v_pk_fma_f16 v11, v9, v7, v5
	ds_read2_b32 v[8:9], v50 offset0:64 offset1:96
	ds_read_b128 v[4:7], v45 offset:144
	s_waitcnt lgkmcnt(0)
	v_mul_u32_u24_sdwa v14, v4, s21 dst_sel:DWORD dst_unused:UNUSED_PAD src0_sel:WORD_0 src1_sel:DWORD
	v_mul_u32_u24_sdwa v4, v4, s21 dst_sel:DWORD dst_unused:UNUSED_PAD src0_sel:WORD_1 src1_sel:DWORD
	v_mul_u32_u24_sdwa v15, v5, s21 dst_sel:DWORD dst_unused:UNUSED_PAD src0_sel:WORD_0 src1_sel:DWORD
	v_mul_u32_u24_sdwa v5, v5, s21 dst_sel:DWORD dst_unused:UNUSED_PAD src0_sel:WORD_1 src1_sel:DWORD
	v_pk_fma_f16 v12, v8, v14, v12
	v_pk_fma_f16 v4, v8, v4, v13
	v_pk_fma_f16 v10, v8, v15, v10
	v_pk_fma_f16 v5, v8, v5, v11
	v_mul_u32_u24_sdwa v8, v6, s21 dst_sel:DWORD dst_unused:UNUSED_PAD src0_sel:WORD_0 src1_sel:DWORD
	v_mul_u32_u24_sdwa v6, v6, s21 dst_sel:DWORD dst_unused:UNUSED_PAD src0_sel:WORD_1 src1_sel:DWORD
	v_mul_u32_u24_sdwa v11, v7, s21 dst_sel:DWORD dst_unused:UNUSED_PAD src0_sel:WORD_0 src1_sel:DWORD
	v_mul_u32_u24_sdwa v7, v7, s21 dst_sel:DWORD dst_unused:UNUSED_PAD src0_sel:WORD_1 src1_sel:DWORD
	v_pk_fma_f16 v12, v9, v8, v12
	v_pk_fma_f16 v13, v9, v6, v4
	v_pk_fma_f16 v10, v9, v11, v10
	v_pk_fma_f16 v11, v9, v7, v5
	ds_read2_b32 v[8:9], v50 offset0:128 offset1:160
	;; [unrolled: 19-line block ×3, first 2 shown]
	ds_read_b128 v[4:7], v45 offset:176
	s_waitcnt lgkmcnt(0)
	v_mul_u32_u24_sdwa v14, v4, s21 dst_sel:DWORD dst_unused:UNUSED_PAD src0_sel:WORD_0 src1_sel:DWORD
	v_mul_u32_u24_sdwa v4, v4, s21 dst_sel:DWORD dst_unused:UNUSED_PAD src0_sel:WORD_1 src1_sel:DWORD
	v_mul_u32_u24_sdwa v15, v5, s21 dst_sel:DWORD dst_unused:UNUSED_PAD src0_sel:WORD_0 src1_sel:DWORD
	v_mul_u32_u24_sdwa v5, v5, s21 dst_sel:DWORD dst_unused:UNUSED_PAD src0_sel:WORD_1 src1_sel:DWORD
	v_pk_fma_f16 v12, v8, v14, v12
	v_pk_fma_f16 v4, v8, v4, v13
	;; [unrolled: 1-line block ×4, first 2 shown]
	v_mul_u32_u24_sdwa v8, v6, s21 dst_sel:DWORD dst_unused:UNUSED_PAD src0_sel:WORD_0 src1_sel:DWORD
	v_mul_u32_u24_sdwa v6, v6, s21 dst_sel:DWORD dst_unused:UNUSED_PAD src0_sel:WORD_1 src1_sel:DWORD
	v_mul_u32_u24_sdwa v11, v7, s21 dst_sel:DWORD dst_unused:UNUSED_PAD src0_sel:WORD_0 src1_sel:DWORD
	v_mul_u32_u24_sdwa v7, v7, s21 dst_sel:DWORD dst_unused:UNUSED_PAD src0_sel:WORD_1 src1_sel:DWORD
	v_pk_fma_f16 v12, v9, v8, v12
	v_pk_fma_f16 v13, v9, v6, v4
	;; [unrolled: 1-line block ×4, first 2 shown]
	ds_read2_b32 v[8:9], v51 offset1:32
	ds_read_b128 v[4:7], v45 offset:192
	s_waitcnt lgkmcnt(0)
	v_mul_u32_u24_sdwa v14, v4, s21 dst_sel:DWORD dst_unused:UNUSED_PAD src0_sel:WORD_0 src1_sel:DWORD
	v_mul_u32_u24_sdwa v4, v4, s21 dst_sel:DWORD dst_unused:UNUSED_PAD src0_sel:WORD_1 src1_sel:DWORD
	v_mul_u32_u24_sdwa v15, v5, s21 dst_sel:DWORD dst_unused:UNUSED_PAD src0_sel:WORD_0 src1_sel:DWORD
	v_mul_u32_u24_sdwa v5, v5, s21 dst_sel:DWORD dst_unused:UNUSED_PAD src0_sel:WORD_1 src1_sel:DWORD
	v_pk_fma_f16 v12, v8, v14, v12
	v_pk_fma_f16 v4, v8, v4, v13
	v_pk_fma_f16 v10, v8, v15, v10
	v_pk_fma_f16 v5, v8, v5, v11
	v_mul_u32_u24_sdwa v8, v6, s21 dst_sel:DWORD dst_unused:UNUSED_PAD src0_sel:WORD_0 src1_sel:DWORD
	v_mul_u32_u24_sdwa v6, v6, s21 dst_sel:DWORD dst_unused:UNUSED_PAD src0_sel:WORD_1 src1_sel:DWORD
	v_mul_u32_u24_sdwa v11, v7, s21 dst_sel:DWORD dst_unused:UNUSED_PAD src0_sel:WORD_0 src1_sel:DWORD
	v_mul_u32_u24_sdwa v7, v7, s21 dst_sel:DWORD dst_unused:UNUSED_PAD src0_sel:WORD_1 src1_sel:DWORD
	v_pk_fma_f16 v12, v9, v8, v12
	v_pk_fma_f16 v13, v9, v6, v4
	v_pk_fma_f16 v10, v9, v11, v10
	v_pk_fma_f16 v11, v9, v7, v5
	ds_read2_b32 v[8:9], v51 offset0:64 offset1:96
	ds_read_b128 v[4:7], v45 offset:208
	s_waitcnt lgkmcnt(0)
	v_mul_u32_u24_sdwa v14, v4, s21 dst_sel:DWORD dst_unused:UNUSED_PAD src0_sel:WORD_0 src1_sel:DWORD
	v_mul_u32_u24_sdwa v4, v4, s21 dst_sel:DWORD dst_unused:UNUSED_PAD src0_sel:WORD_1 src1_sel:DWORD
	v_mul_u32_u24_sdwa v15, v5, s21 dst_sel:DWORD dst_unused:UNUSED_PAD src0_sel:WORD_0 src1_sel:DWORD
	v_mul_u32_u24_sdwa v5, v5, s21 dst_sel:DWORD dst_unused:UNUSED_PAD src0_sel:WORD_1 src1_sel:DWORD
	v_pk_fma_f16 v12, v8, v14, v12
	v_pk_fma_f16 v4, v8, v4, v13
	v_pk_fma_f16 v10, v8, v15, v10
	v_pk_fma_f16 v5, v8, v5, v11
	v_mul_u32_u24_sdwa v8, v6, s21 dst_sel:DWORD dst_unused:UNUSED_PAD src0_sel:WORD_0 src1_sel:DWORD
	v_mul_u32_u24_sdwa v6, v6, s21 dst_sel:DWORD dst_unused:UNUSED_PAD src0_sel:WORD_1 src1_sel:DWORD
	v_mul_u32_u24_sdwa v11, v7, s21 dst_sel:DWORD dst_unused:UNUSED_PAD src0_sel:WORD_0 src1_sel:DWORD
	v_mul_u32_u24_sdwa v7, v7, s21 dst_sel:DWORD dst_unused:UNUSED_PAD src0_sel:WORD_1 src1_sel:DWORD
	v_pk_fma_f16 v12, v9, v8, v12
	v_pk_fma_f16 v13, v9, v6, v4
	v_pk_fma_f16 v10, v9, v11, v10
	v_pk_fma_f16 v11, v9, v7, v5
	ds_read2_b32 v[8:9], v51 offset0:128 offset1:160
	;; [unrolled: 19-line block ×3, first 2 shown]
	ds_read_b128 v[4:7], v45 offset:240
	s_waitcnt lgkmcnt(0)
	v_mul_u32_u24_sdwa v14, v4, s21 dst_sel:DWORD dst_unused:UNUSED_PAD src0_sel:WORD_0 src1_sel:DWORD
	v_mul_u32_u24_sdwa v4, v4, s21 dst_sel:DWORD dst_unused:UNUSED_PAD src0_sel:WORD_1 src1_sel:DWORD
	v_mul_u32_u24_sdwa v15, v5, s21 dst_sel:DWORD dst_unused:UNUSED_PAD src0_sel:WORD_0 src1_sel:DWORD
	v_mul_u32_u24_sdwa v5, v5, s21 dst_sel:DWORD dst_unused:UNUSED_PAD src0_sel:WORD_1 src1_sel:DWORD
	v_pk_fma_f16 v12, v8, v14, v12
	v_pk_fma_f16 v4, v8, v4, v13
	v_pk_fma_f16 v10, v8, v15, v10
	v_pk_fma_f16 v5, v8, v5, v11
	v_mul_u32_u24_sdwa v8, v6, s21 dst_sel:DWORD dst_unused:UNUSED_PAD src0_sel:WORD_0 src1_sel:DWORD
	v_mul_u32_u24_sdwa v6, v6, s21 dst_sel:DWORD dst_unused:UNUSED_PAD src0_sel:WORD_1 src1_sel:DWORD
	v_mul_u32_u24_sdwa v11, v7, s21 dst_sel:DWORD dst_unused:UNUSED_PAD src0_sel:WORD_0 src1_sel:DWORD
	v_mul_u32_u24_sdwa v7, v7, s21 dst_sel:DWORD dst_unused:UNUSED_PAD src0_sel:WORD_1 src1_sel:DWORD
	v_pk_fma_f16 v12, v9, v8, v12
	v_pk_fma_f16 v13, v9, v6, v4
	;; [unrolled: 1-line block ×4, first 2 shown]
	ds_read2_b32 v[8:9], v52 offset1:32
	ds_read_b128 v[4:7], v45 offset:256
	s_waitcnt lgkmcnt(0)
	v_mul_u32_u24_sdwa v14, v4, s21 dst_sel:DWORD dst_unused:UNUSED_PAD src0_sel:WORD_0 src1_sel:DWORD
	v_mul_u32_u24_sdwa v4, v4, s21 dst_sel:DWORD dst_unused:UNUSED_PAD src0_sel:WORD_1 src1_sel:DWORD
	v_mul_u32_u24_sdwa v15, v5, s21 dst_sel:DWORD dst_unused:UNUSED_PAD src0_sel:WORD_0 src1_sel:DWORD
	v_mul_u32_u24_sdwa v5, v5, s21 dst_sel:DWORD dst_unused:UNUSED_PAD src0_sel:WORD_1 src1_sel:DWORD
	v_pk_fma_f16 v12, v8, v14, v12
	v_pk_fma_f16 v4, v8, v4, v13
	v_pk_fma_f16 v10, v8, v15, v10
	v_pk_fma_f16 v5, v8, v5, v11
	v_mul_u32_u24_sdwa v8, v6, s21 dst_sel:DWORD dst_unused:UNUSED_PAD src0_sel:WORD_0 src1_sel:DWORD
	v_mul_u32_u24_sdwa v6, v6, s21 dst_sel:DWORD dst_unused:UNUSED_PAD src0_sel:WORD_1 src1_sel:DWORD
	v_mul_u32_u24_sdwa v11, v7, s21 dst_sel:DWORD dst_unused:UNUSED_PAD src0_sel:WORD_0 src1_sel:DWORD
	v_mul_u32_u24_sdwa v7, v7, s21 dst_sel:DWORD dst_unused:UNUSED_PAD src0_sel:WORD_1 src1_sel:DWORD
	v_pk_fma_f16 v12, v9, v8, v12
	v_pk_fma_f16 v13, v9, v6, v4
	v_pk_fma_f16 v10, v9, v11, v10
	v_pk_fma_f16 v11, v9, v7, v5
	ds_read2_b32 v[8:9], v52 offset0:64 offset1:96
	ds_read_b128 v[4:7], v45 offset:272
	s_waitcnt lgkmcnt(0)
	v_mul_u32_u24_sdwa v14, v4, s21 dst_sel:DWORD dst_unused:UNUSED_PAD src0_sel:WORD_0 src1_sel:DWORD
	v_mul_u32_u24_sdwa v4, v4, s21 dst_sel:DWORD dst_unused:UNUSED_PAD src0_sel:WORD_1 src1_sel:DWORD
	v_mul_u32_u24_sdwa v15, v5, s21 dst_sel:DWORD dst_unused:UNUSED_PAD src0_sel:WORD_0 src1_sel:DWORD
	v_mul_u32_u24_sdwa v5, v5, s21 dst_sel:DWORD dst_unused:UNUSED_PAD src0_sel:WORD_1 src1_sel:DWORD
	v_pk_fma_f16 v12, v8, v14, v12
	v_pk_fma_f16 v4, v8, v4, v13
	v_pk_fma_f16 v10, v8, v15, v10
	v_pk_fma_f16 v5, v8, v5, v11
	v_mul_u32_u24_sdwa v8, v6, s21 dst_sel:DWORD dst_unused:UNUSED_PAD src0_sel:WORD_0 src1_sel:DWORD
	v_mul_u32_u24_sdwa v6, v6, s21 dst_sel:DWORD dst_unused:UNUSED_PAD src0_sel:WORD_1 src1_sel:DWORD
	v_mul_u32_u24_sdwa v11, v7, s21 dst_sel:DWORD dst_unused:UNUSED_PAD src0_sel:WORD_0 src1_sel:DWORD
	v_mul_u32_u24_sdwa v7, v7, s21 dst_sel:DWORD dst_unused:UNUSED_PAD src0_sel:WORD_1 src1_sel:DWORD
	v_pk_fma_f16 v12, v9, v8, v12
	v_pk_fma_f16 v13, v9, v6, v4
	v_pk_fma_f16 v10, v9, v11, v10
	v_pk_fma_f16 v11, v9, v7, v5
	ds_read2_b32 v[8:9], v52 offset0:128 offset1:160
	;; [unrolled: 19-line block ×3, first 2 shown]
	ds_read_b128 v[4:7], v45 offset:304
	s_waitcnt lgkmcnt(0)
	v_mul_u32_u24_sdwa v14, v4, s21 dst_sel:DWORD dst_unused:UNUSED_PAD src0_sel:WORD_0 src1_sel:DWORD
	v_mul_u32_u24_sdwa v4, v4, s21 dst_sel:DWORD dst_unused:UNUSED_PAD src0_sel:WORD_1 src1_sel:DWORD
	v_mul_u32_u24_sdwa v15, v5, s21 dst_sel:DWORD dst_unused:UNUSED_PAD src0_sel:WORD_0 src1_sel:DWORD
	v_mul_u32_u24_sdwa v5, v5, s21 dst_sel:DWORD dst_unused:UNUSED_PAD src0_sel:WORD_1 src1_sel:DWORD
	v_pk_fma_f16 v12, v8, v14, v12
	v_pk_fma_f16 v4, v8, v4, v13
	;; [unrolled: 1-line block ×4, first 2 shown]
	v_mul_u32_u24_sdwa v8, v6, s21 dst_sel:DWORD dst_unused:UNUSED_PAD src0_sel:WORD_0 src1_sel:DWORD
	v_mul_u32_u24_sdwa v6, v6, s21 dst_sel:DWORD dst_unused:UNUSED_PAD src0_sel:WORD_1 src1_sel:DWORD
	v_mul_u32_u24_sdwa v11, v7, s21 dst_sel:DWORD dst_unused:UNUSED_PAD src0_sel:WORD_0 src1_sel:DWORD
	v_mul_u32_u24_sdwa v7, v7, s21 dst_sel:DWORD dst_unused:UNUSED_PAD src0_sel:WORD_1 src1_sel:DWORD
	v_pk_fma_f16 v12, v9, v8, v12
	v_pk_fma_f16 v13, v9, v6, v4
	v_pk_fma_f16 v10, v9, v11, v10
	v_pk_fma_f16 v11, v9, v7, v5
	ds_read2_b32 v[8:9], v53 offset1:32
	ds_read_b128 v[4:7], v45 offset:320
	s_waitcnt lgkmcnt(0)
	v_mul_u32_u24_sdwa v14, v4, s21 dst_sel:DWORD dst_unused:UNUSED_PAD src0_sel:WORD_0 src1_sel:DWORD
	v_mul_u32_u24_sdwa v4, v4, s21 dst_sel:DWORD dst_unused:UNUSED_PAD src0_sel:WORD_1 src1_sel:DWORD
	v_mul_u32_u24_sdwa v15, v5, s21 dst_sel:DWORD dst_unused:UNUSED_PAD src0_sel:WORD_0 src1_sel:DWORD
	v_mul_u32_u24_sdwa v5, v5, s21 dst_sel:DWORD dst_unused:UNUSED_PAD src0_sel:WORD_1 src1_sel:DWORD
	v_pk_fma_f16 v12, v8, v14, v12
	v_pk_fma_f16 v4, v8, v4, v13
	v_pk_fma_f16 v10, v8, v15, v10
	v_pk_fma_f16 v5, v8, v5, v11
	v_mul_u32_u24_sdwa v8, v6, s21 dst_sel:DWORD dst_unused:UNUSED_PAD src0_sel:WORD_0 src1_sel:DWORD
	v_mul_u32_u24_sdwa v6, v6, s21 dst_sel:DWORD dst_unused:UNUSED_PAD src0_sel:WORD_1 src1_sel:DWORD
	v_mul_u32_u24_sdwa v11, v7, s21 dst_sel:DWORD dst_unused:UNUSED_PAD src0_sel:WORD_0 src1_sel:DWORD
	v_mul_u32_u24_sdwa v7, v7, s21 dst_sel:DWORD dst_unused:UNUSED_PAD src0_sel:WORD_1 src1_sel:DWORD
	v_pk_fma_f16 v12, v9, v8, v12
	v_pk_fma_f16 v13, v9, v6, v4
	v_pk_fma_f16 v10, v9, v11, v10
	v_pk_fma_f16 v11, v9, v7, v5
	ds_read2_b32 v[8:9], v53 offset0:64 offset1:96
	ds_read_b128 v[4:7], v45 offset:336
	s_waitcnt lgkmcnt(0)
	v_mul_u32_u24_sdwa v14, v4, s21 dst_sel:DWORD dst_unused:UNUSED_PAD src0_sel:WORD_0 src1_sel:DWORD
	v_mul_u32_u24_sdwa v4, v4, s21 dst_sel:DWORD dst_unused:UNUSED_PAD src0_sel:WORD_1 src1_sel:DWORD
	v_mul_u32_u24_sdwa v15, v5, s21 dst_sel:DWORD dst_unused:UNUSED_PAD src0_sel:WORD_0 src1_sel:DWORD
	v_mul_u32_u24_sdwa v5, v5, s21 dst_sel:DWORD dst_unused:UNUSED_PAD src0_sel:WORD_1 src1_sel:DWORD
	v_pk_fma_f16 v12, v8, v14, v12
	v_pk_fma_f16 v4, v8, v4, v13
	v_pk_fma_f16 v10, v8, v15, v10
	v_pk_fma_f16 v5, v8, v5, v11
	v_mul_u32_u24_sdwa v8, v6, s21 dst_sel:DWORD dst_unused:UNUSED_PAD src0_sel:WORD_0 src1_sel:DWORD
	v_mul_u32_u24_sdwa v6, v6, s21 dst_sel:DWORD dst_unused:UNUSED_PAD src0_sel:WORD_1 src1_sel:DWORD
	v_mul_u32_u24_sdwa v11, v7, s21 dst_sel:DWORD dst_unused:UNUSED_PAD src0_sel:WORD_0 src1_sel:DWORD
	v_mul_u32_u24_sdwa v7, v7, s21 dst_sel:DWORD dst_unused:UNUSED_PAD src0_sel:WORD_1 src1_sel:DWORD
	v_pk_fma_f16 v12, v9, v8, v12
	v_pk_fma_f16 v13, v9, v6, v4
	v_pk_fma_f16 v10, v9, v11, v10
	v_pk_fma_f16 v11, v9, v7, v5
	ds_read2_b32 v[8:9], v53 offset0:128 offset1:160
	;; [unrolled: 19-line block ×3, first 2 shown]
	ds_read_b128 v[4:7], v45 offset:368
	s_waitcnt lgkmcnt(0)
	v_mul_u32_u24_sdwa v14, v4, s21 dst_sel:DWORD dst_unused:UNUSED_PAD src0_sel:WORD_0 src1_sel:DWORD
	v_mul_u32_u24_sdwa v4, v4, s21 dst_sel:DWORD dst_unused:UNUSED_PAD src0_sel:WORD_1 src1_sel:DWORD
	v_mul_u32_u24_sdwa v15, v5, s21 dst_sel:DWORD dst_unused:UNUSED_PAD src0_sel:WORD_0 src1_sel:DWORD
	v_mul_u32_u24_sdwa v5, v5, s21 dst_sel:DWORD dst_unused:UNUSED_PAD src0_sel:WORD_1 src1_sel:DWORD
	v_pk_fma_f16 v12, v8, v14, v12
	v_pk_fma_f16 v4, v8, v4, v13
	;; [unrolled: 1-line block ×4, first 2 shown]
	v_mul_u32_u24_sdwa v8, v6, s21 dst_sel:DWORD dst_unused:UNUSED_PAD src0_sel:WORD_0 src1_sel:DWORD
	v_mul_u32_u24_sdwa v6, v6, s21 dst_sel:DWORD dst_unused:UNUSED_PAD src0_sel:WORD_1 src1_sel:DWORD
	v_mul_u32_u24_sdwa v11, v7, s21 dst_sel:DWORD dst_unused:UNUSED_PAD src0_sel:WORD_0 src1_sel:DWORD
	v_mul_u32_u24_sdwa v7, v7, s21 dst_sel:DWORD dst_unused:UNUSED_PAD src0_sel:WORD_1 src1_sel:DWORD
	v_pk_fma_f16 v12, v9, v8, v12
	v_pk_fma_f16 v13, v9, v6, v4
	v_pk_fma_f16 v10, v9, v11, v10
	v_pk_fma_f16 v11, v9, v7, v5
	ds_read2_b32 v[8:9], v54 offset1:32
	ds_read_b128 v[4:7], v45 offset:384
	s_waitcnt lgkmcnt(0)
	v_mul_u32_u24_sdwa v14, v4, s21 dst_sel:DWORD dst_unused:UNUSED_PAD src0_sel:WORD_0 src1_sel:DWORD
	v_mul_u32_u24_sdwa v4, v4, s21 dst_sel:DWORD dst_unused:UNUSED_PAD src0_sel:WORD_1 src1_sel:DWORD
	v_mul_u32_u24_sdwa v15, v5, s21 dst_sel:DWORD dst_unused:UNUSED_PAD src0_sel:WORD_0 src1_sel:DWORD
	v_mul_u32_u24_sdwa v5, v5, s21 dst_sel:DWORD dst_unused:UNUSED_PAD src0_sel:WORD_1 src1_sel:DWORD
	v_pk_fma_f16 v12, v8, v14, v12
	v_pk_fma_f16 v4, v8, v4, v13
	v_pk_fma_f16 v10, v8, v15, v10
	v_pk_fma_f16 v5, v8, v5, v11
	v_mul_u32_u24_sdwa v8, v6, s21 dst_sel:DWORD dst_unused:UNUSED_PAD src0_sel:WORD_0 src1_sel:DWORD
	v_mul_u32_u24_sdwa v6, v6, s21 dst_sel:DWORD dst_unused:UNUSED_PAD src0_sel:WORD_1 src1_sel:DWORD
	v_mul_u32_u24_sdwa v11, v7, s21 dst_sel:DWORD dst_unused:UNUSED_PAD src0_sel:WORD_0 src1_sel:DWORD
	v_mul_u32_u24_sdwa v7, v7, s21 dst_sel:DWORD dst_unused:UNUSED_PAD src0_sel:WORD_1 src1_sel:DWORD
	v_pk_fma_f16 v12, v9, v8, v12
	v_pk_fma_f16 v13, v9, v6, v4
	v_pk_fma_f16 v10, v9, v11, v10
	v_pk_fma_f16 v11, v9, v7, v5
	ds_read2_b32 v[8:9], v54 offset0:64 offset1:96
	ds_read_b128 v[4:7], v45 offset:400
	s_waitcnt lgkmcnt(0)
	v_mul_u32_u24_sdwa v14, v4, s21 dst_sel:DWORD dst_unused:UNUSED_PAD src0_sel:WORD_0 src1_sel:DWORD
	v_mul_u32_u24_sdwa v4, v4, s21 dst_sel:DWORD dst_unused:UNUSED_PAD src0_sel:WORD_1 src1_sel:DWORD
	v_mul_u32_u24_sdwa v15, v5, s21 dst_sel:DWORD dst_unused:UNUSED_PAD src0_sel:WORD_0 src1_sel:DWORD
	v_mul_u32_u24_sdwa v5, v5, s21 dst_sel:DWORD dst_unused:UNUSED_PAD src0_sel:WORD_1 src1_sel:DWORD
	v_pk_fma_f16 v12, v8, v14, v12
	v_pk_fma_f16 v4, v8, v4, v13
	v_pk_fma_f16 v10, v8, v15, v10
	v_pk_fma_f16 v5, v8, v5, v11
	v_mul_u32_u24_sdwa v8, v6, s21 dst_sel:DWORD dst_unused:UNUSED_PAD src0_sel:WORD_0 src1_sel:DWORD
	v_mul_u32_u24_sdwa v6, v6, s21 dst_sel:DWORD dst_unused:UNUSED_PAD src0_sel:WORD_1 src1_sel:DWORD
	v_mul_u32_u24_sdwa v11, v7, s21 dst_sel:DWORD dst_unused:UNUSED_PAD src0_sel:WORD_0 src1_sel:DWORD
	v_mul_u32_u24_sdwa v7, v7, s21 dst_sel:DWORD dst_unused:UNUSED_PAD src0_sel:WORD_1 src1_sel:DWORD
	v_pk_fma_f16 v12, v9, v8, v12
	v_pk_fma_f16 v13, v9, v6, v4
	v_pk_fma_f16 v10, v9, v11, v10
	v_pk_fma_f16 v11, v9, v7, v5
	ds_read2_b32 v[8:9], v54 offset0:128 offset1:160
	;; [unrolled: 19-line block ×3, first 2 shown]
	ds_read_b128 v[4:7], v45 offset:432
	s_waitcnt lgkmcnt(0)
	v_mul_u32_u24_sdwa v14, v4, s21 dst_sel:DWORD dst_unused:UNUSED_PAD src0_sel:WORD_0 src1_sel:DWORD
	v_mul_u32_u24_sdwa v4, v4, s21 dst_sel:DWORD dst_unused:UNUSED_PAD src0_sel:WORD_1 src1_sel:DWORD
	v_mul_u32_u24_sdwa v15, v5, s21 dst_sel:DWORD dst_unused:UNUSED_PAD src0_sel:WORD_0 src1_sel:DWORD
	v_mul_u32_u24_sdwa v5, v5, s21 dst_sel:DWORD dst_unused:UNUSED_PAD src0_sel:WORD_1 src1_sel:DWORD
	v_pk_fma_f16 v12, v8, v14, v12
	v_pk_fma_f16 v4, v8, v4, v13
	v_pk_fma_f16 v10, v8, v15, v10
	v_pk_fma_f16 v5, v8, v5, v11
	v_mul_u32_u24_sdwa v8, v6, s21 dst_sel:DWORD dst_unused:UNUSED_PAD src0_sel:WORD_0 src1_sel:DWORD
	v_mul_u32_u24_sdwa v6, v6, s21 dst_sel:DWORD dst_unused:UNUSED_PAD src0_sel:WORD_1 src1_sel:DWORD
	v_mul_u32_u24_sdwa v11, v7, s21 dst_sel:DWORD dst_unused:UNUSED_PAD src0_sel:WORD_0 src1_sel:DWORD
	v_mul_u32_u24_sdwa v7, v7, s21 dst_sel:DWORD dst_unused:UNUSED_PAD src0_sel:WORD_1 src1_sel:DWORD
	v_pk_fma_f16 v12, v9, v8, v12
	v_pk_fma_f16 v13, v9, v6, v4
	v_pk_fma_f16 v10, v9, v11, v10
	v_pk_fma_f16 v11, v9, v7, v5
	ds_read2_b32 v[8:9], v55 offset1:32
	ds_read_b128 v[4:7], v45 offset:448
	s_waitcnt lgkmcnt(0)
	v_mul_u32_u24_sdwa v14, v4, s21 dst_sel:DWORD dst_unused:UNUSED_PAD src0_sel:WORD_0 src1_sel:DWORD
	v_mul_u32_u24_sdwa v4, v4, s21 dst_sel:DWORD dst_unused:UNUSED_PAD src0_sel:WORD_1 src1_sel:DWORD
	v_mul_u32_u24_sdwa v15, v5, s21 dst_sel:DWORD dst_unused:UNUSED_PAD src0_sel:WORD_0 src1_sel:DWORD
	v_mul_u32_u24_sdwa v5, v5, s21 dst_sel:DWORD dst_unused:UNUSED_PAD src0_sel:WORD_1 src1_sel:DWORD
	v_pk_fma_f16 v12, v8, v14, v12
	v_pk_fma_f16 v4, v8, v4, v13
	v_pk_fma_f16 v10, v8, v15, v10
	v_pk_fma_f16 v5, v8, v5, v11
	v_mul_u32_u24_sdwa v8, v6, s21 dst_sel:DWORD dst_unused:UNUSED_PAD src0_sel:WORD_0 src1_sel:DWORD
	v_mul_u32_u24_sdwa v6, v6, s21 dst_sel:DWORD dst_unused:UNUSED_PAD src0_sel:WORD_1 src1_sel:DWORD
	v_mul_u32_u24_sdwa v11, v7, s21 dst_sel:DWORD dst_unused:UNUSED_PAD src0_sel:WORD_0 src1_sel:DWORD
	v_mul_u32_u24_sdwa v7, v7, s21 dst_sel:DWORD dst_unused:UNUSED_PAD src0_sel:WORD_1 src1_sel:DWORD
	v_pk_fma_f16 v12, v9, v8, v12
	v_pk_fma_f16 v13, v9, v6, v4
	v_pk_fma_f16 v10, v9, v11, v10
	v_pk_fma_f16 v11, v9, v7, v5
	ds_read2_b32 v[8:9], v55 offset0:64 offset1:96
	ds_read_b128 v[4:7], v45 offset:464
	s_waitcnt lgkmcnt(0)
	v_mul_u32_u24_sdwa v14, v4, s21 dst_sel:DWORD dst_unused:UNUSED_PAD src0_sel:WORD_0 src1_sel:DWORD
	v_mul_u32_u24_sdwa v4, v4, s21 dst_sel:DWORD dst_unused:UNUSED_PAD src0_sel:WORD_1 src1_sel:DWORD
	v_mul_u32_u24_sdwa v15, v5, s21 dst_sel:DWORD dst_unused:UNUSED_PAD src0_sel:WORD_0 src1_sel:DWORD
	v_mul_u32_u24_sdwa v5, v5, s21 dst_sel:DWORD dst_unused:UNUSED_PAD src0_sel:WORD_1 src1_sel:DWORD
	v_pk_fma_f16 v12, v8, v14, v12
	v_pk_fma_f16 v4, v8, v4, v13
	v_pk_fma_f16 v10, v8, v15, v10
	v_pk_fma_f16 v5, v8, v5, v11
	v_mul_u32_u24_sdwa v8, v6, s21 dst_sel:DWORD dst_unused:UNUSED_PAD src0_sel:WORD_0 src1_sel:DWORD
	v_mul_u32_u24_sdwa v6, v6, s21 dst_sel:DWORD dst_unused:UNUSED_PAD src0_sel:WORD_1 src1_sel:DWORD
	v_mul_u32_u24_sdwa v11, v7, s21 dst_sel:DWORD dst_unused:UNUSED_PAD src0_sel:WORD_0 src1_sel:DWORD
	v_mul_u32_u24_sdwa v7, v7, s21 dst_sel:DWORD dst_unused:UNUSED_PAD src0_sel:WORD_1 src1_sel:DWORD
	v_pk_fma_f16 v12, v9, v8, v12
	v_pk_fma_f16 v13, v9, v6, v4
	v_pk_fma_f16 v10, v9, v11, v10
	v_pk_fma_f16 v11, v9, v7, v5
	ds_read2_b32 v[8:9], v55 offset0:128 offset1:160
	;; [unrolled: 19-line block ×3, first 2 shown]
	ds_read_b128 v[4:7], v45 offset:496
	s_waitcnt lgkmcnt(0)
	s_barrier
	s_load_dword s28, s[4:5], 0x4
	v_mul_u32_u24_sdwa v14, v4, s21 dst_sel:DWORD dst_unused:UNUSED_PAD src0_sel:WORD_0 src1_sel:DWORD
	v_mul_u32_u24_sdwa v4, v4, s21 dst_sel:DWORD dst_unused:UNUSED_PAD src0_sel:WORD_1 src1_sel:DWORD
	v_mul_u32_u24_sdwa v15, v5, s21 dst_sel:DWORD dst_unused:UNUSED_PAD src0_sel:WORD_0 src1_sel:DWORD
	v_mul_u32_u24_sdwa v5, v5, s21 dst_sel:DWORD dst_unused:UNUSED_PAD src0_sel:WORD_1 src1_sel:DWORD
	s_waitcnt lgkmcnt(0)
	s_lshl_b32 s28, s28, 6
	v_pk_fma_f16 v12, v8, v14, v12
	v_pk_fma_f16 v4, v8, v4, v13
	;; [unrolled: 1-line block ×4, first 2 shown]
	v_mul_u32_u24_sdwa v8, v6, s21 dst_sel:DWORD dst_unused:UNUSED_PAD src0_sel:WORD_0 src1_sel:DWORD
	v_mul_u32_u24_sdwa v6, v6, s21 dst_sel:DWORD dst_unused:UNUSED_PAD src0_sel:WORD_1 src1_sel:DWORD
	v_mul_u32_u24_sdwa v11, v7, s21 dst_sel:DWORD dst_unused:UNUSED_PAD src0_sel:WORD_0 src1_sel:DWORD
	v_mul_u32_u24_sdwa v7, v7, s21 dst_sel:DWORD dst_unused:UNUSED_PAD src0_sel:WORD_1 src1_sel:DWORD
	s_add_i32 s2, s28, s2
	v_pk_fma_f16 v58, v9, v8, v12
	v_pk_fma_f16 v57, v9, v6, v4
	;; [unrolled: 1-line block ×4, first 2 shown]
	s_cmp_ge_i32 s2, s24
	s_cbranch_scc0 .LBB5_9
.LBB5_10:
	v_cmp_lt_i32_e32 vcc, v38, v35
	s_cmp_lg_u64 s[12:13], 0
	s_cselect_b64 s[4:5], -1, 0
	v_cndmask_b32_e32 v4, v29, v38, vcc
	v_cmp_lt_i32_e32 vcc, v39, v35
	v_lshlrev_b32_e32 v7, 2, v4
	ds_bpermute_b32 v5, v7, v21
	v_cndmask_b32_e32 v4, v29, v39, vcc
	v_cmp_lt_i32_e32 vcc, v40, v35
	v_lshlrev_b32_e32 v10, 2, v4
	ds_bpermute_b32 v6, v7, v18
	v_cndmask_b32_e32 v4, v29, v40, vcc
	v_lshlrev_b32_e32 v14, 2, v4
	ds_bpermute_b32 v4, v7, v20
	ds_bpermute_b32 v7, v7, v19
	v_cmp_lt_i32_e32 vcc, v37, v35
	s_cmp_eq_u32 s3, 0
	s_cselect_b64 s[6:7], -1, 0
	s_waitcnt lgkmcnt(1)
	v_pk_add_f32 v[4:5], v[20:21], v[4:5]
	s_waitcnt lgkmcnt(0)
	v_pk_add_f32 v[6:7], v[18:19], v[6:7]
	ds_bpermute_b32 v8, v10, v4
	ds_bpermute_b32 v9, v10, v5
	;; [unrolled: 1-line block ×4, first 2 shown]
	v_cndmask_b32_e32 v15, v29, v37, vcc
	v_lshlrev_b32_e32 v10, 2, v15
	s_waitcnt lgkmcnt(2)
	v_pk_add_f32 v[4:5], v[4:5], v[8:9]
	ds_bpermute_b32 v8, v14, v4
	s_waitcnt lgkmcnt(1)
	v_pk_add_f32 v[6:7], v[6:7], v[12:13]
	ds_bpermute_b32 v9, v14, v5
	ds_bpermute_b32 v12, v14, v6
	;; [unrolled: 1-line block ×3, first 2 shown]
	v_cmp_lt_i32_e32 vcc, v36, v35
	s_and_b64 s[4:5], s[6:7], s[4:5]
	s_waitcnt lgkmcnt(2)
	v_pk_add_f32 v[4:5], v[4:5], v[8:9]
	ds_bpermute_b32 v8, v10, v4
	s_waitcnt lgkmcnt(1)
	v_pk_add_f32 v[6:7], v[6:7], v[12:13]
	ds_bpermute_b32 v9, v10, v5
	ds_bpermute_b32 v12, v10, v6
	;; [unrolled: 1-line block ×3, first 2 shown]
	v_cndmask_b32_e32 v14, v29, v36, vcc
	v_lshlrev_b32_e32 v10, 2, v14
	s_waitcnt lgkmcnt(2)
	v_pk_add_f32 v[4:5], v[4:5], v[8:9]
	ds_bpermute_b32 v8, v10, v4
	s_waitcnt lgkmcnt(1)
	v_pk_add_f32 v[12:13], v[6:7], v[12:13]
	ds_bpermute_b32 v9, v10, v5
	ds_bpermute_b32 v14, v10, v12
	;; [unrolled: 1-line block ×3, first 2 shown]
	v_lshlrev_b32_e32 v11, 1, v16
	s_and_b64 vcc, exec, s[4:5]
	s_waitcnt lgkmcnt(2)
	v_pk_add_f32 v[6:7], v[4:5], v[8:9]
	s_waitcnt lgkmcnt(0)
	v_pk_add_f32 v[4:5], v[12:13], v[14:15]
	s_cbranch_vccz .LBB5_12
; %bb.11:
	v_add_u32_e32 v8, s25, v34
	v_ashrrev_i32_e32 v9, 31, v8
	v_lshl_add_u64 v[8:9], v[8:9], 2, s[12:13]
	global_load_dwordx4 v[12:15], v[8:9], off
	v_max_f32_e32 v8, v0, v0
	v_max_f32_e32 v9, v1, v1
	;; [unrolled: 1-line block ×3, first 2 shown]
	s_mov_b32 s5, 0x3fb8aa3b
	s_mov_b32 s4, 0xc2ce8ed0
	;; [unrolled: 1-line block ×3, first 2 shown]
	v_mov_b32_e32 v10, 0x7f800000
	s_waitcnt vmcnt(0)
	v_max_f32_e32 v18, v12, v12
	v_max_f32_e32 v19, v13, v13
	;; [unrolled: 1-line block ×5, first 2 shown]
	v_sub_f32_e32 v0, v0, v18
	v_max_f32_e32 v20, v20, v21
	v_sub_f32_e32 v8, v12, v18
	v_sub_f32_e32 v9, v13, v19
	v_mul_f32_e32 v13, 0x3fb8aa3b, v0
	v_sub_f32_e32 v1, v1, v19
	v_sub_f32_e32 v12, v14, v20
	v_mul_f32_e32 v14, 0x3fb8aa3b, v8
	v_fma_f32 v25, v0, s5, -v13
	v_rndne_f32_e32 v26, v13
	v_mul_f32_e32 v21, 0x3fb8aa3b, v1
	v_fma_f32 v27, v8, s5, -v14
	v_rndne_f32_e32 v28, v14
	v_fmac_f32_e32 v25, 0x32a5705f, v0
	v_sub_f32_e32 v13, v13, v26
	v_sub_f32_e32 v2, v2, v20
	v_mul_f32_e32 v22, 0x3fb8aa3b, v9
	v_fma_f32 v29, v1, s5, -v21
	v_rndne_f32_e32 v30, v21
	v_fmac_f32_e32 v27, 0x32a5705f, v8
	v_sub_f32_e32 v14, v14, v28
	v_add_f32_e32 v13, v13, v25
	v_mul_f32_e32 v23, 0x3fb8aa3b, v2
	v_fma_f32 v31, v9, s5, -v22
	v_rndne_f32_e32 v32, v22
	v_cvt_i32_f32_e32 v26, v26
	v_fmac_f32_e32 v29, 0x32a5705f, v1
	v_sub_f32_e32 v21, v21, v30
	v_add_f32_e32 v14, v14, v27
	v_exp_f32_e32 v13, v13
	v_fma_f32 v33, v2, s5, -v23
	v_rndne_f32_e32 v35, v23
	v_cvt_i32_f32_e32 v28, v28
	v_fmac_f32_e32 v31, 0x32a5705f, v9
	v_sub_f32_e32 v22, v22, v32
	v_add_f32_e32 v21, v21, v29
	v_exp_f32_e32 v14, v14
	v_cvt_i32_f32_e32 v30, v30
	v_fmac_f32_e32 v33, 0x32a5705f, v2
	v_sub_f32_e32 v23, v23, v35
	v_add_f32_e32 v22, v22, v31
	v_exp_f32_e32 v21, v21
	v_cvt_i32_f32_e32 v32, v32
	v_add_f32_e32 v23, v23, v33
	v_exp_f32_e32 v22, v22
	v_cvt_i32_f32_e32 v35, v35
	v_exp_f32_e32 v23, v23
	v_ldexp_f32 v13, v13, v26
	v_cmp_ngt_f32_e32 vcc, s4, v0
	v_ldexp_f32 v14, v14, v28
	v_ldexp_f32 v21, v21, v30
	v_cndmask_b32_e32 v13, 0, v13, vcc
	v_cmp_ngt_f32_e32 vcc, s4, v8
	v_ldexp_f32 v22, v22, v32
	v_mul_f32_e32 v24, 0x3fb8aa3b, v12
	v_cndmask_b32_e32 v14, 0, v14, vcc
	v_cmp_ngt_f32_e32 vcc, s4, v1
	v_ldexp_f32 v23, v23, v35
	v_fma_f32 v36, v12, s5, -v24
	v_cndmask_b32_e32 v21, 0, v21, vcc
	v_cmp_ngt_f32_e32 vcc, s4, v9
	v_rndne_f32_e32 v37, v24
	v_fmac_f32_e32 v36, 0x32a5705f, v12
	v_cndmask_b32_e32 v22, 0, v22, vcc
	v_cmp_ngt_f32_e32 vcc, s4, v2
	v_sub_f32_e32 v24, v24, v37
	v_add_f32_e32 v24, v24, v36
	v_cndmask_b32_e32 v23, 0, v23, vcc
	v_cmp_nlt_f32_e32 vcc, s2, v0
	v_cvt_i32_f32_e32 v37, v37
	v_exp_f32_e32 v24, v24
	v_cndmask_b32_e32 v0, v10, v13, vcc
	v_cmp_nlt_f32_e32 vcc, s2, v8
	v_cvt_f16_f32_e32 v13, v0
	v_ldexp_f32 v24, v24, v37
	v_cndmask_b32_e32 v8, v10, v14, vcc
	v_cmp_nlt_f32_e32 vcc, s2, v1
	v_mul_u32_u24_e32 v13, 0x10001, v13
	v_pk_mul_f16 v58, v58, v13
	v_cndmask_b32_e32 v1, v10, v21, vcc
	v_cmp_nlt_f32_e32 vcc, s2, v9
	v_cvt_f16_f32_e32 v14, v1
	v_max_f32_e32 v21, v15, v15
	v_cndmask_b32_e32 v9, v10, v22, vcc
	v_max_f32_e32 v22, v3, v3
	v_max_f32_e32 v21, v22, v21
	v_cmp_nlt_f32_e32 vcc, s2, v2
	v_sub_f32_e32 v3, v3, v21
	v_mul_f32_e32 v22, 0x3fb8aa3b, v3
	v_cndmask_b32_e32 v2, v10, v23, vcc
	v_cmp_ngt_f32_e32 vcc, s4, v12
	v_mul_u32_u24_e32 v14, 0x10001, v14
	v_fma_f32 v23, v3, s5, -v22
	v_cndmask_b32_e32 v13, 0, v24, vcc
	v_rndne_f32_e32 v24, v22
	v_pk_mul_f16 v57, v57, v14
	v_cvt_f16_f32_e32 v14, v2
	v_fmac_f32_e32 v23, 0x32a5705f, v3
	v_sub_f32_e32 v22, v22, v24
	v_add_f32_e32 v22, v22, v23
	v_exp_f32_e32 v22, v22
	v_cvt_i32_f32_e32 v23, v24
	v_cmp_nlt_f32_e32 vcc, s2, v12
	v_pk_fma_f32 v[6:7], v[6:7], v[0:1], v[8:9]
	s_nop 0
	v_cndmask_b32_e32 v12, v10, v13, vcc
	v_mul_u32_u24_e32 v13, 0x10001, v14
	v_sub_f32_e32 v14, v15, v21
	v_mul_f32_e32 v15, 0x3fb8aa3b, v14
	v_pk_mul_f16 v56, v56, v13
	v_ldexp_f32 v13, v22, v23
	v_fma_f32 v22, v14, s5, -v15
	v_rndne_f32_e32 v23, v15
	v_fmac_f32_e32 v22, 0x32a5705f, v14
	v_sub_f32_e32 v15, v15, v23
	v_add_f32_e32 v15, v15, v22
	v_exp_f32_e32 v15, v15
	v_cvt_i32_f32_e32 v22, v23
	v_cmp_ngt_f32_e32 vcc, s4, v3
	s_nop 1
	v_cndmask_b32_e32 v13, 0, v13, vcc
	v_cmp_nlt_f32_e32 vcc, s2, v3
	s_nop 1
	v_cndmask_b32_e32 v3, v10, v13, vcc
	v_ldexp_f32 v13, v15, v22
	v_cvt_f16_f32_e32 v15, v3
	v_cmp_ngt_f32_e32 vcc, s4, v14
	v_mul_u32_u24_e32 v0, 0x10001, v15
	s_nop 0
	v_cndmask_b32_e32 v13, 0, v13, vcc
	v_cmp_nlt_f32_e32 vcc, s2, v14
	v_pk_mul_f16 v59, v59, v0
	s_nop 0
	v_cndmask_b32_e32 v13, v10, v13, vcc
	v_pk_fma_f32 v[4:5], v[4:5], v[2:3], v[12:13]
	v_mov_b64_e32 v[0:1], v[18:19]
	v_mov_b64_e32 v[2:3], v[20:21]
.LBB5_12:
	v_cmp_gt_i32_e32 vcc, s22, v17
	s_and_saveexec_b64 s[4:5], vcc
	s_cbranch_execz .LBB5_29
; %bb.13:
	s_load_dword s8, s[0:1], 0xd4
	v_mov_b32_e32 v10, 1.0
	s_waitcnt lgkmcnt(0)
	s_cmp_lg_u32 s8, 1
	s_cselect_b64 s[0:1], -1, 0
	s_cmp_eq_u32 s8, 1
	s_cselect_b64 s[6:7], -1, 0
	s_and_b64 vcc, exec, s[0:1]
	s_cbranch_vccnz .LBB5_15
; %bb.14:
	v_div_scale_f32 v8, s[4:5], v6, v6, 1.0
	v_rcp_f32_e32 v9, v8
	v_div_scale_f32 v10, vcc, 1.0, v6, 1.0
	v_fma_f32 v12, -v8, v9, 1.0
	v_fmac_f32_e32 v9, v12, v9
	v_mul_f32_e32 v12, v10, v9
	v_fma_f32 v13, -v8, v12, v10
	v_fmac_f32_e32 v12, v13, v9
	v_fma_f32 v8, -v8, v12, v10
	v_div_fmas_f32 v8, v8, v9, v12
	v_div_fixup_f32 v10, v8, v6, 1.0
.LBB5_15:
	s_mul_i32 s30, s30, s22
	v_add_u32_e32 v8, s30, v17
	v_mul_lo_u32 v8, v8, s23
	v_add3_u32 v8, s25, v34, v8
	v_cvt_f32_f16_sdwa v13, v58 dst_sel:DWORD dst_unused:UNUSED_PAD src0_sel:WORD_1
	v_cvt_f32_f16_e32 v12, v58
	v_mul_lo_u32 v8, s8, v8
	v_add_u32_e32 v8, s3, v8
	v_cmp_eq_u32_e32 vcc, 0, v16
	v_lshl_add_u32 v14, v8, 6, v11
	v_mov_b32_e32 v15, 0
	s_and_b64 s[4:5], vcc, s[0:1]
	v_lshl_add_u64 v[14:15], v[14:15], 2, s[16:17]
	v_pk_mul_f32 v[12:13], v[10:11], v[12:13] op_sel_hi:[0,1]
	global_store_dwordx2 v[14:15], v[12:13], off
	s_and_saveexec_b64 s[0:1], s[4:5]
	s_cbranch_execz .LBB5_17
; %bb.16:
	v_ashrrev_i32_e32 v9, 31, v8
	v_lshl_add_u64 v[12:13], v[8:9], 3, s[18:19]
	v_mov_b32_e32 v14, v0
	v_mov_b32_e32 v15, v6
	global_store_dwordx2 v[12:13], v[14:15], off
.LBB5_17:
	s_or_b64 exec, exec, s[0:1]
	v_cndmask_b32_e64 v0, 0, 1, s[6:7]
	v_cmp_ne_u32_e64 s[0:1], 1, v0
	s_andn2_b64 vcc, exec, s[6:7]
	v_mov_b32_e32 v0, 1.0
	s_cbranch_vccnz .LBB5_19
; %bb.18:
	v_div_scale_f32 v0, s[2:3], v7, v7, 1.0
	v_rcp_f32_e32 v6, v0
	v_div_scale_f32 v9, vcc, 1.0, v7, 1.0
	v_fma_f32 v10, -v0, v6, 1.0
	v_fmac_f32_e32 v6, v10, v6
	v_mul_f32_e32 v10, v9, v6
	v_fma_f32 v12, -v0, v10, v9
	v_fmac_f32_e32 v10, v12, v6
	v_fma_f32 v0, -v0, v10, v9
	v_div_fmas_f32 v0, v0, v6, v10
	v_div_fixup_f32 v0, v0, v7, 1.0
.LBB5_19:
	v_cvt_f32_f16_sdwa v13, v57 dst_sel:DWORD dst_unused:UNUSED_PAD src0_sel:WORD_1
	v_cvt_f32_f16_e32 v12, v57
	v_add_u32_e32 v8, s8, v8
	v_lshl_add_u32 v14, v8, 6, v11
	v_mov_b32_e32 v15, 0
	v_lshl_add_u64 v[14:15], v[14:15], 2, s[16:17]
	v_pk_mul_f32 v[12:13], v[0:1], v[12:13] op_sel_hi:[0,1]
	global_store_dwordx2 v[14:15], v[12:13], off
	s_and_saveexec_b64 s[2:3], s[4:5]
	s_cbranch_execz .LBB5_21
; %bb.20:
	v_ashrrev_i32_e32 v9, 31, v8
	v_lshl_add_u64 v[12:13], v[8:9], 3, s[18:19]
	v_mov_b32_e32 v6, v1
	global_store_dwordx2 v[12:13], v[6:7], off
.LBB5_21:
	s_or_b64 exec, exec, s[2:3]
	s_and_b64 vcc, exec, s[0:1]
	v_mov_b32_e32 v6, 1.0
	s_cbranch_vccnz .LBB5_23
; %bb.22:
	v_div_scale_f32 v0, s[2:3], v4, v4, 1.0
	v_rcp_f32_e32 v1, v0
	v_div_scale_f32 v6, vcc, 1.0, v4, 1.0
	v_fma_f32 v7, -v0, v1, 1.0
	v_fmac_f32_e32 v1, v7, v1
	v_mul_f32_e32 v7, v6, v1
	v_fma_f32 v9, -v0, v7, v6
	v_fmac_f32_e32 v7, v9, v1
	v_fma_f32 v0, -v0, v7, v6
	v_div_fmas_f32 v0, v0, v1, v7
	v_div_fixup_f32 v6, v0, v4, 1.0
.LBB5_23:
	v_add_u32_e32 v0, s8, v8
	v_cvt_f32_f16_sdwa v9, v56 dst_sel:DWORD dst_unused:UNUSED_PAD src0_sel:WORD_1
	v_cvt_f32_f16_e32 v8, v56
	v_lshl_add_u32 v12, v0, 6, v11
	v_mov_b32_e32 v13, 0
	v_lshl_add_u64 v[12:13], v[12:13], 2, s[16:17]
	v_pk_mul_f32 v[6:7], v[6:7], v[8:9] op_sel_hi:[0,1]
	global_store_dwordx2 v[12:13], v[6:7], off
	s_and_saveexec_b64 s[2:3], s[4:5]
	s_cbranch_execz .LBB5_25
; %bb.24:
	v_ashrrev_i32_e32 v1, 31, v0
	v_lshl_add_u64 v[6:7], v[0:1], 3, s[18:19]
	v_mov_b32_e32 v8, v2
	v_mov_b32_e32 v9, v4
	global_store_dwordx2 v[6:7], v[8:9], off
.LBB5_25:
	s_or_b64 exec, exec, s[2:3]
	s_and_b64 vcc, exec, s[0:1]
	v_mov_b32_e32 v2, 1.0
	s_cbranch_vccnz .LBB5_27
; %bb.26:
	v_div_scale_f32 v1, s[0:1], v5, v5, 1.0
	v_rcp_f32_e32 v2, v1
	v_div_scale_f32 v4, vcc, 1.0, v5, 1.0
	v_fma_f32 v6, -v1, v2, 1.0
	v_fmac_f32_e32 v2, v6, v2
	v_mul_f32_e32 v6, v4, v2
	v_fma_f32 v7, -v1, v6, v4
	v_fmac_f32_e32 v6, v7, v2
	v_fma_f32 v1, -v1, v6, v4
	v_div_fmas_f32 v1, v1, v2, v6
	v_div_fixup_f32 v2, v1, v5, 1.0
.LBB5_27:
	v_cvt_f32_f16_sdwa v7, v59 dst_sel:DWORD dst_unused:UNUSED_PAD src0_sel:WORD_1
	v_cvt_f32_f16_e32 v6, v59
	v_add_u32_e32 v0, s8, v0
	v_lshl_add_u32 v8, v0, 6, v11
	v_mov_b32_e32 v9, 0
	v_lshl_add_u64 v[8:9], v[8:9], 2, s[16:17]
	v_pk_mul_f32 v[6:7], v[2:3], v[6:7] op_sel_hi:[0,1]
	global_store_dwordx2 v[8:9], v[6:7], off
	s_and_b64 exec, exec, s[4:5]
	s_cbranch_execz .LBB5_29
; %bb.28:
	v_ashrrev_i32_e32 v1, 31, v0
	v_lshl_add_u64 v[0:1], v[0:1], 3, s[18:19]
	v_mov_b32_e32 v4, v3
	global_store_dwordx2 v[0:1], v[4:5], off
.LBB5_29:
	s_endpgm
	.section	.rodata,"a",@progbits
	.p2align	6, 0x0
	.amdhsa_kernel _ZL15flash_attn_tileILi64ELi64ELi4ELi8ELb0EEvPKcS1_S1_S1_S1_PKiPfP15HIP_vector_typeIfLj2EEffffjfiS5_IjLj3EEiiiiiiiiiiiliiliiiiil
		.amdhsa_group_segment_fixed_size 17408
		.amdhsa_private_segment_fixed_size 0
		.amdhsa_kernarg_size 464
		.amdhsa_user_sgpr_count 2
		.amdhsa_user_sgpr_dispatch_ptr 0
		.amdhsa_user_sgpr_queue_ptr 0
		.amdhsa_user_sgpr_kernarg_segment_ptr 1
		.amdhsa_user_sgpr_dispatch_id 0
		.amdhsa_user_sgpr_kernarg_preload_length 0
		.amdhsa_user_sgpr_kernarg_preload_offset 0
		.amdhsa_user_sgpr_private_segment_size 0
		.amdhsa_uses_dynamic_stack 0
		.amdhsa_enable_private_segment 0
		.amdhsa_system_sgpr_workgroup_id_x 1
		.amdhsa_system_sgpr_workgroup_id_y 1
		.amdhsa_system_sgpr_workgroup_id_z 1
		.amdhsa_system_sgpr_workgroup_info 0
		.amdhsa_system_vgpr_workitem_id 1
		.amdhsa_next_free_vgpr 86
		.amdhsa_next_free_sgpr 40
		.amdhsa_accum_offset 88
		.amdhsa_reserve_vcc 1
		.amdhsa_float_round_mode_32 0
		.amdhsa_float_round_mode_16_64 0
		.amdhsa_float_denorm_mode_32 3
		.amdhsa_float_denorm_mode_16_64 3
		.amdhsa_dx10_clamp 1
		.amdhsa_ieee_mode 1
		.amdhsa_fp16_overflow 0
		.amdhsa_tg_split 0
		.amdhsa_exception_fp_ieee_invalid_op 0
		.amdhsa_exception_fp_denorm_src 0
		.amdhsa_exception_fp_ieee_div_zero 0
		.amdhsa_exception_fp_ieee_overflow 0
		.amdhsa_exception_fp_ieee_underflow 0
		.amdhsa_exception_fp_ieee_inexact 0
		.amdhsa_exception_int_div_zero 0
	.end_amdhsa_kernel
	.section	.text._ZL15flash_attn_tileILi64ELi64ELi4ELi8ELb0EEvPKcS1_S1_S1_S1_PKiPfP15HIP_vector_typeIfLj2EEffffjfiS5_IjLj3EEiiiiiiiiiiiliiliiiiil,"axG",@progbits,_ZL15flash_attn_tileILi64ELi64ELi4ELi8ELb0EEvPKcS1_S1_S1_S1_PKiPfP15HIP_vector_typeIfLj2EEffffjfiS5_IjLj3EEiiiiiiiiiiiliiliiiiil,comdat
.Lfunc_end5:
	.size	_ZL15flash_attn_tileILi64ELi64ELi4ELi8ELb0EEvPKcS1_S1_S1_S1_PKiPfP15HIP_vector_typeIfLj2EEffffjfiS5_IjLj3EEiiiiiiiiiiiliiliiiiil, .Lfunc_end5-_ZL15flash_attn_tileILi64ELi64ELi4ELi8ELb0EEvPKcS1_S1_S1_S1_PKiPfP15HIP_vector_typeIfLj2EEffffjfiS5_IjLj3EEiiiiiiiiiiiliiliiiiil
                                        ; -- End function
	.set _ZL15flash_attn_tileILi64ELi64ELi4ELi8ELb0EEvPKcS1_S1_S1_S1_PKiPfP15HIP_vector_typeIfLj2EEffffjfiS5_IjLj3EEiiiiiiiiiiiliiliiiiil.num_vgpr, 86
	.set _ZL15flash_attn_tileILi64ELi64ELi4ELi8ELb0EEvPKcS1_S1_S1_S1_PKiPfP15HIP_vector_typeIfLj2EEffffjfiS5_IjLj3EEiiiiiiiiiiiliiliiiiil.num_agpr, 0
	.set _ZL15flash_attn_tileILi64ELi64ELi4ELi8ELb0EEvPKcS1_S1_S1_S1_PKiPfP15HIP_vector_typeIfLj2EEffffjfiS5_IjLj3EEiiiiiiiiiiiliiliiiiil.numbered_sgpr, 40
	.set _ZL15flash_attn_tileILi64ELi64ELi4ELi8ELb0EEvPKcS1_S1_S1_S1_PKiPfP15HIP_vector_typeIfLj2EEffffjfiS5_IjLj3EEiiiiiiiiiiiliiliiiiil.num_named_barrier, 0
	.set _ZL15flash_attn_tileILi64ELi64ELi4ELi8ELb0EEvPKcS1_S1_S1_S1_PKiPfP15HIP_vector_typeIfLj2EEffffjfiS5_IjLj3EEiiiiiiiiiiiliiliiiiil.private_seg_size, 0
	.set _ZL15flash_attn_tileILi64ELi64ELi4ELi8ELb0EEvPKcS1_S1_S1_S1_PKiPfP15HIP_vector_typeIfLj2EEffffjfiS5_IjLj3EEiiiiiiiiiiiliiliiiiil.uses_vcc, 1
	.set _ZL15flash_attn_tileILi64ELi64ELi4ELi8ELb0EEvPKcS1_S1_S1_S1_PKiPfP15HIP_vector_typeIfLj2EEffffjfiS5_IjLj3EEiiiiiiiiiiiliiliiiiil.uses_flat_scratch, 0
	.set _ZL15flash_attn_tileILi64ELi64ELi4ELi8ELb0EEvPKcS1_S1_S1_S1_PKiPfP15HIP_vector_typeIfLj2EEffffjfiS5_IjLj3EEiiiiiiiiiiiliiliiiiil.has_dyn_sized_stack, 0
	.set _ZL15flash_attn_tileILi64ELi64ELi4ELi8ELb0EEvPKcS1_S1_S1_S1_PKiPfP15HIP_vector_typeIfLj2EEffffjfiS5_IjLj3EEiiiiiiiiiiiliiliiiiil.has_recursion, 0
	.set _ZL15flash_attn_tileILi64ELi64ELi4ELi8ELb0EEvPKcS1_S1_S1_S1_PKiPfP15HIP_vector_typeIfLj2EEffffjfiS5_IjLj3EEiiiiiiiiiiiliiliiiiil.has_indirect_call, 0
	.section	.AMDGPU.csdata,"",@progbits
; Kernel info:
; codeLenInByte = 15884
; TotalNumSgprs: 46
; NumVgprs: 86
; NumAgprs: 0
; TotalNumVgprs: 86
; ScratchSize: 0
; MemoryBound: 0
; FloatMode: 240
; IeeeMode: 1
; LDSByteSize: 17408 bytes/workgroup (compile time only)
; SGPRBlocks: 5
; VGPRBlocks: 10
; NumSGPRsForWavesPerEU: 46
; NumVGPRsForWavesPerEU: 86
; AccumOffset: 88
; Occupancy: 5
; WaveLimiterHint : 1
; COMPUTE_PGM_RSRC2:SCRATCH_EN: 0
; COMPUTE_PGM_RSRC2:USER_SGPR: 2
; COMPUTE_PGM_RSRC2:TRAP_HANDLER: 0
; COMPUTE_PGM_RSRC2:TGID_X_EN: 1
; COMPUTE_PGM_RSRC2:TGID_Y_EN: 1
; COMPUTE_PGM_RSRC2:TGID_Z_EN: 1
; COMPUTE_PGM_RSRC2:TIDIG_COMP_CNT: 1
; COMPUTE_PGM_RSRC3_GFX90A:ACCUM_OFFSET: 21
; COMPUTE_PGM_RSRC3_GFX90A:TG_SPLIT: 0
	.section	.text._ZL25flash_attn_mask_to_KV_maxILi4EEvPK7__half2Piiii,"axG",@progbits,_ZL25flash_attn_mask_to_KV_maxILi4EEvPK7__half2Piiii,comdat
	.globl	_ZL25flash_attn_mask_to_KV_maxILi4EEvPK7__half2Piiii ; -- Begin function _ZL25flash_attn_mask_to_KV_maxILi4EEvPK7__half2Piiii
	.p2align	8
	.type	_ZL25flash_attn_mask_to_KV_maxILi4EEvPK7__half2Piiii,@function
_ZL25flash_attn_mask_to_KV_maxILi4EEvPK7__half2Piiii: ; @_ZL25flash_attn_mask_to_KV_maxILi4EEvPK7__half2Piiii
; %bb.0:
	s_load_dwordx4 s[4:7], s[0:1], 0x0
	v_cmp_gt_u32_e32 vcc, 32, v0
	s_and_saveexec_b64 s[8:9], vcc
; %bb.1:
	v_lshlrev_b32_e32 v1, 2, v0
	v_mov_b32_e32 v2, 1
	ds_write_b32 v1, v2
; %bb.2:
	s_or_b64 exec, exec, s[8:9]
	s_load_dwordx4 s[8:11], s[0:1], 0x10
	s_load_dword s24, s[0:1], 0x20
	v_and_b32_e32 v2, 31, v0
	v_lshlrev_b32_e32 v6, 2, v2
	v_lshrrev_b32_e32 v1, 3, v0
	s_waitcnt lgkmcnt(0)
	s_mul_i32 s1, s2, s9
	s_mul_i32 s0, s10, s3
	s_lshl_b32 s1, s1, 2
	s_add_i32 s0, s0, s1
	s_ashr_i32 s1, s0, 31
	s_lshl_b64 s[0:1], s[0:1], 2
	s_add_u32 s10, s4, s0
	s_addc_u32 s11, s5, s1
	v_cmp_eq_u32_e64 s[0:1], 0, v2
	v_mbcnt_lo_u32_b32 v2, -1, 0
	v_mbcnt_hi_u32_b32 v7, -1, v2
	v_and_b32_e32 v2, 0x60, v7
	s_lshl_b32 s8, s8, 8
	s_mov_b64 s[12:13], 0
	v_mov_b32_e32 v3, 0
	s_movk_i32 s25, 0x204
	v_add_u32_e32 v8, 32, v2
	v_xor_b32_e32 v9, 16, v7
	v_xor_b32_e32 v10, 8, v7
	;; [unrolled: 1-line block ×5, first 2 shown]
	s_barrier
                                        ; implicit-def: $sgpr4_sgpr5
	s_branch .LBB6_5
.LBB6_3:                                ;   in Loop: Header=BB6_5 Depth=1
	s_or_b64 exec, exec, s[14:15]
	s_waitcnt lgkmcnt(0)
	s_barrier
	ds_read_b32 v16, v6
	s_waitcnt lgkmcnt(0)
	s_barrier
	ds_bpermute_b32 v2, v2, v16
	v_cmp_ne_u32_e32 vcc, 0, v16
	s_waitcnt lgkmcnt(0)
	v_cmp_ne_u32_e64 s[4:5], 0, v2
	s_and_b64 s[4:5], vcc, s[4:5]
	s_nop 0
	v_cndmask_b32_e64 v2, 0, 1, s[4:5]
	ds_bpermute_b32 v2, v4, v2
	s_waitcnt lgkmcnt(0)
	v_cmp_ne_u32_e32 vcc, 0, v2
	s_and_b64 s[4:5], vcc, s[4:5]
	v_cndmask_b32_e64 v2, 0, 1, s[4:5]
	ds_bpermute_b32 v2, v5, v2
	s_waitcnt lgkmcnt(0)
	v_cmp_ne_u32_e32 vcc, 0, v2
	s_and_b64 s[4:5], vcc, s[4:5]
	v_cndmask_b32_e64 v2, 0, 1, s[4:5]
	ds_bpermute_b32 v2, v14, v2
	s_waitcnt lgkmcnt(0)
	v_cmp_ne_u32_e32 vcc, 0, v2
	s_and_b64 s[4:5], vcc, s[4:5]
	v_cndmask_b32_e64 v2, 0, 1, s[4:5]
	ds_bpermute_b32 v2, v15, v2
	s_xor_b64 s[4:5], s[4:5], -1
	s_waitcnt lgkmcnt(0)
	v_cmp_eq_u32_e32 vcc, 0, v2
	s_or_b64 s[4:5], vcc, s[4:5]
.LBB6_4:                                ;   in Loop: Header=BB6_5 Depth=1
	s_and_b64 s[14:15], exec, s[4:5]
	s_or_b64 s[12:13], s[14:15], s[12:13]
	v_mov_b32_e32 v2, s8
	s_mov_b32 s8, s26
	s_andn2_b64 exec, exec, s[12:13]
	s_cbranch_execz .LBB6_20
.LBB6_5:                                ; =>This Inner Loop Header: Depth=1
	s_add_i32 s26, s8, 0xffffff00
	s_or_b64 s[4:5], s[4:5], exec
	s_cmp_lt_i32 s26, 0
	s_cbranch_scc1 .LBB6_4
; %bb.6:                                ;   in Loop: Header=BB6_5 Depth=1
	s_lshr_b32 s4, s26, 1
	v_add_u32_e32 v2, s4, v0
	v_lshl_add_u64 v[4:5], v[2:3], 2, s[10:11]
	global_load_dword v4, v[4:5], off
	v_mov_b32_e32 v5, 0
	s_waitcnt vmcnt(0)
	v_cmp_class_f16_e64 s[4:5], v4, s25
	v_cmp_class_f16_sdwa s[14:15], v4, s25 src0_sel:WORD_1 src1_sel:DWORD
	s_and_b64 s[14:15], s[4:5], s[14:15]
	s_and_saveexec_b64 s[4:5], s[14:15]
	s_cbranch_execz .LBB6_18
; %bb.7:                                ;   in Loop: Header=BB6_5 Depth=1
	v_add_u32_e32 v4, s9, v2
	v_ashrrev_i32_e32 v5, 31, v4
	v_lshl_add_u64 v[14:15], v[4:5], 2, s[10:11]
	global_load_dword v2, v[14:15], off
	v_mov_b32_e32 v5, 0
	s_waitcnt vmcnt(0)
	v_cmp_class_f16_e64 s[16:17], v2, s25
	s_and_saveexec_b64 s[14:15], s[16:17]
	s_cbranch_execz .LBB6_17
; %bb.8:                                ;   in Loop: Header=BB6_5 Depth=1
	v_cmp_class_f16_sdwa s[18:19], v2, s25 src0_sel:WORD_1 src1_sel:DWORD
	v_mov_b32_e32 v5, 0
	s_and_saveexec_b64 s[16:17], s[18:19]
	s_cbranch_execz .LBB6_16
; %bb.9:                                ;   in Loop: Header=BB6_5 Depth=1
	v_add_u32_e32 v4, s9, v4
	v_ashrrev_i32_e32 v5, 31, v4
	v_lshl_add_u64 v[14:15], v[4:5], 2, s[10:11]
	global_load_dword v2, v[14:15], off
	v_mov_b32_e32 v5, 0
	s_waitcnt vmcnt(0)
	v_cmp_class_f16_e64 s[20:21], v2, s25
	s_and_saveexec_b64 s[18:19], s[20:21]
	s_cbranch_execz .LBB6_15
; %bb.10:                               ;   in Loop: Header=BB6_5 Depth=1
	v_cmp_class_f16_sdwa s[22:23], v2, s25 src0_sel:WORD_1 src1_sel:DWORD
	v_mov_b32_e32 v5, 0
	s_and_saveexec_b64 s[20:21], s[22:23]
	s_cbranch_execz .LBB6_14
; %bb.11:                               ;   in Loop: Header=BB6_5 Depth=1
	v_add_u32_e32 v4, s9, v4
	v_ashrrev_i32_e32 v5, 31, v4
	v_lshl_add_u64 v[4:5], v[4:5], 2, s[10:11]
	global_load_dword v2, v[4:5], off
	v_mov_b32_e32 v5, 0
	s_waitcnt vmcnt(0)
	v_cmp_class_f16_e64 s[28:29], v2, s25
	s_and_saveexec_b64 s[22:23], s[28:29]
; %bb.12:                               ;   in Loop: Header=BB6_5 Depth=1
	v_cmp_class_f16_sdwa s[28:29], v2, s25 src0_sel:WORD_1 src1_sel:DWORD
	s_nop 1
	v_cndmask_b32_e64 v5, 0, 1, s[28:29]
; %bb.13:                               ;   in Loop: Header=BB6_5 Depth=1
	s_or_b64 exec, exec, s[22:23]
.LBB6_14:                               ;   in Loop: Header=BB6_5 Depth=1
	s_or_b64 exec, exec, s[20:21]
.LBB6_15:                               ;   in Loop: Header=BB6_5 Depth=1
	s_or_b64 exec, exec, s[18:19]
.LBB6_16:                               ;   in Loop: Header=BB6_5 Depth=1
	s_or_b64 exec, exec, s[16:17]
.LBB6_17:                               ;   in Loop: Header=BB6_5 Depth=1
	s_or_b64 exec, exec, s[14:15]
.LBB6_18:                               ;   in Loop: Header=BB6_5 Depth=1
	s_or_b64 exec, exec, s[4:5]
	v_cmp_lt_i32_e32 vcc, v9, v8
	s_nop 1
	v_cndmask_b32_e32 v2, v7, v9, vcc
	v_lshlrev_b32_e32 v2, 2, v2
	ds_bpermute_b32 v4, v2, v5
	v_cmp_ne_u32_e32 vcc, 0, v5
	s_waitcnt lgkmcnt(0)
	v_cmp_ne_u32_e64 s[4:5], 0, v4
	s_and_b64 s[4:5], vcc, s[4:5]
	v_cmp_lt_i32_e32 vcc, v10, v8
	v_cndmask_b32_e64 v5, 0, 1, s[4:5]
	s_nop 0
	v_cndmask_b32_e32 v4, v7, v10, vcc
	v_lshlrev_b32_e32 v4, 2, v4
	ds_bpermute_b32 v5, v4, v5
	s_waitcnt lgkmcnt(0)
	v_cmp_ne_u32_e32 vcc, 0, v5
	s_and_b64 s[4:5], vcc, s[4:5]
	v_cmp_lt_i32_e32 vcc, v11, v8
	v_cndmask_b32_e64 v14, 0, 1, s[4:5]
	s_nop 0
	v_cndmask_b32_e32 v5, v7, v11, vcc
	v_lshlrev_b32_e32 v5, 2, v5
	ds_bpermute_b32 v14, v5, v14
	s_waitcnt lgkmcnt(0)
	v_cmp_ne_u32_e32 vcc, 0, v14
	;; [unrolled: 9-line block ×3, first 2 shown]
	s_and_b64 s[4:5], vcc, s[4:5]
	v_cmp_lt_i32_e32 vcc, v13, v8
	v_cndmask_b32_e64 v16, 0, 1, s[4:5]
	s_nop 0
	v_cndmask_b32_e32 v15, v7, v13, vcc
	v_lshlrev_b32_e32 v15, 2, v15
	ds_bpermute_b32 v16, v15, v16
	s_and_saveexec_b64 s[14:15], s[0:1]
	s_cbranch_execz .LBB6_3
; %bb.19:                               ;   in Loop: Header=BB6_5 Depth=1
	s_waitcnt lgkmcnt(0)
	v_cmp_ne_u32_e32 vcc, 0, v16
	s_and_b64 s[4:5], vcc, s[4:5]
	v_cndmask_b32_e64 v16, 0, 1, s[4:5]
	ds_write_b32 v1, v16
	s_branch .LBB6_3
.LBB6_20:
	s_or_b64 exec, exec, s[12:13]
	v_cmp_eq_u32_e32 vcc, 0, v0
	s_and_saveexec_b64 s[0:1], vcc
	s_cbranch_execz .LBB6_22
; %bb.21:
	s_mul_i32 s0, s24, s3
	s_add_i32 s0, s0, s2
	s_ashr_i32 s1, s0, 31
	s_lshl_b64 s[0:1], s[0:1], 2
	s_add_u32 s0, s6, s0
	s_addc_u32 s1, s7, s1
	v_mov_b32_e32 v0, 0
	global_store_dword v0, v2, s[0:1]
.LBB6_22:
	s_endpgm
	.section	.rodata,"a",@progbits
	.p2align	6, 0x0
	.amdhsa_kernel _ZL25flash_attn_mask_to_KV_maxILi4EEvPK7__half2Piiii
		.amdhsa_group_segment_fixed_size 128
		.amdhsa_private_segment_fixed_size 0
		.amdhsa_kernarg_size 288
		.amdhsa_user_sgpr_count 2
		.amdhsa_user_sgpr_dispatch_ptr 0
		.amdhsa_user_sgpr_queue_ptr 0
		.amdhsa_user_sgpr_kernarg_segment_ptr 1
		.amdhsa_user_sgpr_dispatch_id 0
		.amdhsa_user_sgpr_kernarg_preload_length 0
		.amdhsa_user_sgpr_kernarg_preload_offset 0
		.amdhsa_user_sgpr_private_segment_size 0
		.amdhsa_uses_dynamic_stack 0
		.amdhsa_enable_private_segment 0
		.amdhsa_system_sgpr_workgroup_id_x 1
		.amdhsa_system_sgpr_workgroup_id_y 1
		.amdhsa_system_sgpr_workgroup_id_z 0
		.amdhsa_system_sgpr_workgroup_info 0
		.amdhsa_system_vgpr_workitem_id 0
		.amdhsa_next_free_vgpr 17
		.amdhsa_next_free_sgpr 30
		.amdhsa_accum_offset 20
		.amdhsa_reserve_vcc 1
		.amdhsa_float_round_mode_32 0
		.amdhsa_float_round_mode_16_64 0
		.amdhsa_float_denorm_mode_32 3
		.amdhsa_float_denorm_mode_16_64 3
		.amdhsa_dx10_clamp 1
		.amdhsa_ieee_mode 1
		.amdhsa_fp16_overflow 0
		.amdhsa_tg_split 0
		.amdhsa_exception_fp_ieee_invalid_op 0
		.amdhsa_exception_fp_denorm_src 0
		.amdhsa_exception_fp_ieee_div_zero 0
		.amdhsa_exception_fp_ieee_overflow 0
		.amdhsa_exception_fp_ieee_underflow 0
		.amdhsa_exception_fp_ieee_inexact 0
		.amdhsa_exception_int_div_zero 0
	.end_amdhsa_kernel
	.section	.text._ZL25flash_attn_mask_to_KV_maxILi4EEvPK7__half2Piiii,"axG",@progbits,_ZL25flash_attn_mask_to_KV_maxILi4EEvPK7__half2Piiii,comdat
.Lfunc_end6:
	.size	_ZL25flash_attn_mask_to_KV_maxILi4EEvPK7__half2Piiii, .Lfunc_end6-_ZL25flash_attn_mask_to_KV_maxILi4EEvPK7__half2Piiii
                                        ; -- End function
	.set _ZL25flash_attn_mask_to_KV_maxILi4EEvPK7__half2Piiii.num_vgpr, 17
	.set _ZL25flash_attn_mask_to_KV_maxILi4EEvPK7__half2Piiii.num_agpr, 0
	.set _ZL25flash_attn_mask_to_KV_maxILi4EEvPK7__half2Piiii.numbered_sgpr, 30
	.set _ZL25flash_attn_mask_to_KV_maxILi4EEvPK7__half2Piiii.num_named_barrier, 0
	.set _ZL25flash_attn_mask_to_KV_maxILi4EEvPK7__half2Piiii.private_seg_size, 0
	.set _ZL25flash_attn_mask_to_KV_maxILi4EEvPK7__half2Piiii.uses_vcc, 1
	.set _ZL25flash_attn_mask_to_KV_maxILi4EEvPK7__half2Piiii.uses_flat_scratch, 0
	.set _ZL25flash_attn_mask_to_KV_maxILi4EEvPK7__half2Piiii.has_dyn_sized_stack, 0
	.set _ZL25flash_attn_mask_to_KV_maxILi4EEvPK7__half2Piiii.has_recursion, 0
	.set _ZL25flash_attn_mask_to_KV_maxILi4EEvPK7__half2Piiii.has_indirect_call, 0
	.section	.AMDGPU.csdata,"",@progbits
; Kernel info:
; codeLenInByte = 988
; TotalNumSgprs: 36
; NumVgprs: 17
; NumAgprs: 0
; TotalNumVgprs: 17
; ScratchSize: 0
; MemoryBound: 0
; FloatMode: 240
; IeeeMode: 1
; LDSByteSize: 128 bytes/workgroup (compile time only)
; SGPRBlocks: 4
; VGPRBlocks: 2
; NumSGPRsForWavesPerEU: 36
; NumVGPRsForWavesPerEU: 17
; AccumOffset: 20
; Occupancy: 8
; WaveLimiterHint : 0
; COMPUTE_PGM_RSRC2:SCRATCH_EN: 0
; COMPUTE_PGM_RSRC2:USER_SGPR: 2
; COMPUTE_PGM_RSRC2:TRAP_HANDLER: 0
; COMPUTE_PGM_RSRC2:TGID_X_EN: 1
; COMPUTE_PGM_RSRC2:TGID_Y_EN: 1
; COMPUTE_PGM_RSRC2:TGID_Z_EN: 0
; COMPUTE_PGM_RSRC2:TIDIG_COMP_CNT: 0
; COMPUTE_PGM_RSRC3_GFX90A:ACCUM_OFFSET: 4
; COMPUTE_PGM_RSRC3_GFX90A:TG_SPLIT: 0
	.section	.text._ZL33flash_attn_stream_k_fixup_uniformILi64ELi4ELi8EEvPfPK15HIP_vector_typeIfLj2EEiiiiiiS1_IjLj3EES5_S5_,"axG",@progbits,_ZL33flash_attn_stream_k_fixup_uniformILi64ELi4ELi8EEvPfPK15HIP_vector_typeIfLj2EEiiiiiiS1_IjLj3EES5_S5_,comdat
	.globl	_ZL33flash_attn_stream_k_fixup_uniformILi64ELi4ELi8EEvPfPK15HIP_vector_typeIfLj2EEiiiiiiS1_IjLj3EES5_S5_ ; -- Begin function _ZL33flash_attn_stream_k_fixup_uniformILi64ELi4ELi8EEvPfPK15HIP_vector_typeIfLj2EEiiiiiiS1_IjLj3EES5_S5_
	.p2align	8
	.type	_ZL33flash_attn_stream_k_fixup_uniformILi64ELi4ELi8EEvPfPK15HIP_vector_typeIfLj2EEiiiiiiS1_IjLj3EES5_S5_,@function
_ZL33flash_attn_stream_k_fixup_uniformILi64ELi4ELi8EEvPfPK15HIP_vector_typeIfLj2EEiiiiiiS1_IjLj3EES5_S5_: ; @_ZL33flash_attn_stream_k_fixup_uniformILi64ELi4ELi8EEvPfPK15HIP_vector_typeIfLj2EEiiiiiiS1_IjLj3EES5_S5_
; %bb.0:
	s_load_dwordx8 s[8:15], s[0:1], 0x1c
	s_load_dwordx2 s[6:7], s[0:1], 0x10
	s_load_dwordx4 s[20:23], s[0:1], 0x3c
	s_waitcnt lgkmcnt(0)
	s_mul_hi_u32 s5, s11, s2
	s_add_i32 s5, s2, s5
	s_lshr_b32 s5, s5, s12
	s_mul_i32 s11, s5, s13
	s_sub_i32 s11, s2, s11
	s_mul_hi_u32 s12, s11, s14
	s_add_i32 s12, s11, s12
	s_lshr_b32 s16, s12, s15
	s_mul_i32 s12, s16, s20
	s_sub_i32 s11, s11, s12
	;; [unrolled: 5-line block ×3, first 2 shown]
	s_lshl_b32 s11, s12, 3
	s_lshl_b32 s12, s17, 2
	s_add_i32 s12, s12, s3
	s_cmp_lt_i32 s12, s6
	s_cselect_b64 s[12:13], -1, 0
	s_add_i32 s14, s11, s4
	s_cmp_lt_i32 s14, s9
	s_cselect_b64 s[14:15], -1, 0
	s_and_b64 s[12:13], s[12:13], s[14:15]
	s_andn2_b64 vcc, exec, s[12:13]
	s_cbranch_vccnz .LBB7_6
; %bb.1:
	s_load_dwordx4 s[12:15], s[0:1], 0x0
	s_mul_i32 s0, s5, s6
	s_add_i32 s0, s0, s3
	s_mul_i32 s0, s0, s7
	s_mul_i32 s16, s16, s9
	s_add_i32 s0, s0, s4
	s_add_i32 s0, s0, s16
	s_mul_i32 s1, s7, s17
	s_add_i32 s0, s0, s11
	s_lshl_b32 s1, s1, 8
	s_lshl_b32 s0, s0, 6
	s_add_i32 s1, s1, s0
	v_or_b32_e32 v4, s1, v0
	s_waitcnt lgkmcnt(0)
	v_mov_b32_e32 v2, s12
	v_mov_b32_e32 v3, s13
	v_ashrrev_i32_e32 v5, 31, v4
	v_lshl_add_u64 v[2:3], v[4:5], 2, v[2:3]
	global_load_dword v5, v[2:3], off
	s_mul_i32 s5, s10, s2
	s_lshl_b32 s11, s3, 3
	s_add_i32 s9, s5, s10
	s_add_i32 s0, s11, s4
	s_lshl_b32 s1, s9, 5
	s_add_i32 s0, s0, s1
	s_sub_i32 s0, s0, 32
	s_ashr_i32 s1, s0, 31
	s_lshl_b64 s[0:1], s[0:1], 3
	s_add_u32 s0, s14, s0
	s_addc_u32 s1, s15, s1
	s_load_dword s12, s[0:1], 0x4
	s_add_i32 s6, s9, -2
	s_cmp_lt_i32 s6, s5
	s_cbranch_scc1 .LBB7_4
; %bb.2:
	s_lshl_b32 s6, s8, 7
	s_ashr_i32 s7, s6, 31
	s_lshl_b64 s[6:7], s[6:7], 2
	s_add_u32 s6, s14, s6
	s_addc_u32 s7, s15, s7
	s_add_i32 s2, s2, 1
	s_load_dword s0, s[0:1], 0x0
	s_mul_i32 s1, s10, s2
	s_lshl_b32 s3, s3, 9
	s_lshl_b32 s10, s4, 6
	;; [unrolled: 1-line block ×3, first 2 shown]
	s_add_i32 s3, s10, s3
	s_lshl_b32 s1, s1, 5
	s_add_i32 s3, s3, s2
	s_add_i32 s1, s4, s1
	s_lshl_b32 s2, s8, 5
	s_add_i32 s1, s1, s2
	v_or_b32_e32 v0, s3, v0
	s_add_i32 s1, s1, s11
	s_add_i32 s9, s9, -1
	v_add_u32_e32 v0, 0xfffff000, v0
	s_sub_i32 s2, s1, 64
	s_waitcnt lgkmcnt(0)
	v_mov_b32_e32 v7, s0
	v_mov_b32_e32 v4, s12
	s_mov_b32 s4, 0x3fb8aa3b
	s_mov_b32 s8, 0xc2ce8ed0
	;; [unrolled: 1-line block ×3, first 2 shown]
	v_mov_b32_e32 v6, 0x7f800000
	s_mov_b32 s11, 0xc1a00000
.LBB7_3:                                ; =>This Inner Loop Header: Depth=1
	v_ashrrev_i32_e32 v1, 31, v0
	v_lshl_add_u64 v[8:9], v[0:1], 2, s[6:7]
	global_load_dword v9, v[8:9], off
	s_ashr_i32 s3, s2, 31
	s_lshl_b64 s[0:1], s[2:3], 3
	s_add_u32 s0, s14, s0
	s_addc_u32 s1, s15, s1
	s_load_dwordx2 s[0:1], s[0:1], 0x0
	v_max_f32_e32 v1, v7, v7
	s_add_i32 s9, s9, -1
	s_sub_i32 s2, s2, 32
	v_add_u32_e32 v0, 0xfffff800, v0
	s_waitcnt lgkmcnt(0)
	v_max_f32_e64 v10, s0, s0
	v_max_f32_e32 v1, v1, v10
	v_sub_f32_e32 v11, s0, v1
	v_sub_f32_e32 v10, v7, v1
	v_mul_f32_e32 v12, 0x3fb8aa3b, v11
	v_mov_b32_e32 v7, v1
	v_mul_f32_e32 v1, 0x3fb8aa3b, v10
	v_fma_f32 v15, v11, s4, -v12
	v_rndne_f32_e32 v16, v12
	v_fma_f32 v13, v10, s4, -v1
	v_rndne_f32_e32 v14, v1
	v_fmac_f32_e32 v15, 0x32a5705f, v11
	v_sub_f32_e32 v12, v12, v16
	v_fmac_f32_e32 v13, 0x32a5705f, v10
	v_sub_f32_e32 v1, v1, v14
	v_add_f32_e32 v12, v12, v15
	v_cvt_i32_f32_e32 v16, v16
	v_add_f32_e32 v1, v1, v13
	v_exp_f32_e32 v12, v12
	v_cvt_i32_f32_e32 v14, v14
	v_exp_f32_e32 v1, v1
	v_cmp_ngt_f32_e32 vcc, s8, v11
	v_ldexp_f32 v12, v12, v16
	v_mov_b32_e32 v8, s1
	v_ldexp_f32 v1, v1, v14
	v_cmp_ngt_f32_e64 s[0:1], s8, v10
	v_cndmask_b32_e32 v12, 0, v12, vcc
	v_cmp_nlt_f32_e32 vcc, s10, v11
	v_cndmask_b32_e64 v1, 0, v1, s[0:1]
	v_cmp_nlt_f32_e64 s[0:1], s10, v10
	v_cndmask_b32_e32 v12, v6, v12, vcc
	v_cmp_le_f32_e32 vcc, s11, v11
	v_cndmask_b32_e64 v1, v6, v1, s[0:1]
	v_cmp_le_f32_e64 s[0:1], s11, v10
	v_cndmask_b32_e32 v12, 0, v12, vcc
	s_cmp_le_i32 s9, s5
	v_cndmask_b32_e64 v10, 0, v1, s[0:1]
	s_waitcnt vmcnt(0)
	v_pk_mul_f32 v[8:9], v[8:9], v[12:13] op_sel_hi:[1,0]
	s_nop 0
	v_pk_fma_f32 v[4:5], v[4:5], v[10:11], v[8:9] op_sel_hi:[1,0,1]
	s_cbranch_scc0 .LBB7_3
	s_branch .LBB7_5
.LBB7_4:
	s_waitcnt lgkmcnt(0)
	v_mov_b32_e32 v4, s12
.LBB7_5:
	s_waitcnt vmcnt(0)
	v_div_scale_f32 v0, s[0:1], v4, v4, v5
	v_rcp_f32_e32 v1, v0
	v_div_scale_f32 v6, vcc, v5, v4, v5
	v_fma_f32 v7, -v0, v1, 1.0
	v_fmac_f32_e32 v1, v7, v1
	v_mul_f32_e32 v7, v6, v1
	v_fma_f32 v8, -v0, v7, v6
	v_fmac_f32_e32 v7, v8, v1
	v_fma_f32 v0, -v0, v7, v6
	v_div_fmas_f32 v0, v0, v1, v7
	v_div_fixup_f32 v0, v0, v4, v5
	global_store_dword v[2:3], v0, off
.LBB7_6:
	s_endpgm
	.section	.rodata,"a",@progbits
	.p2align	6, 0x0
	.amdhsa_kernel _ZL33flash_attn_stream_k_fixup_uniformILi64ELi4ELi8EEvPfPK15HIP_vector_typeIfLj2EEiiiiiiS1_IjLj3EES5_S5_
		.amdhsa_group_segment_fixed_size 0
		.amdhsa_private_segment_fixed_size 0
		.amdhsa_kernarg_size 76
		.amdhsa_user_sgpr_count 2
		.amdhsa_user_sgpr_dispatch_ptr 0
		.amdhsa_user_sgpr_queue_ptr 0
		.amdhsa_user_sgpr_kernarg_segment_ptr 1
		.amdhsa_user_sgpr_dispatch_id 0
		.amdhsa_user_sgpr_kernarg_preload_length 0
		.amdhsa_user_sgpr_kernarg_preload_offset 0
		.amdhsa_user_sgpr_private_segment_size 0
		.amdhsa_uses_dynamic_stack 0
		.amdhsa_enable_private_segment 0
		.amdhsa_system_sgpr_workgroup_id_x 1
		.amdhsa_system_sgpr_workgroup_id_y 1
		.amdhsa_system_sgpr_workgroup_id_z 1
		.amdhsa_system_sgpr_workgroup_info 0
		.amdhsa_system_vgpr_workitem_id 0
		.amdhsa_next_free_vgpr 17
		.amdhsa_next_free_sgpr 24
		.amdhsa_accum_offset 20
		.amdhsa_reserve_vcc 1
		.amdhsa_float_round_mode_32 0
		.amdhsa_float_round_mode_16_64 0
		.amdhsa_float_denorm_mode_32 3
		.amdhsa_float_denorm_mode_16_64 3
		.amdhsa_dx10_clamp 1
		.amdhsa_ieee_mode 1
		.amdhsa_fp16_overflow 0
		.amdhsa_tg_split 0
		.amdhsa_exception_fp_ieee_invalid_op 0
		.amdhsa_exception_fp_denorm_src 0
		.amdhsa_exception_fp_ieee_div_zero 0
		.amdhsa_exception_fp_ieee_overflow 0
		.amdhsa_exception_fp_ieee_underflow 0
		.amdhsa_exception_fp_ieee_inexact 0
		.amdhsa_exception_int_div_zero 0
	.end_amdhsa_kernel
	.section	.text._ZL33flash_attn_stream_k_fixup_uniformILi64ELi4ELi8EEvPfPK15HIP_vector_typeIfLj2EEiiiiiiS1_IjLj3EES5_S5_,"axG",@progbits,_ZL33flash_attn_stream_k_fixup_uniformILi64ELi4ELi8EEvPfPK15HIP_vector_typeIfLj2EEiiiiiiS1_IjLj3EES5_S5_,comdat
.Lfunc_end7:
	.size	_ZL33flash_attn_stream_k_fixup_uniformILi64ELi4ELi8EEvPfPK15HIP_vector_typeIfLj2EEiiiiiiS1_IjLj3EES5_S5_, .Lfunc_end7-_ZL33flash_attn_stream_k_fixup_uniformILi64ELi4ELi8EEvPfPK15HIP_vector_typeIfLj2EEiiiiiiS1_IjLj3EES5_S5_
                                        ; -- End function
	.set _ZL33flash_attn_stream_k_fixup_uniformILi64ELi4ELi8EEvPfPK15HIP_vector_typeIfLj2EEiiiiiiS1_IjLj3EES5_S5_.num_vgpr, 17
	.set _ZL33flash_attn_stream_k_fixup_uniformILi64ELi4ELi8EEvPfPK15HIP_vector_typeIfLj2EEiiiiiiS1_IjLj3EES5_S5_.num_agpr, 0
	.set _ZL33flash_attn_stream_k_fixup_uniformILi64ELi4ELi8EEvPfPK15HIP_vector_typeIfLj2EEiiiiiiS1_IjLj3EES5_S5_.numbered_sgpr, 24
	.set _ZL33flash_attn_stream_k_fixup_uniformILi64ELi4ELi8EEvPfPK15HIP_vector_typeIfLj2EEiiiiiiS1_IjLj3EES5_S5_.num_named_barrier, 0
	.set _ZL33flash_attn_stream_k_fixup_uniformILi64ELi4ELi8EEvPfPK15HIP_vector_typeIfLj2EEiiiiiiS1_IjLj3EES5_S5_.private_seg_size, 0
	.set _ZL33flash_attn_stream_k_fixup_uniformILi64ELi4ELi8EEvPfPK15HIP_vector_typeIfLj2EEiiiiiiS1_IjLj3EES5_S5_.uses_vcc, 1
	.set _ZL33flash_attn_stream_k_fixup_uniformILi64ELi4ELi8EEvPfPK15HIP_vector_typeIfLj2EEiiiiiiS1_IjLj3EES5_S5_.uses_flat_scratch, 0
	.set _ZL33flash_attn_stream_k_fixup_uniformILi64ELi4ELi8EEvPfPK15HIP_vector_typeIfLj2EEiiiiiiS1_IjLj3EES5_S5_.has_dyn_sized_stack, 0
	.set _ZL33flash_attn_stream_k_fixup_uniformILi64ELi4ELi8EEvPfPK15HIP_vector_typeIfLj2EEiiiiiiS1_IjLj3EES5_S5_.has_recursion, 0
	.set _ZL33flash_attn_stream_k_fixup_uniformILi64ELi4ELi8EEvPfPK15HIP_vector_typeIfLj2EEiiiiiiS1_IjLj3EES5_S5_.has_indirect_call, 0
	.section	.AMDGPU.csdata,"",@progbits
; Kernel info:
; codeLenInByte = 836
; TotalNumSgprs: 30
; NumVgprs: 17
; NumAgprs: 0
; TotalNumVgprs: 17
; ScratchSize: 0
; MemoryBound: 0
; FloatMode: 240
; IeeeMode: 1
; LDSByteSize: 0 bytes/workgroup (compile time only)
; SGPRBlocks: 3
; VGPRBlocks: 2
; NumSGPRsForWavesPerEU: 30
; NumVGPRsForWavesPerEU: 17
; AccumOffset: 20
; Occupancy: 8
; WaveLimiterHint : 0
; COMPUTE_PGM_RSRC2:SCRATCH_EN: 0
; COMPUTE_PGM_RSRC2:USER_SGPR: 2
; COMPUTE_PGM_RSRC2:TRAP_HANDLER: 0
; COMPUTE_PGM_RSRC2:TGID_X_EN: 1
; COMPUTE_PGM_RSRC2:TGID_Y_EN: 1
; COMPUTE_PGM_RSRC2:TGID_Z_EN: 1
; COMPUTE_PGM_RSRC2:TIDIG_COMP_CNT: 0
; COMPUTE_PGM_RSRC3_GFX90A:ACCUM_OFFSET: 4
; COMPUTE_PGM_RSRC3_GFX90A:TG_SPLIT: 0
	.section	.text._ZL33flash_attn_stream_k_fixup_generalILi64ELi4ELi8EEvPfPK15HIP_vector_typeIfLj2EEiiiiS1_IjLj3EES5_S5_S5_,"axG",@progbits,_ZL33flash_attn_stream_k_fixup_generalILi64ELi4ELi8EEvPfPK15HIP_vector_typeIfLj2EEiiiiS1_IjLj3EES5_S5_S5_,comdat
	.globl	_ZL33flash_attn_stream_k_fixup_generalILi64ELi4ELi8EEvPfPK15HIP_vector_typeIfLj2EEiiiiS1_IjLj3EES5_S5_S5_ ; -- Begin function _ZL33flash_attn_stream_k_fixup_generalILi64ELi4ELi8EEvPfPK15HIP_vector_typeIfLj2EEiiiiS1_IjLj3EES5_S5_S5_
	.p2align	8
	.type	_ZL33flash_attn_stream_k_fixup_generalILi64ELi4ELi8EEvPfPK15HIP_vector_typeIfLj2EEiiiiS1_IjLj3EES5_S5_S5_,@function
_ZL33flash_attn_stream_k_fixup_generalILi64ELi4ELi8EEvPfPK15HIP_vector_typeIfLj2EEiiiiS1_IjLj3EES5_S5_S5_: ; @_ZL33flash_attn_stream_k_fixup_generalILi64ELi4ELi8EEvPfPK15HIP_vector_typeIfLj2EEiiiiS1_IjLj3EES5_S5_S5_
; %bb.0:
	s_load_dwordx4 s[8:11], s[0:1], 0x10
	s_load_dword s22, s[0:1], 0x50
	s_mov_b32 s12, 0
	s_waitcnt lgkmcnt(0)
	s_mul_hi_i32 s13, s11, s2
	s_cmp_lg_u64 s[12:13], 0
	s_mul_i32 s5, s11, s2
	s_cbranch_scc0 .LBB8_20
; %bb.1:
	s_add_u32 s6, s22, 0
	s_addc_u32 s7, 0, 0
	s_xor_b64 s[6:7], s[6:7], 0
	v_cvt_f32_u32_e32 v1, s6
	v_cvt_f32_u32_e32 v2, s7
	s_sub_u32 s12, 0, s6
	s_subb_u32 s18, 0, s7
	v_fmamk_f32 v1, v2, 0x4f800000, v1
	v_rcp_f32_e32 v1, v1
	s_nop 0
	v_mul_f32_e32 v1, 0x5f7ffffc, v1
	v_mul_f32_e32 v2, 0x2f800000, v1
	v_trunc_f32_e32 v2, v2
	v_fmamk_f32 v1, v2, 0xcf800000, v1
	v_cvt_u32_f32_e32 v2, v2
	v_cvt_u32_f32_e32 v1, v1
	v_readfirstlane_b32 s19, v2
	v_readfirstlane_b32 s14, v1
	s_mul_i32 s15, s12, s19
	s_mul_hi_u32 s21, s12, s14
	s_mul_i32 s20, s18, s14
	s_add_i32 s15, s21, s15
	s_add_i32 s15, s15, s20
	s_mul_i32 s23, s12, s14
	s_mul_i32 s21, s14, s15
	s_mul_hi_u32 s24, s14, s23
	s_mul_hi_u32 s20, s14, s15
	s_add_u32 s21, s24, s21
	s_addc_u32 s20, 0, s20
	s_mul_hi_u32 s25, s19, s23
	s_mul_i32 s23, s19, s23
	s_add_u32 s21, s21, s23
	s_mul_hi_u32 s24, s19, s15
	s_addc_u32 s20, s20, s25
	s_addc_u32 s21, s24, 0
	s_mul_i32 s15, s19, s15
	s_add_u32 s15, s20, s15
	s_addc_u32 s20, 0, s21
	s_add_u32 s21, s14, s15
	s_cselect_b64 s[14:15], -1, 0
	s_cmp_lg_u64 s[14:15], 0
	s_addc_u32 s19, s19, s20
	s_mul_i32 s14, s12, s19
	s_mul_hi_u32 s15, s12, s21
	s_add_i32 s14, s15, s14
	s_mul_i32 s18, s18, s21
	s_add_i32 s14, s14, s18
	s_mul_i32 s12, s12, s21
	s_mul_hi_u32 s18, s19, s12
	s_mul_i32 s20, s19, s12
	s_mul_i32 s24, s21, s14
	s_mul_hi_u32 s12, s21, s12
	s_mul_hi_u32 s23, s21, s14
	s_add_u32 s12, s12, s24
	s_addc_u32 s23, 0, s23
	s_add_u32 s12, s12, s20
	s_mul_hi_u32 s15, s19, s14
	s_addc_u32 s12, s23, s18
	s_addc_u32 s15, s15, 0
	s_mul_i32 s14, s19, s14
	s_add_u32 s12, s12, s14
	s_addc_u32 s18, 0, s15
	s_add_u32 s20, s21, s12
	s_cselect_b64 s[14:15], -1, 0
	s_cmp_lg_u64 s[14:15], 0
	s_addc_u32 s18, s19, s18
	s_ashr_i32 s14, s13, 31
	s_add_u32 s12, s5, s14
	s_mov_b32 s15, s14
	s_addc_u32 s13, s13, s14
	s_xor_b64 s[12:13], s[12:13], s[14:15]
	s_mul_i32 s21, s12, s18
	s_mul_hi_u32 s23, s12, s20
	s_mul_hi_u32 s19, s12, s18
	s_add_u32 s21, s23, s21
	s_addc_u32 s19, 0, s19
	s_mul_hi_u32 s24, s13, s20
	s_mul_i32 s20, s13, s20
	s_add_u32 s20, s21, s20
	s_mul_hi_u32 s23, s13, s18
	s_addc_u32 s19, s19, s24
	s_addc_u32 s20, s23, 0
	s_mul_i32 s18, s13, s18
	s_add_u32 s23, s19, s18
	s_addc_u32 s24, 0, s20
	s_mul_i32 s18, s6, s24
	s_mul_hi_u32 s19, s6, s23
	s_add_i32 s18, s19, s18
	s_mul_i32 s19, s7, s23
	s_add_i32 s25, s18, s19
	s_sub_i32 s20, s13, s25
	s_mul_i32 s18, s6, s23
	s_sub_u32 s12, s12, s18
	s_cselect_b64 s[18:19], -1, 0
	s_cmp_lg_u64 s[18:19], 0
	s_subb_u32 s26, s20, s7
	s_sub_u32 s27, s12, s6
	s_cselect_b64 s[20:21], -1, 0
	s_cmp_lg_u64 s[20:21], 0
	s_subb_u32 s20, s26, 0
	s_cmp_ge_u32 s20, s7
	s_cselect_b32 s21, -1, 0
	s_cmp_ge_u32 s27, s6
	s_cselect_b32 s26, -1, 0
	s_cmp_eq_u32 s20, s7
	s_cselect_b32 s20, s26, s21
	s_add_u32 s21, s23, 1
	s_addc_u32 s26, s24, 0
	s_add_u32 s27, s23, 2
	s_addc_u32 s28, s24, 0
	s_cmp_lg_u32 s20, 0
	s_cselect_b32 s20, s27, s21
	s_cselect_b32 s21, s28, s26
	s_cmp_lg_u64 s[18:19], 0
	s_subb_u32 s13, s13, s25
	s_cmp_ge_u32 s13, s7
	s_cselect_b32 s18, -1, 0
	s_cmp_ge_u32 s12, s6
	s_cselect_b32 s6, -1, 0
	s_cmp_eq_u32 s13, s7
	s_cselect_b32 s6, s6, s18
	s_cmp_lg_u32 s6, 0
	s_cselect_b32 s7, s21, s24
	s_cselect_b32 s6, s20, s23
	s_xor_b64 s[12:13], s[14:15], 0
	s_xor_b64 s[6:7], s[6:7], s[12:13]
	s_sub_u32 s6, s6, s12
	s_load_dwordx4 s[12:15], s[0:1], 0x44
	s_cbranch_execnz .LBB8_3
.LBB8_2:
	v_cvt_f32_u32_e32 v1, s22
	s_sub_i32 s6, 0, s22
	v_rcp_iflag_f32_e32 v1, v1
	s_nop 0
	v_mul_f32_e32 v1, 0x4f7ffffe, v1
	v_cvt_u32_f32_e32 v1, v1
	s_nop 0
	v_readfirstlane_b32 s7, v1
	s_mul_i32 s6, s6, s7
	s_mul_hi_u32 s6, s7, s6
	s_add_i32 s7, s7, s6
	s_mul_hi_u32 s6, s5, s7
	s_waitcnt lgkmcnt(0)
	s_mul_i32 s15, s6, s22
	s_sub_i32 s5, s5, s15
	s_add_i32 s7, s6, 1
	s_sub_i32 s15, s5, s22
	s_cmp_ge_u32 s5, s22
	s_cselect_b32 s6, s7, s6
	s_cselect_b32 s5, s15, s5
	s_add_i32 s7, s6, 1
	s_cmp_ge_u32 s5, s22
	s_cselect_b32 s6, s7, s6
.LBB8_3:
	s_add_i32 s5, s2, 1
	s_mul_hi_i32 s21, s11, s5
	s_mov_b32 s20, 0
	s_cmp_lg_u64 s[20:21], 0
	s_mul_i32 s5, s11, s5
	s_cbranch_scc0 .LBB8_21
; %bb.4:
	s_add_u32 s16, s22, 0
	s_addc_u32 s17, 0, 0
	s_xor_b64 s[18:19], s[16:17], 0
	v_cvt_f32_u32_e32 v1, s18
	v_cvt_f32_u32_e32 v2, s19
	s_sub_u32 s7, 0, s18
	s_waitcnt lgkmcnt(0)
	s_subb_u32 s15, 0, s19
	v_fmamk_f32 v1, v2, 0x4f800000, v1
	v_rcp_f32_e32 v1, v1
	s_nop 0
	v_mul_f32_e32 v1, 0x5f7ffffc, v1
	v_mul_f32_e32 v2, 0x2f800000, v1
	v_trunc_f32_e32 v2, v2
	v_fmamk_f32 v1, v2, 0xcf800000, v1
	v_cvt_u32_f32_e32 v2, v2
	v_cvt_u32_f32_e32 v1, v1
	v_readfirstlane_b32 s20, v2
	v_readfirstlane_b32 s23, v1
	s_mul_i32 s24, s7, s20
	s_mul_hi_u32 s26, s7, s23
	s_mul_i32 s25, s15, s23
	s_add_i32 s24, s26, s24
	s_add_i32 s24, s24, s25
	s_mul_i32 s27, s7, s23
	s_mul_i32 s26, s23, s24
	s_mul_hi_u32 s28, s23, s27
	s_mul_hi_u32 s25, s23, s24
	s_add_u32 s26, s28, s26
	s_addc_u32 s25, 0, s25
	s_mul_hi_u32 s29, s20, s27
	s_mul_i32 s27, s20, s27
	s_add_u32 s26, s26, s27
	s_mul_hi_u32 s28, s20, s24
	s_addc_u32 s25, s25, s29
	s_addc_u32 s26, s28, 0
	s_mul_i32 s24, s20, s24
	s_add_u32 s24, s25, s24
	s_addc_u32 s26, 0, s26
	s_add_u32 s23, s23, s24
	s_cselect_b64 s[24:25], -1, 0
	s_cmp_lg_u64 s[24:25], 0
	s_addc_u32 s20, s20, s26
	s_mul_i32 s24, s7, s20
	s_mul_hi_u32 s25, s7, s23
	s_add_i32 s24, s25, s24
	s_mul_i32 s15, s15, s23
	s_add_i32 s24, s24, s15
	s_mul_i32 s7, s7, s23
	s_mul_hi_u32 s25, s20, s7
	s_mul_i32 s26, s20, s7
	s_mul_i32 s28, s23, s24
	s_mul_hi_u32 s7, s23, s7
	s_mul_hi_u32 s27, s23, s24
	s_add_u32 s7, s7, s28
	s_addc_u32 s27, 0, s27
	s_add_u32 s7, s7, s26
	s_mul_hi_u32 s15, s20, s24
	s_addc_u32 s7, s27, s25
	s_addc_u32 s15, s15, 0
	s_mul_i32 s24, s20, s24
	s_add_u32 s7, s7, s24
	s_addc_u32 s15, 0, s15
	s_add_u32 s7, s23, s7
	s_cselect_b64 s[24:25], -1, 0
	s_cmp_lg_u64 s[24:25], 0
	s_addc_u32 s15, s20, s15
	s_ashr_i32 s24, s21, 31
	s_add_u32 s20, s5, s24
	s_mov_b32 s25, s24
	s_addc_u32 s21, s21, s24
	s_xor_b64 s[20:21], s[20:21], s[24:25]
	s_mul_i32 s26, s20, s15
	s_mul_hi_u32 s27, s20, s7
	s_mul_hi_u32 s23, s20, s15
	s_add_u32 s26, s27, s26
	s_addc_u32 s23, 0, s23
	s_mul_hi_u32 s28, s21, s7
	s_mul_i32 s7, s21, s7
	s_add_u32 s7, s26, s7
	s_mul_hi_u32 s27, s21, s15
	s_addc_u32 s7, s23, s28
	s_addc_u32 s23, s27, 0
	s_mul_i32 s15, s21, s15
	s_add_u32 s7, s7, s15
	s_addc_u32 s15, 0, s23
	s_mul_i32 s23, s18, s15
	s_mul_hi_u32 s26, s18, s7
	s_add_i32 s23, s26, s23
	s_mul_i32 s26, s19, s7
	s_add_i32 s23, s23, s26
	s_sub_i32 s28, s21, s23
	s_mul_i32 s26, s18, s7
	s_sub_u32 s20, s20, s26
	s_cselect_b64 s[26:27], -1, 0
	s_cmp_lg_u64 s[26:27], 0
	s_subb_u32 s30, s28, s19
	s_sub_u32 s31, s20, s18
	s_cselect_b64 s[28:29], -1, 0
	s_cmp_lg_u64 s[28:29], 0
	s_subb_u32 s28, s30, 0
	s_cmp_ge_u32 s28, s19
	s_cselect_b32 s29, -1, 0
	s_cmp_ge_u32 s31, s18
	s_cselect_b32 s30, -1, 0
	s_cmp_eq_u32 s28, s19
	s_cselect_b32 s28, s30, s29
	s_add_u32 s29, s7, 1
	s_addc_u32 s30, s15, 0
	s_add_u32 s31, s7, 2
	s_addc_u32 s33, s15, 0
	s_cmp_lg_u32 s28, 0
	s_cselect_b32 s28, s31, s29
	s_cselect_b32 s29, s33, s30
	s_cmp_lg_u64 s[26:27], 0
	s_subb_u32 s21, s21, s23
	s_cmp_ge_u32 s21, s19
	s_cselect_b32 s23, -1, 0
	s_cmp_ge_u32 s20, s18
	s_cselect_b32 s18, -1, 0
	s_cmp_eq_u32 s21, s19
	s_cselect_b32 s18, s18, s23
	s_cmp_lg_u32 s18, 0
	s_cselect_b32 s19, s29, s15
	s_cselect_b32 s18, s28, s7
	s_xor_b64 s[20:21], s[24:25], 0
	s_xor_b64 s[18:19], s[18:19], s[20:21]
	s_sub_u32 s18, s18, s20
	s_cbranch_execnz .LBB8_6
.LBB8_5:
	v_cvt_f32_u32_e32 v1, s22
	s_sub_i32 s7, 0, s22
	v_rcp_iflag_f32_e32 v1, v1
	s_nop 0
	v_mul_f32_e32 v1, 0x4f7ffffe, v1
	v_cvt_u32_f32_e32 v1, v1
	s_waitcnt lgkmcnt(0)
	v_readfirstlane_b32 s15, v1
	s_mul_i32 s7, s7, s15
	s_mul_hi_u32 s7, s15, s7
	s_add_i32 s15, s15, s7
	s_mul_hi_u32 s7, s5, s15
	s_mul_i32 s16, s7, s22
	s_sub_i32 s5, s5, s16
	s_add_i32 s15, s7, 1
	s_sub_i32 s16, s5, s22
	s_cmp_ge_u32 s5, s22
	s_cselect_b32 s7, s15, s7
	s_cselect_b32 s5, s16, s5
	s_add_i32 s15, s7, 1
	s_cmp_ge_u32 s5, s22
	s_cselect_b32 s18, s15, s7
.LBB8_6:
	s_cmp_eq_u32 s6, s18
	s_waitcnt lgkmcnt(0)
	s_mul_hi_u32 s5, s6, s12
	s_cselect_b64 s[16:17], -1, 0
	s_add_i32 s5, s5, s6
	s_lshr_b32 s7, s5, s13
	s_mul_i32 s5, s7, s14
	s_cmp_eq_u32 s5, s6
	s_mul_hi_u32 s5, s18, s12
	s_cselect_b64 s[20:21], -1, 0
	s_add_i32 s5, s5, s18
	s_lshr_b32 s5, s5, s13
	s_cmp_eq_u32 s7, s5
	s_mul_i32 s5, s5, s14
	s_cselect_b64 s[24:25], -1, 0
	s_cmp_lg_u32 s5, s18
	s_cselect_b64 s[18:19], -1, 0
	s_and_b64 s[18:19], s[24:25], s[18:19]
	s_or_b64 s[16:17], s[16:17], s[20:21]
	s_or_b64 s[16:17], s[16:17], s[18:19]
	s_and_b64 vcc, exec, s[16:17]
	s_cbranch_vccnz .LBB8_23
; %bb.7:
	s_load_dwordx8 s[24:31], s[0:1], 0x20
	s_load_dword s15, s[0:1], 0x40
	s_waitcnt lgkmcnt(0)
	s_mul_hi_u32 s5, s6, s24
	s_add_i32 s5, s5, s6
	s_lshr_b32 s5, s5, s25
	s_mul_i32 s16, s5, s26
	s_sub_i32 s16, s6, s16
	s_mul_hi_u32 s17, s16, s27
	s_add_i32 s17, s16, s17
	s_lshr_b32 s20, s17, s28
	s_mul_i32 s17, s20, s29
	s_sub_i32 s16, s16, s17
	;; [unrolled: 5-line block ×3, first 2 shown]
	s_mul_hi_u32 s16, s15, s12
	s_add_i32 s15, s15, s16
	s_lshr_b32 s23, s15, s13
	s_lshl_b32 s15, s23, 2
	s_lshl_b32 s21, s17, 3
	s_add_i32 s15, s15, s3
	s_cmp_lt_i32 s15, s8
	s_cselect_b64 s[16:17], -1, 0
	s_add_i32 s15, s21, s4
	s_cmp_lt_i32 s15, s10
	s_cselect_b64 s[18:19], -1, 0
	s_and_b64 s[16:17], s[16:17], s[18:19]
	s_andn2_b64 vcc, exec, s[16:17]
	s_cbranch_vccnz .LBB8_23
; %bb.8:
	s_load_dwordx4 s[16:19], s[0:1], 0x0
	s_mov_b32 s0, 0
	s_lshl_b32 s15, s3, 3
	s_lshl_b32 s24, s22, 7
	s_mov_b32 s25, s0
	s_add_i32 s15, s15, s4
	s_waitcnt lgkmcnt(0)
	v_mov_b32_e32 v2, s16
	v_mov_b32_e32 v3, s17
	s_lshl_b64 s[16:17], s[24:25], 2
	s_add_u32 s16, s18, s16
	s_mul_i32 s1, s5, s8
	s_addc_u32 s17, s19, s17
	s_add_i32 s1, s1, s3
	s_mul_i32 s1, s1, s9
	s_mul_i32 s20, s20, s10
	s_add_i32 s1, s1, s4
	s_add_i32 s1, s1, s20
	s_mul_i32 s5, s9, s23
	s_add_i32 s1, s1, s21
	s_lshl_b32 s5, s5, 8
	s_lshl_b32 s1, s1, 6
	s_add_i32 s5, s5, s1
	v_or_b32_e32 v4, s5, v0
	v_ashrrev_i32_e32 v5, 31, v4
	v_lshl_add_u64 v[2:3], v[4:5], 2, v[2:3]
	global_load_dword v1, v[2:3], off
	v_cvt_f32_u32_e32 v4, s22
	s_lshl_b32 s1, s2, 5
	s_add_i32 s4, s15, s1
	s_ashr_i32 s5, s4, 31
	s_lshl_b64 s[4:5], s[4:5], 3
	v_rcp_iflag_f32_e32 v4, v4
	s_add_u32 s4, s18, s4
	s_addc_u32 s5, s19, s5
	s_load_dwordx2 s[4:5], s[4:5], 0x0
	v_mul_f32_e32 v4, 0x4f7ffffe, v4
	v_cvt_u32_f32_e32 v7, v4
	s_add_i32 s24, s2, -1
	v_lshl_or_b32 v6, s15, 6, v0
	s_waitcnt lgkmcnt(0)
	v_mov_b32_e32 v0, s5
	v_mov_b32_e32 v9, s4
	s_mov_b32 s10, 0x3fb8aa3b
	s_mov_b32 s20, 0xc2ce8ed0
	;; [unrolled: 1-line block ×4, first 2 shown]
	v_mov_b32_e32 v8, 0x7f800000
	s_mul_hi_i32 s1, s24, s11
	s_cmp_lg_u64 s[0:1], 0
	s_mul_i32 s8, s24, s11
	s_cbranch_scc0 .LBB8_19
.LBB8_9:
	s_add_u32 s2, s22, 0
	s_addc_u32 s3, 0, 0
	s_xor_b64 s[2:3], s[2:3], 0
	v_cvt_f32_u32_e32 v4, s2
	v_cvt_f32_u32_e32 v5, s3
	s_sub_u32 s9, 0, s2
	s_subb_u32 s25, 0, s3
	v_fmac_f32_e32 v4, 0x4f800000, v5
	v_rcp_f32_e32 v4, v4
	s_nop 0
	v_mul_f32_e32 v4, 0x5f7ffffc, v4
	v_mul_f32_e32 v5, 0x2f800000, v4
	v_trunc_f32_e32 v5, v5
	v_fmac_f32_e32 v4, 0xcf800000, v5
	v_cvt_u32_f32_e32 v5, v5
	v_cvt_u32_f32_e32 v4, v4
	v_readfirstlane_b32 s26, v5
	v_readfirstlane_b32 s4, v4
	s_mul_i32 s5, s9, s26
	s_mul_hi_u32 s28, s9, s4
	s_mul_i32 s27, s25, s4
	s_add_i32 s5, s28, s5
	s_mul_i32 s29, s9, s4
	s_add_i32 s5, s5, s27
	s_mul_i32 s28, s4, s5
	s_mul_hi_u32 s30, s4, s29
	s_mul_hi_u32 s27, s4, s5
	s_add_u32 s28, s30, s28
	s_addc_u32 s27, 0, s27
	s_mul_hi_u32 s31, s26, s29
	s_mul_i32 s29, s26, s29
	s_add_u32 s28, s28, s29
	s_mul_hi_u32 s30, s26, s5
	s_addc_u32 s27, s27, s31
	s_addc_u32 s28, s30, 0
	s_mul_i32 s5, s26, s5
	s_add_u32 s5, s27, s5
	s_addc_u32 s27, 0, s28
	s_add_u32 s28, s4, s5
	s_cselect_b64 s[4:5], -1, 0
	s_cmp_lg_u64 s[4:5], 0
	s_addc_u32 s26, s26, s27
	s_mul_i32 s4, s9, s26
	s_mul_hi_u32 s5, s9, s28
	s_add_i32 s4, s5, s4
	s_mul_i32 s25, s25, s28
	s_add_i32 s4, s4, s25
	s_mul_i32 s9, s9, s28
	s_mul_hi_u32 s25, s26, s9
	s_mul_i32 s27, s26, s9
	s_mul_i32 s30, s28, s4
	s_mul_hi_u32 s9, s28, s9
	s_mul_hi_u32 s29, s28, s4
	s_add_u32 s9, s9, s30
	s_addc_u32 s29, 0, s29
	s_add_u32 s9, s9, s27
	s_mul_hi_u32 s5, s26, s4
	s_addc_u32 s9, s29, s25
	s_addc_u32 s5, s5, 0
	s_mul_i32 s4, s26, s4
	s_add_u32 s4, s9, s4
	s_addc_u32 s9, 0, s5
	s_add_u32 s25, s28, s4
	s_cselect_b64 s[4:5], -1, 0
	s_cmp_lg_u64 s[4:5], 0
	s_addc_u32 s9, s26, s9
	s_ashr_i32 s4, s1, 31
	s_add_u32 s26, s8, s4
	s_mov_b32 s5, s4
	s_addc_u32 s27, s1, s4
	s_xor_b64 s[26:27], s[26:27], s[4:5]
	s_mul_i32 s28, s26, s9
	s_mul_hi_u32 s29, s26, s25
	s_mul_hi_u32 s1, s26, s9
	s_add_u32 s28, s29, s28
	s_addc_u32 s1, 0, s1
	s_mul_hi_u32 s30, s27, s25
	s_mul_i32 s25, s27, s25
	s_add_u32 s25, s28, s25
	s_mul_hi_u32 s29, s27, s9
	s_addc_u32 s1, s1, s30
	s_addc_u32 s25, s29, 0
	s_mul_i32 s9, s27, s9
	s_add_u32 s1, s1, s9
	s_addc_u32 s9, 0, s25
	s_mul_i32 s25, s2, s9
	s_mul_hi_u32 s28, s2, s1
	s_add_i32 s25, s28, s25
	s_mul_i32 s28, s3, s1
	s_add_i32 s25, s25, s28
	s_sub_i32 s30, s27, s25
	s_mul_i32 s28, s2, s1
	s_sub_u32 s26, s26, s28
	s_cselect_b64 s[28:29], -1, 0
	s_cmp_lg_u64 s[28:29], 0
	s_subb_u32 s33, s30, s3
	s_sub_u32 s34, s26, s2
	s_cselect_b64 s[30:31], -1, 0
	s_cmp_lg_u64 s[30:31], 0
	s_subb_u32 s30, s33, 0
	s_cmp_ge_u32 s30, s3
	s_cselect_b32 s31, -1, 0
	s_cmp_ge_u32 s34, s2
	s_cselect_b32 s33, -1, 0
	s_cmp_eq_u32 s30, s3
	s_cselect_b32 s30, s33, s31
	s_add_u32 s31, s1, 1
	s_addc_u32 s33, s9, 0
	s_add_u32 s34, s1, 2
	s_addc_u32 s35, s9, 0
	s_cmp_lg_u32 s30, 0
	s_cselect_b32 s30, s34, s31
	s_cselect_b32 s31, s35, s33
	s_cmp_lg_u64 s[28:29], 0
	s_subb_u32 s25, s27, s25
	s_cmp_ge_u32 s25, s3
	s_cselect_b32 s27, -1, 0
	s_cmp_ge_u32 s26, s2
	s_cselect_b32 s2, -1, 0
	s_cmp_eq_u32 s25, s3
	s_cselect_b32 s2, s2, s27
	s_cmp_lg_u32 s2, 0
	s_cselect_b32 s3, s31, s9
	s_cselect_b32 s2, s30, s1
	s_xor_b64 s[4:5], s[4:5], 0
	s_xor_b64 s[2:3], s[2:3], s[4:5]
	s_sub_u32 s4, s2, s4
	s_cbranch_execnz .LBB8_11
.LBB8_10:
	s_sub_i32 s1, 0, s22
	v_readfirstlane_b32 s2, v7
	s_mul_i32 s1, s1, s2
	s_mul_hi_u32 s1, s2, s1
	s_add_i32 s2, s2, s1
	s_mul_hi_u32 s1, s8, s2
	s_mul_i32 s3, s1, s22
	s_sub_i32 s3, s8, s3
	s_add_i32 s2, s1, 1
	s_sub_i32 s4, s3, s22
	s_cmp_ge_u32 s3, s22
	s_cselect_b32 s1, s2, s1
	s_cselect_b32 s3, s4, s3
	s_add_i32 s2, s1, 1
	s_cmp_ge_u32 s3, s22
	s_cselect_b32 s4, s2, s1
.LBB8_11:
	s_cmp_lg_u32 s6, s4
	s_cbranch_scc0 .LBB8_15
; %bb.12:
	s_add_i32 s1, s24, s22
	s_lshl_b32 s1, s1, 5
	s_add_i32 s2, s1, s15
	s_mov_b32 s3, s0
	s_lshl_b64 s[2:3], s[2:3], 3
	s_add_u32 s8, s18, s2
	s_mul_hi_u32 s1, s4, s12
	s_addc_u32 s9, s19, s3
	s_add_i32 s1, s1, s4
	s_lshr_b32 s1, s1, s13
	s_mul_i32 s2, s1, s14
	s_cmp_eq_u32 s2, s4
	s_cselect_b64 s[2:3], -1, 0
	s_cmp_lt_u32 s1, s7
	s_cselect_b64 s[26:27], -1, 0
	s_or_b64 s[26:27], s[26:27], s[2:3]
	s_mov_b64 s[2:3], -1
	s_and_b64 vcc, exec, s[26:27]
	s_mov_b32 s1, s24
	s_mov_b32 s25, s6
	s_cbranch_vccnz .LBB8_14
; %bb.13:
	s_add_i32 s1, s24, -1
	s_mov_b64 s[2:3], 0
	s_mov_b32 s25, s4
.LBB8_14:
	v_lshl_add_u32 v4, s24, 11, v6
	v_ashrrev_i32_e32 v5, 31, v4
	v_lshl_add_u64 v[4:5], v[4:5], 2, s[16:17]
	global_load_dword v5, v[4:5], off
	s_load_dwordx2 s[4:5], s[8:9], 0x0
	v_max_f32_e32 v4, v9, v9
	s_waitcnt lgkmcnt(0)
	v_max_f32_e64 v10, s4, s4
	v_max_f32_e32 v10, v4, v10
	v_sub_f32_e32 v11, v9, v10
	v_sub_f32_e32 v13, s4, v10
	v_mul_f32_e32 v4, 0x3fb8aa3b, v11
	v_mul_f32_e32 v12, 0x3fb8aa3b, v13
	v_fma_f32 v14, v11, s10, -v4
	v_rndne_f32_e32 v15, v4
	v_fma_f32 v16, v13, s10, -v12
	v_rndne_f32_e32 v17, v12
	v_fmac_f32_e32 v14, 0x32a5705f, v11
	v_sub_f32_e32 v4, v4, v15
	v_fmac_f32_e32 v16, 0x32a5705f, v13
	v_sub_f32_e32 v12, v12, v17
	v_add_f32_e32 v4, v4, v14
	v_cvt_i32_f32_e32 v15, v15
	v_add_f32_e32 v12, v12, v16
	v_exp_f32_e32 v14, v4
	v_cvt_i32_f32_e32 v17, v17
	v_exp_f32_e32 v12, v12
	v_cmp_ngt_f32_e32 vcc, s20, v11
	v_ldexp_f32 v14, v14, v15
	v_mov_b32_e32 v4, s5
	v_ldexp_f32 v12, v12, v17
	v_cndmask_b32_e32 v14, 0, v14, vcc
	v_cmp_ngt_f32_e32 vcc, s20, v13
	s_nop 1
	v_cndmask_b32_e32 v12, 0, v12, vcc
	v_cmp_nlt_f32_e32 vcc, s21, v11
	s_nop 1
	v_cndmask_b32_e32 v14, v8, v14, vcc
	v_cmp_nlt_f32_e32 vcc, s21, v13
	s_nop 1
	v_cndmask_b32_e32 v15, v8, v12, vcc
	v_cmp_le_f32_e32 vcc, s23, v11
	s_nop 1
	v_cndmask_b32_e32 v12, 0, v14, vcc
	v_cmp_le_f32_e32 vcc, s23, v13
	s_nop 1
	v_cndmask_b32_e32 v14, 0, v15, vcc
	s_waitcnt vmcnt(0)
	v_pk_mul_f32 v[4:5], v[4:5], v[14:15] op_sel_hi:[1,0]
	s_nop 0
	v_pk_fma_f32 v[4:5], v[0:1], v[12:13], v[4:5] op_sel_hi:[1,0,1]
	s_cbranch_execz .LBB8_16
	s_branch .LBB8_17
.LBB8_15:
                                        ; implicit-def: $vgpr4_vgpr5
                                        ; implicit-def: $sgpr2_sgpr3
                                        ; implicit-def: $vgpr10
                                        ; implicit-def: $sgpr1
                                        ; implicit-def: $sgpr25
.LBB8_16:
	s_add_i32 s1, s24, -1
	s_mov_b64 s[2:3], 0
	s_mov_b32 s25, s6
	v_mov_b32_e32 v10, v9
	s_waitcnt vmcnt(0)
	v_mov_b64_e32 v[4:5], v[0:1]
.LBB8_17:
	s_andn2_b64 vcc, exec, s[2:3]
	s_cbranch_vccz .LBB8_22
; %bb.18:
	s_mov_b32 s6, s25
	s_mov_b32 s24, s1
	v_mov_b32_e32 v9, v10
	s_waitcnt vmcnt(0)
	v_mov_b64_e32 v[0:1], v[4:5]
	s_mul_hi_i32 s1, s24, s11
	s_cmp_lg_u64 s[0:1], 0
	s_mul_i32 s8, s24, s11
	s_cbranch_scc1 .LBB8_9
.LBB8_19:
                                        ; implicit-def: $sgpr4_sgpr5
	s_branch .LBB8_10
.LBB8_20:
                                        ; implicit-def: $sgpr6_sgpr7
	s_load_dwordx4 s[12:15], s[0:1], 0x44
	s_branch .LBB8_2
.LBB8_21:
                                        ; implicit-def: $sgpr18_sgpr19
	s_branch .LBB8_5
.LBB8_22:
	v_div_scale_f32 v0, s[0:1], v4, v4, v5
	s_waitcnt vmcnt(0)
	v_rcp_f32_e32 v1, v0
	v_div_scale_f32 v6, vcc, v5, v4, v5
	v_fma_f32 v7, -v0, v1, 1.0
	v_fmac_f32_e32 v1, v7, v1
	v_mul_f32_e32 v7, v6, v1
	v_fma_f32 v8, -v0, v7, v6
	v_fmac_f32_e32 v7, v8, v1
	v_fma_f32 v0, -v0, v7, v6
	v_div_fmas_f32 v0, v0, v1, v7
	v_div_fixup_f32 v0, v0, v4, v5
	global_store_dword v[2:3], v0, off
.LBB8_23:
	s_endpgm
	.section	.rodata,"a",@progbits
	.p2align	6, 0x0
	.amdhsa_kernel _ZL33flash_attn_stream_k_fixup_generalILi64ELi4ELi8EEvPfPK15HIP_vector_typeIfLj2EEiiiiS1_IjLj3EES5_S5_S5_
		.amdhsa_group_segment_fixed_size 0
		.amdhsa_private_segment_fixed_size 0
		.amdhsa_kernarg_size 336
		.amdhsa_user_sgpr_count 2
		.amdhsa_user_sgpr_dispatch_ptr 0
		.amdhsa_user_sgpr_queue_ptr 0
		.amdhsa_user_sgpr_kernarg_segment_ptr 1
		.amdhsa_user_sgpr_dispatch_id 0
		.amdhsa_user_sgpr_kernarg_preload_length 0
		.amdhsa_user_sgpr_kernarg_preload_offset 0
		.amdhsa_user_sgpr_private_segment_size 0
		.amdhsa_uses_dynamic_stack 0
		.amdhsa_enable_private_segment 0
		.amdhsa_system_sgpr_workgroup_id_x 1
		.amdhsa_system_sgpr_workgroup_id_y 1
		.amdhsa_system_sgpr_workgroup_id_z 1
		.amdhsa_system_sgpr_workgroup_info 0
		.amdhsa_system_vgpr_workitem_id 0
		.amdhsa_next_free_vgpr 18
		.amdhsa_next_free_sgpr 36
		.amdhsa_accum_offset 20
		.amdhsa_reserve_vcc 1
		.amdhsa_float_round_mode_32 0
		.amdhsa_float_round_mode_16_64 0
		.amdhsa_float_denorm_mode_32 3
		.amdhsa_float_denorm_mode_16_64 3
		.amdhsa_dx10_clamp 1
		.amdhsa_ieee_mode 1
		.amdhsa_fp16_overflow 0
		.amdhsa_tg_split 0
		.amdhsa_exception_fp_ieee_invalid_op 0
		.amdhsa_exception_fp_denorm_src 0
		.amdhsa_exception_fp_ieee_div_zero 0
		.amdhsa_exception_fp_ieee_overflow 0
		.amdhsa_exception_fp_ieee_underflow 0
		.amdhsa_exception_fp_ieee_inexact 0
		.amdhsa_exception_int_div_zero 0
	.end_amdhsa_kernel
	.section	.text._ZL33flash_attn_stream_k_fixup_generalILi64ELi4ELi8EEvPfPK15HIP_vector_typeIfLj2EEiiiiS1_IjLj3EES5_S5_S5_,"axG",@progbits,_ZL33flash_attn_stream_k_fixup_generalILi64ELi4ELi8EEvPfPK15HIP_vector_typeIfLj2EEiiiiS1_IjLj3EES5_S5_S5_,comdat
.Lfunc_end8:
	.size	_ZL33flash_attn_stream_k_fixup_generalILi64ELi4ELi8EEvPfPK15HIP_vector_typeIfLj2EEiiiiS1_IjLj3EES5_S5_S5_, .Lfunc_end8-_ZL33flash_attn_stream_k_fixup_generalILi64ELi4ELi8EEvPfPK15HIP_vector_typeIfLj2EEiiiiS1_IjLj3EES5_S5_S5_
                                        ; -- End function
	.set _ZL33flash_attn_stream_k_fixup_generalILi64ELi4ELi8EEvPfPK15HIP_vector_typeIfLj2EEiiiiS1_IjLj3EES5_S5_S5_.num_vgpr, 18
	.set _ZL33flash_attn_stream_k_fixup_generalILi64ELi4ELi8EEvPfPK15HIP_vector_typeIfLj2EEiiiiS1_IjLj3EES5_S5_S5_.num_agpr, 0
	.set _ZL33flash_attn_stream_k_fixup_generalILi64ELi4ELi8EEvPfPK15HIP_vector_typeIfLj2EEiiiiS1_IjLj3EES5_S5_S5_.numbered_sgpr, 36
	.set _ZL33flash_attn_stream_k_fixup_generalILi64ELi4ELi8EEvPfPK15HIP_vector_typeIfLj2EEiiiiS1_IjLj3EES5_S5_S5_.num_named_barrier, 0
	.set _ZL33flash_attn_stream_k_fixup_generalILi64ELi4ELi8EEvPfPK15HIP_vector_typeIfLj2EEiiiiS1_IjLj3EES5_S5_S5_.private_seg_size, 0
	.set _ZL33flash_attn_stream_k_fixup_generalILi64ELi4ELi8EEvPfPK15HIP_vector_typeIfLj2EEiiiiS1_IjLj3EES5_S5_S5_.uses_vcc, 1
	.set _ZL33flash_attn_stream_k_fixup_generalILi64ELi4ELi8EEvPfPK15HIP_vector_typeIfLj2EEiiiiS1_IjLj3EES5_S5_S5_.uses_flat_scratch, 0
	.set _ZL33flash_attn_stream_k_fixup_generalILi64ELi4ELi8EEvPfPK15HIP_vector_typeIfLj2EEiiiiS1_IjLj3EES5_S5_S5_.has_dyn_sized_stack, 0
	.set _ZL33flash_attn_stream_k_fixup_generalILi64ELi4ELi8EEvPfPK15HIP_vector_typeIfLj2EEiiiiS1_IjLj3EES5_S5_S5_.has_recursion, 0
	.set _ZL33flash_attn_stream_k_fixup_generalILi64ELi4ELi8EEvPfPK15HIP_vector_typeIfLj2EEiiiiS1_IjLj3EES5_S5_S5_.has_indirect_call, 0
	.section	.AMDGPU.csdata,"",@progbits
; Kernel info:
; codeLenInByte = 2940
; TotalNumSgprs: 42
; NumVgprs: 18
; NumAgprs: 0
; TotalNumVgprs: 18
; ScratchSize: 0
; MemoryBound: 0
; FloatMode: 240
; IeeeMode: 1
; LDSByteSize: 0 bytes/workgroup (compile time only)
; SGPRBlocks: 5
; VGPRBlocks: 2
; NumSGPRsForWavesPerEU: 42
; NumVGPRsForWavesPerEU: 18
; AccumOffset: 20
; Occupancy: 8
; WaveLimiterHint : 0
; COMPUTE_PGM_RSRC2:SCRATCH_EN: 0
; COMPUTE_PGM_RSRC2:USER_SGPR: 2
; COMPUTE_PGM_RSRC2:TRAP_HANDLER: 0
; COMPUTE_PGM_RSRC2:TGID_X_EN: 1
; COMPUTE_PGM_RSRC2:TGID_Y_EN: 1
; COMPUTE_PGM_RSRC2:TGID_Z_EN: 1
; COMPUTE_PGM_RSRC2:TIDIG_COMP_CNT: 0
; COMPUTE_PGM_RSRC3_GFX90A:ACCUM_OFFSET: 4
; COMPUTE_PGM_RSRC3_GFX90A:TG_SPLIT: 0
	.section	.text._ZL15flash_attn_tileILi64ELi64ELi2ELi8ELb0EEvPKcS1_S1_S1_S1_PKiPfP15HIP_vector_typeIfLj2EEffffjfiS5_IjLj3EEiiiiiiiiiiiliiliiiiil,"axG",@progbits,_ZL15flash_attn_tileILi64ELi64ELi2ELi8ELb0EEvPKcS1_S1_S1_S1_PKiPfP15HIP_vector_typeIfLj2EEffffjfiS5_IjLj3EEiiiiiiiiiiiliiliiiiil,comdat
	.globl	_ZL15flash_attn_tileILi64ELi64ELi2ELi8ELb0EEvPKcS1_S1_S1_S1_PKiPfP15HIP_vector_typeIfLj2EEffffjfiS5_IjLj3EEiiiiiiiiiiiliiliiiiil ; -- Begin function _ZL15flash_attn_tileILi64ELi64ELi2ELi8ELb0EEvPKcS1_S1_S1_S1_PKiPfP15HIP_vector_typeIfLj2EEffffjfiS5_IjLj3EEiiiiiiiiiiiliiliiiiil
	.p2align	8
	.type	_ZL15flash_attn_tileILi64ELi64ELi2ELi8ELb0EEvPKcS1_S1_S1_S1_PKiPfP15HIP_vector_typeIfLj2EEffffjfiS5_IjLj3EEiiiiiiiiiiiliiliiiiil,@function
_ZL15flash_attn_tileILi64ELi64ELi2ELi8ELb0EEvPKcS1_S1_S1_S1_PKiPfP15HIP_vector_typeIfLj2EEffffjfiS5_IjLj3EEiiiiiiiiiiiliiliiiiil: ; @_ZL15flash_attn_tileILi64ELi64ELi2ELi8ELb0EEvPKcS1_S1_S1_S1_PKiPfP15HIP_vector_typeIfLj2EEffffjfiS5_IjLj3EEiiiiiiiiiiiliiliiiiil
; %bb.0:
	s_load_dwordx4 s[20:23], s[0:1], 0x5c
	s_load_dwordx2 s[24:25], s[0:1], 0x80
	s_load_dwordx2 s[28:29], s[0:1], 0xb8
	s_mov_b64 s[26:27], 0
	s_waitcnt lgkmcnt(0)
	s_ashr_i32 s5, s23, 31
	s_lshr_b32 s5, s5, 29
	s_add_i32 s5, s23, s5
	s_ashr_i32 s5, s5, 3
	v_cvt_f32_u32_e32 v1, s5
	s_sub_i32 s6, 0, s5
	v_rcp_iflag_f32_e32 v1, v1
	s_nop 0
	v_mul_f32_e32 v1, 0x4f7ffffe, v1
	v_cvt_u32_f32_e32 v1, v1
	s_nop 0
	v_readfirstlane_b32 s7, v1
	s_mul_i32 s6, s6, s7
	s_mul_hi_u32 s6, s7, s6
	s_add_i32 s7, s7, s6
	s_mul_hi_u32 s6, s4, s7
	s_mul_i32 s7, s6, s5
	s_sub_i32 s7, s4, s7
	s_add_i32 s8, s6, 1
	s_sub_i32 s9, s7, s5
	s_cmp_ge_u32 s7, s5
	s_cselect_b32 s6, s8, s6
	s_cselect_b32 s7, s9, s7
	s_add_i32 s8, s6, 1
	s_cmp_ge_u32 s7, s5
	s_cselect_b32 s30, s8, s6
	s_abs_i32 s5, s25
	v_cvt_f32_u32_e32 v1, s5
	s_lshl_b32 s4, s4, 3
	s_mul_i32 s8, s30, s23
	s_xor_b32 s6, s23, s25
	v_rcp_iflag_f32_e32 v1, v1
	s_sub_i32 s9, 0, s5
	s_sub_i32 s25, s4, s8
	s_abs_i32 s7, s23
	v_mul_f32_e32 v1, 0x4f7ffffe, v1
	v_cvt_u32_f32_e32 v1, v1
	s_ashr_i32 s6, s6, 31
	v_readfirstlane_b32 s4, v1
	s_mul_i32 s9, s9, s4
	s_mul_hi_u32 s8, s4, s9
	s_add_i32 s4, s4, s8
	s_mul_hi_u32 s4, s7, s4
	s_mul_i32 s8, s4, s5
	s_sub_i32 s7, s7, s8
	s_add_i32 s9, s4, 1
	s_sub_i32 s8, s7, s5
	s_cmp_ge_u32 s7, s5
	s_cselect_b32 s4, s9, s4
	s_cselect_b32 s7, s8, s7
	s_add_i32 s8, s4, 1
	s_cmp_ge_u32 s7, s5
	s_cselect_b32 s4, s8, s4
	s_xor_b32 s4, s4, s6
	s_sub_i32 s33, s4, s6
	s_abs_i32 s31, s33
	v_cvt_f32_u32_e32 v1, s31
	s_load_dwordx16 s[4:19], s[0:1], 0x0
	v_rcp_iflag_f32_e32 v1, v1
	s_waitcnt lgkmcnt(0)
	s_cmp_eq_u64 s[10:11], 0
	v_mul_f32_e32 v1, 0x4f7ffffe, v1
	v_cvt_u32_f32_e32 v1, v1
	s_nop 0
	v_readfirstlane_b32 s34, v1
	s_cbranch_scc1 .LBB9_2
; %bb.1:
	s_abs_i32 s28, s28
	v_cvt_f32_u32_e32 v1, s28
	s_sub_i32 s37, 0, s28
	s_abs_i32 s36, s30
	s_ashr_i32 s35, s30, 31
	v_rcp_iflag_f32_e32 v1, v1
	s_load_dwordx2 s[26:27], s[0:1], 0xc8
	v_mul_f32_e32 v1, 0x4f7ffffe, v1
	v_cvt_u32_f32_e32 v1, v1
	s_nop 0
	v_readfirstlane_b32 s38, v1
	s_mul_i32 s37, s37, s38
	s_mul_hi_u32 s37, s38, s37
	s_add_i32 s38, s38, s37
	s_mul_hi_u32 s37, s36, s38
	s_mul_i32 s37, s37, s28
	s_sub_i32 s36, s36, s37
	s_sub_i32 s37, s36, s28
	s_cmp_ge_u32 s36, s28
	s_cselect_b32 s36, s37, s36
	s_sub_i32 s37, s36, s28
	s_cmp_ge_u32 s36, s28
	s_cselect_b32 s28, s37, s36
	s_xor_b32 s28, s28, s35
	s_sub_i32 s28, s28, s35
	s_ashr_i32 s35, s28, 31
	s_waitcnt lgkmcnt(0)
	s_mul_hi_u32 s36, s26, s28
	s_mul_i32 s35, s26, s35
	s_mul_i32 s27, s27, s28
	s_add_i32 s35, s36, s35
	s_add_i32 s35, s35, s27
	s_mul_i32 s26, s26, s28
	s_add_u32 s26, s10, s26
	s_addc_u32 s27, s11, s35
.LBB9_2:
	s_load_dwordx4 s[36:39], s[0:1], 0x70
	v_lshrrev_b32_e32 v2, 10, v0
	v_bfe_u32 v2, v2, 2, 8
	v_lshl_add_u32 v17, s2, 1, v2
	v_mul_hi_u32 v2, s20, v17
	s_waitcnt lgkmcnt(0)
	s_mul_i32 s10, s30, s38
	s_ashr_i32 s28, s10, 31
	s_mul_i32 s11, s25, s37
	s_add_u32 s4, s4, s10
	s_addc_u32 s5, s5, s28
	s_ashr_i32 s10, s11, 31
	v_add_u32_e32 v2, v17, v2
	s_add_u32 s4, s4, s11
	v_lshrrev_b32_e32 v2, s21, v2
	s_addc_u32 s5, s5, s10
	s_ashr_i32 s11, s37, 31
	s_mov_b32 s10, s37
	v_mul_lo_u32 v2, v2, s22
	s_ashr_i32 s37, s36, 31
	v_sub_u32_e32 v2, v17, v2
	s_lshr_b64 s[20:21], s[36:37], 2
	v_mad_u64_u32 v[4:5], s[20:21], s20, v2, 0
	s_lshr_b64 s[38:39], s[10:11], 2
	v_mov_b32_e32 v6, v5
	s_lshr_b32 s10, s37, 2
	v_bfe_u32 v1, v0, 10, 10
	v_mad_u64_u32 v[6:7], s[20:21], s10, v2, v[6:7]
	v_lshlrev_b32_e32 v3, 1, v1
	v_mov_b32_e32 v5, v6
	v_and_b32_e32 v16, 0x3ff, v0
	v_lshl_add_u64 v[4:5], v[4:5], 2, s[4:5]
	v_lshlrev_b32_e32 v6, 3, v16
	v_mov_b32_e32 v7, 0
	v_and_b32_e32 v40, 6, v3
	v_lshl_add_u64 v[4:5], v[4:5], 0, v[6:7]
	v_mad_u64_u32 v[6:7], s[4:5], s38, v40, 0
	v_mov_b32_e32 v0, v7
	s_lshr_b32 s10, s11, 2
	v_mad_u64_u32 v[8:9], s[4:5], s10, v40, v[0:1]
	v_bitop3_b32 v10, v3, 7, 1 bitop3:0xc8
	v_mov_b32_e32 v7, v8
	v_mad_u64_u32 v[8:9], s[4:5], s38, v10, 0
	v_mov_b32_e32 v0, v9
	v_mad_u64_u32 v[10:11], s[4:5], s10, v10, v[0:1]
	v_lshl_add_u64 v[6:7], v[6:7], 2, v[4:5]
	v_mov_b32_e32 v9, v10
	global_load_dwordx2 v[6:7], v[6:7], off
	v_lshl_add_u64 v[4:5], v[8:9], 2, v[4:5]
	global_load_dwordx2 v[4:5], v[4:5], off
	s_load_dword s4, s[0:1], 0x40
	v_mov_b32_e32 v0, 0x5800
	v_lshl_add_u32 v8, v16, 2, v0
	v_lshlrev_b32_e32 v0, 8, v1
	v_add_u32_e32 v9, v8, v0
	v_or_b32_e32 v3, 1, v3
	s_cmp_eq_u64 s[14:15], 0
	v_lshl_add_u32 v3, v3, 7, v8
	s_waitcnt vmcnt(1) lgkmcnt(0)
	v_fma_mixlo_f16 v7, s4, v7, 0
	v_fma_mixlo_f16 v6, s4, v6, 0
	s_waitcnt vmcnt(0)
	v_fma_mixlo_f16 v5, s4, v5, 0
	v_lshlrev_b32_e32 v7, 16, v7
	v_fma_mixlo_f16 v4, s4, v4, 0
	v_lshlrev_b32_e32 v5, 16, v5
	v_or_b32_sdwa v6, v7, v6 dst_sel:DWORD dst_unused:UNUSED_PAD src0_sel:DWORD src1_sel:WORD_0
	v_or_b32_sdwa v4, v5, v4 dst_sel:DWORD dst_unused:UNUSED_PAD src0_sel:DWORD src1_sel:WORD_0
	ds_write_b32 v9, v6
	ds_write_b32 v3, v4
	s_waitcnt lgkmcnt(0)
	s_barrier
	s_cbranch_scc1 .LBB9_4
; %bb.3:
	s_load_dword s4, s[0:1], 0xd0
	s_mov_b32 s5, 0
	s_waitcnt lgkmcnt(0)
	s_mul_i32 s4, s4, s30
	s_add_i32 s4, s4, s2
	s_lshl_b64 s[4:5], s[4:5], 2
	s_add_u32 s4, s14, s4
	s_addc_u32 s5, s15, s5
	s_load_dword s24, s[4:5], 0x0
.LBB9_4:
	s_lshl_b32 s2, s3, 7
	s_waitcnt lgkmcnt(0)
	s_cmp_lt_i32 s2, s24
	v_mbcnt_lo_u32_b32 v3, -1, 0
	s_cbranch_scc1 .LBB9_7
; %bb.5:
	v_mbcnt_hi_u32_b32 v31, -1, v3
	v_and_b32_e32 v4, 0x60, v31
	v_add_u32_e32 v41, 32, v4
	v_xor_b32_e32 v46, 16, v31
	v_xor_b32_e32 v45, 8, v31
	;; [unrolled: 1-line block ×5, first 2 shown]
	s_cbranch_execz .LBB9_8
; %bb.6:
	v_mov_b32_e32 v27, 0
	v_mov_b32_e32 v1, 0xfeffffff
	;; [unrolled: 1-line block ×6, first 2 shown]
	s_branch .LBB9_10
.LBB9_7:
                                        ; implicit-def: $vgpr31
                                        ; implicit-def: $vgpr41
                                        ; implicit-def: $vgpr46
                                        ; implicit-def: $vgpr45
                                        ; implicit-def: $vgpr44
                                        ; implicit-def: $vgpr43
                                        ; implicit-def: $vgpr42
.LBB9_8:
	s_sub_i32 s4, 0, s31
	s_mul_i32 s4, s4, s34
	s_mul_hi_u32 s4, s34, s4
	s_add_i32 s34, s34, s4
	s_load_dwordx2 s[4:5], s[0:1], 0x8c
	s_load_dwordx4 s[36:39], s[0:1], 0x98
	s_abs_i32 s14, s25
	s_mul_hi_u32 s15, s14, s34
	s_ashr_i32 s28, s25, 31
	s_waitcnt lgkmcnt(0)
	s_ashr_i32 s11, s4, 2
	s_ashr_i32 s4, s30, 31
	s_mul_hi_u32 s34, s36, s30
	s_mul_i32 s35, s36, s4
	s_add_i32 s34, s34, s35
	s_mul_i32 s35, s37, s30
	s_ashr_i32 s33, s33, 31
	s_ashr_i32 s10, s38, 2
	;; [unrolled: 1-line block ×3, first 2 shown]
	s_add_i32 s34, s34, s35
	s_mul_i32 s35, s36, s30
	s_add_u32 s6, s6, s35
	s_addc_u32 s7, s7, s34
	s_xor_b32 s28, s28, s33
	s_mul_i32 s33, s15, s31
	s_sub_i32 s14, s14, s33
	s_add_i32 s33, s15, 1
	s_sub_i32 s34, s14, s31
	s_cmp_ge_u32 s14, s31
	s_cselect_b32 s15, s33, s15
	s_cselect_b32 s14, s34, s14
	s_add_i32 s33, s15, 1
	s_cmp_ge_u32 s14, s31
	s_load_dwordx2 s[20:21], s[0:1], 0xa8
	s_cselect_b32 s14, s33, s15
	s_xor_b32 s14, s14, s28
	s_sub_i32 s28, s14, s28
	s_mul_i32 s5, s28, s5
	s_ashr_i32 s15, s5, 31
	s_add_u32 s14, s6, s5
	s_waitcnt lgkmcnt(0)
	s_mul_hi_u32 s5, s20, s30
	s_mul_i32 s4, s20, s4
	s_addc_u32 s15, s7, s15
	s_add_i32 s4, s5, s4
	s_mul_i32 s5, s21, s30
	s_add_i32 s4, s4, s5
	s_mul_i32 s5, s20, s30
	s_add_u32 s5, s8, s5
	s_mul_i32 s28, s28, s39
	s_addc_u32 s4, s9, s4
	s_ashr_i32 s6, s28, 31
	v_lshrrev_b32_e32 v4, 3, v16
	v_lshlrev_b32_e32 v47, 2, v16
	s_add_u32 s8, s5, s28
	v_lshl_add_u32 v5, v1, 2, v4
	v_and_b32_e32 v4, 28, v47
	s_addc_u32 s9, s4, s6
	v_lshlrev_b32_e32 v6, 2, v4
	s_movk_i32 s4, 0x90
	v_mad_u32_u24 v48, v5, s4, v6
	v_mul_lo_u32 v20, s11, v5
	s_lshl_b32 s4, s11, 5
	v_add_u32_e32 v22, s4, v20
	v_add_u32_e32 v24, s4, v22
	;; [unrolled: 1-line block ×3, first 2 shown]
	v_mad_u64_u32 v[30:31], s[4:5], v2, s29, v[16:17]
	v_mul_lo_u32 v32, s10, v5
	s_lshl_b32 s4, s10, 5
	v_add_u32_e32 v34, s4, v32
	v_add_u32_e32 v52, 0x5800, v0
	v_mov_b32_e32 v0, 0x4800
	v_add_u32_e32 v36, s4, v34
	v_mbcnt_hi_u32_b32 v31, -1, v3
	v_mov_b32_e32 v19, 0
	v_lshl_add_u32 v54, v1, 9, v0
	v_lshl_or_b32 v55, v5, 7, v6
	v_add_u32_e32 v38, s4, v36
	s_add_u32 s4, s0, 0xd0
	v_mov_b32_e32 v0, 0xfeffffff
	v_and_b32_e32 v1, 0x60, v31
	v_ashrrev_i32_e32 v21, 31, v20
	v_add_u32_e32 v49, 0x1200, v48
	v_ashrrev_i32_e32 v23, 31, v22
	v_add_u32_e32 v50, 0x2400, v48
	;; [unrolled: 2-line block ×3, first 2 shown]
	v_ashrrev_i32_e32 v29, 31, v28
	v_mul_u32_u24_e32 v53, 0x90, v16
	v_ashrrev_i32_e32 v33, 31, v32
	v_add_u32_e32 v56, 0x1000, v55
	v_ashrrev_i32_e32 v35, 31, v34
	v_add_u32_e32 v57, 0x2000, v55
	v_ashrrev_i32_e32 v37, 31, v36
	v_add_u32_e32 v58, 0x3000, v55
	v_ashrrev_i32_e32 v39, 31, v38
	s_addc_u32 s5, s1, 0
	v_lshlrev_b32_e32 v18, 2, v4
	v_add_u32_e32 v41, 32, v1
	v_xor_b32_e32 v46, 16, v31
	v_xor_b32_e32 v45, 8, v31
	;; [unrolled: 1-line block ×5, first 2 shown]
	s_mov_b32 s20, 0x3fb8aa3b
	s_mov_b32 s21, 0xc2ce8ed0
	;; [unrolled: 1-line block ×3, first 2 shown]
	v_mov_b32_e32 v59, 0x7f800000
	s_mov_b32 s29, 0x10001
	v_add_u32_e32 v60, v54, v47
	v_add_u32_e32 v61, 0x400, v47
	;; [unrolled: 1-line block ×16, first 2 shown]
	v_mov_b32_e32 v76, v19
	v_mov_b32_e32 v77, v19
	;; [unrolled: 1-line block ×5, first 2 shown]
.LBB9_9:                                ; =>This Inner Loop Header: Depth=1
	s_mul_hi_i32 s7, s2, s11
	s_mul_i32 s6, s2, s11
	s_lshl_b64 s[6:7], s[6:7], 2
	s_add_u32 s6, s14, s6
	s_addc_u32 s7, s15, s7
	v_mov_b32_e32 v78, v1
	v_mov_b32_e32 v79, v0
	v_lshl_add_u64 v[0:1], v[20:21], 2, s[6:7]
	v_lshl_add_u64 v[0:1], v[0:1], 0, v[18:19]
	global_load_dwordx4 v[0:3], v[0:1], off
	v_mov_b32_e32 v80, 0
	v_mov_b32_e32 v81, 0
	v_cmp_lt_i32_e32 vcc, v46, v41
	s_waitcnt vmcnt(0)
	ds_write_b128 v48, v[0:3]
	v_lshl_add_u64 v[0:1], v[22:23], 2, s[6:7]
	v_lshl_add_u64 v[0:1], v[0:1], 0, v[18:19]
	global_load_dwordx4 v[0:3], v[0:1], off
	s_waitcnt vmcnt(0)
	ds_write_b128 v49, v[0:3]
	v_lshl_add_u64 v[0:1], v[24:25], 2, s[6:7]
	v_lshl_add_u64 v[0:1], v[0:1], 0, v[18:19]
	global_load_dwordx4 v[0:3], v[0:1], off
	;; [unrolled: 5-line block ×3, first 2 shown]
	s_mul_hi_i32 s7, s2, s10
	s_mul_i32 s6, s2, s10
	s_lshl_b64 s[6:7], s[6:7], 2
	s_add_u32 s6, s8, s6
	s_addc_u32 s7, s9, s7
	s_waitcnt vmcnt(0)
	ds_write_b128 v51, v[0:3]
	s_waitcnt lgkmcnt(0)
	s_barrier
	ds_read_b128 v[82:85], v53
	ds_read_b128 v[86:89], v53 offset:4608
	ds_read_b128 v[12:15], v53 offset:9216
	;; [unrolled: 1-line block ×3, first 2 shown]
	ds_read_b128 v[8:11], v52
	ds_read_b128 v[4:7], v52 offset:128
	s_waitcnt lgkmcnt(1)
	;;#ASMSTART
	v_dot2_f32_f16 v80, v82, v8, v80
	;;#ASMEND
	s_nop 0
	;;#ASMSTART
	v_dot2_f32_f16 v80, v83, v9, v80
	;;#ASMEND
	s_nop 0
	;; [unrolled: 4-line block ×3, first 2 shown]
	;;#ASMSTART
	v_dot2_f32_f16 v80, v85, v11, v80
	;;#ASMEND
	s_waitcnt lgkmcnt(0)
	;;#ASMSTART
	v_dot2_f32_f16 v81, v82, v4, v81
	;;#ASMEND
	v_mov_b32_e32 v82, 0
	;;#ASMSTART
	v_dot2_f32_f16 v81, v83, v5, v81
	;;#ASMEND
	v_mov_b32_e32 v83, 0
	;; [unrolled: 4-line block ×3, first 2 shown]
	;;#ASMSTART
	v_dot2_f32_f16 v81, v85, v7, v81
	;;#ASMEND
	;;#ASMSTART
	v_dot2_f32_f16 v83, v86, v8, v83
	;;#ASMEND
	v_mov_b32_e32 v85, 0
	;;#ASMSTART
	v_dot2_f32_f16 v83, v87, v9, v83
	;;#ASMEND
	s_nop 0
	;;#ASMSTART
	v_dot2_f32_f16 v83, v88, v10, v83
	;;#ASMEND
	s_nop 0
	;;#ASMSTART
	v_dot2_f32_f16 v83, v89, v11, v83
	;;#ASMEND
	;;#ASMSTART
	v_dot2_f32_f16 v82, v86, v4, v82
	;;#ASMEND
	s_nop 0
	;;#ASMSTART
	v_dot2_f32_f16 v82, v87, v5, v82
	;;#ASMEND
	s_nop 0
	;; [unrolled: 4-line block ×3, first 2 shown]
	;;#ASMSTART
	v_dot2_f32_f16 v82, v89, v7, v82
	;;#ASMEND
	;;#ASMSTART
	v_dot2_f32_f16 v85, v12, v8, v85
	;;#ASMEND
	s_nop 0
	;;#ASMSTART
	v_dot2_f32_f16 v85, v13, v9, v85
	;;#ASMEND
	s_nop 0
	;; [unrolled: 4-line block ×3, first 2 shown]
	;;#ASMSTART
	v_dot2_f32_f16 v85, v15, v11, v85
	;;#ASMEND
	;;#ASMSTART
	v_dot2_f32_f16 v84, v12, v4, v84
	;;#ASMEND
	v_mov_b32_e32 v12, 0
	;;#ASMSTART
	v_dot2_f32_f16 v84, v13, v5, v84
	;;#ASMEND
	s_nop 0
	;;#ASMSTART
	v_dot2_f32_f16 v84, v14, v6, v84
	;;#ASMEND
	s_nop 0
	;;#ASMSTART
	v_dot2_f32_f16 v84, v15, v7, v84
	;;#ASMEND
	;;#ASMSTART
	v_dot2_f32_f16 v12, v0, v8, v12
	;;#ASMEND
	v_mov_b32_e32 v8, 0
	;;#ASMSTART
	v_dot2_f32_f16 v12, v1, v9, v12
	;;#ASMEND
	s_nop 0
	;;#ASMSTART
	v_dot2_f32_f16 v12, v2, v10, v12
	;;#ASMEND
	s_nop 0
	;;#ASMSTART
	v_dot2_f32_f16 v12, v3, v11, v12
	;;#ASMEND
	;;#ASMSTART
	v_dot2_f32_f16 v8, v0, v4, v8
	;;#ASMEND
	s_nop 0
	;;#ASMSTART
	v_dot2_f32_f16 v8, v1, v5, v8
	;;#ASMEND
	s_nop 0
	;; [unrolled: 4-line block ×3, first 2 shown]
	;;#ASMSTART
	v_dot2_f32_f16 v8, v3, v7, v8
	;;#ASMEND
	ds_read_b128 v[0:3], v53 offset:16
	ds_read_b128 v[4:7], v53 offset:4624
	;; [unrolled: 1-line block ×6, first 2 shown]
	s_waitcnt lgkmcnt(1)
	;;#ASMSTART
	v_dot2_f32_f16 v80, v0, v94, v80
	;;#ASMEND
	s_nop 0
	;;#ASMSTART
	v_dot2_f32_f16 v80, v1, v95, v80
	;;#ASMEND
	s_nop 0
	;; [unrolled: 4-line block ×3, first 2 shown]
	;;#ASMSTART
	v_dot2_f32_f16 v80, v3, v97, v80
	;;#ASMEND
	s_waitcnt lgkmcnt(0)
	;;#ASMSTART
	v_dot2_f32_f16 v81, v0, v98, v81
	;;#ASMEND
	s_nop 0
	;;#ASMSTART
	v_dot2_f32_f16 v81, v1, v99, v81
	;;#ASMEND
	s_nop 0
	;;#ASMSTART
	v_dot2_f32_f16 v81, v2, v100, v81
	;;#ASMEND
	s_nop 0
	;;#ASMSTART
	v_dot2_f32_f16 v81, v3, v101, v81
	;;#ASMEND
	;;#ASMSTART
	v_dot2_f32_f16 v83, v4, v94, v83
	;;#ASMEND
	s_nop 0
	;;#ASMSTART
	v_dot2_f32_f16 v83, v5, v95, v83
	;;#ASMEND
	s_nop 0
	;;#ASMSTART
	v_dot2_f32_f16 v83, v6, v96, v83
	;;#ASMEND
	s_nop 0
	;;#ASMSTART
	v_dot2_f32_f16 v83, v7, v97, v83
	;;#ASMEND
	;; [unrolled: 15-line block ×7, first 2 shown]
	ds_read_b128 v[0:3], v53 offset:32
	ds_read_b128 v[4:7], v53 offset:4640
	;; [unrolled: 1-line block ×6, first 2 shown]
	s_waitcnt lgkmcnt(1)
	;;#ASMSTART
	v_dot2_f32_f16 v80, v0, v94, v80
	;;#ASMEND
	s_nop 0
	;;#ASMSTART
	v_dot2_f32_f16 v80, v1, v95, v80
	;;#ASMEND
	s_nop 0
	;;#ASMSTART
	v_dot2_f32_f16 v80, v2, v96, v80
	;;#ASMEND
	s_nop 0
	;;#ASMSTART
	v_dot2_f32_f16 v80, v3, v97, v80
	;;#ASMEND
	s_waitcnt lgkmcnt(0)
	;;#ASMSTART
	v_dot2_f32_f16 v81, v0, v98, v81
	;;#ASMEND
	s_nop 0
	;;#ASMSTART
	v_dot2_f32_f16 v81, v1, v99, v81
	;;#ASMEND
	s_nop 0
	;;#ASMSTART
	v_dot2_f32_f16 v81, v2, v100, v81
	;;#ASMEND
	s_nop 0
	;;#ASMSTART
	v_dot2_f32_f16 v81, v3, v101, v81
	;;#ASMEND
	;;#ASMSTART
	v_dot2_f32_f16 v83, v4, v94, v83
	;;#ASMEND
	s_nop 0
	;;#ASMSTART
	v_dot2_f32_f16 v83, v5, v95, v83
	;;#ASMEND
	s_nop 0
	;;#ASMSTART
	v_dot2_f32_f16 v83, v6, v96, v83
	;;#ASMEND
	s_nop 0
	;;#ASMSTART
	v_dot2_f32_f16 v83, v7, v97, v83
	;;#ASMEND
	;; [unrolled: 15-line block ×7, first 2 shown]
	ds_read_b128 v[0:3], v53 offset:48
	ds_read_b128 v[4:7], v53 offset:4656
	;; [unrolled: 1-line block ×6, first 2 shown]
	s_waitcnt lgkmcnt(1)
	;;#ASMSTART
	v_dot2_f32_f16 v80, v0, v94, v80
	;;#ASMEND
	s_nop 0
	;;#ASMSTART
	v_dot2_f32_f16 v80, v1, v95, v80
	;;#ASMEND
	s_nop 0
	;; [unrolled: 4-line block ×3, first 2 shown]
	;;#ASMSTART
	v_dot2_f32_f16 v80, v3, v97, v80
	;;#ASMEND
	s_waitcnt lgkmcnt(0)
	;;#ASMSTART
	v_dot2_f32_f16 v81, v0, v98, v81
	;;#ASMEND
	s_nop 0
	;;#ASMSTART
	v_dot2_f32_f16 v81, v1, v99, v81
	;;#ASMEND
	s_nop 0
	;;#ASMSTART
	v_dot2_f32_f16 v81, v2, v100, v81
	;;#ASMEND
	s_nop 0
	;;#ASMSTART
	v_dot2_f32_f16 v81, v3, v101, v81
	;;#ASMEND
	;;#ASMSTART
	v_dot2_f32_f16 v83, v4, v94, v83
	;;#ASMEND
	s_nop 0
	;;#ASMSTART
	v_dot2_f32_f16 v83, v5, v95, v83
	;;#ASMEND
	s_nop 0
	;;#ASMSTART
	v_dot2_f32_f16 v83, v6, v96, v83
	;;#ASMEND
	s_nop 0
	;;#ASMSTART
	v_dot2_f32_f16 v83, v7, v97, v83
	;;#ASMEND
	;; [unrolled: 15-line block ×7, first 2 shown]
	ds_read_b128 v[0:3], v53 offset:64
	ds_read_b128 v[4:7], v53 offset:4672
	;; [unrolled: 1-line block ×6, first 2 shown]
	s_waitcnt lgkmcnt(1)
	;;#ASMSTART
	v_dot2_f32_f16 v80, v0, v94, v80
	;;#ASMEND
	s_nop 0
	;;#ASMSTART
	v_dot2_f32_f16 v80, v1, v95, v80
	;;#ASMEND
	s_nop 0
	;; [unrolled: 4-line block ×3, first 2 shown]
	;;#ASMSTART
	v_dot2_f32_f16 v80, v3, v97, v80
	;;#ASMEND
	s_waitcnt lgkmcnt(0)
	;;#ASMSTART
	v_dot2_f32_f16 v81, v0, v98, v81
	;;#ASMEND
	s_nop 0
	;;#ASMSTART
	v_dot2_f32_f16 v81, v1, v99, v81
	;;#ASMEND
	s_nop 0
	;;#ASMSTART
	v_dot2_f32_f16 v81, v2, v100, v81
	;;#ASMEND
	s_nop 0
	;;#ASMSTART
	v_dot2_f32_f16 v81, v3, v101, v81
	;;#ASMEND
	;;#ASMSTART
	v_dot2_f32_f16 v83, v4, v94, v83
	;;#ASMEND
	s_nop 0
	;;#ASMSTART
	v_dot2_f32_f16 v83, v5, v95, v83
	;;#ASMEND
	s_nop 0
	;;#ASMSTART
	v_dot2_f32_f16 v83, v6, v96, v83
	;;#ASMEND
	s_nop 0
	;;#ASMSTART
	v_dot2_f32_f16 v83, v7, v97, v83
	;;#ASMEND
	;; [unrolled: 15-line block ×7, first 2 shown]
	ds_read_b128 v[0:3], v53 offset:80
	ds_read_b128 v[4:7], v53 offset:4688
	;; [unrolled: 1-line block ×6, first 2 shown]
	s_waitcnt lgkmcnt(1)
	;;#ASMSTART
	v_dot2_f32_f16 v80, v0, v94, v80
	;;#ASMEND
	s_nop 0
	;;#ASMSTART
	v_dot2_f32_f16 v80, v1, v95, v80
	;;#ASMEND
	s_nop 0
	;; [unrolled: 4-line block ×3, first 2 shown]
	;;#ASMSTART
	v_dot2_f32_f16 v80, v3, v97, v80
	;;#ASMEND
	s_waitcnt lgkmcnt(0)
	;;#ASMSTART
	v_dot2_f32_f16 v81, v0, v98, v81
	;;#ASMEND
	s_nop 0
	;;#ASMSTART
	v_dot2_f32_f16 v81, v1, v99, v81
	;;#ASMEND
	s_nop 0
	;;#ASMSTART
	v_dot2_f32_f16 v81, v2, v100, v81
	;;#ASMEND
	s_nop 0
	;;#ASMSTART
	v_dot2_f32_f16 v81, v3, v101, v81
	;;#ASMEND
	;;#ASMSTART
	v_dot2_f32_f16 v83, v4, v94, v83
	;;#ASMEND
	s_nop 0
	;;#ASMSTART
	v_dot2_f32_f16 v83, v5, v95, v83
	;;#ASMEND
	s_nop 0
	;;#ASMSTART
	v_dot2_f32_f16 v83, v6, v96, v83
	;;#ASMEND
	s_nop 0
	;;#ASMSTART
	v_dot2_f32_f16 v83, v7, v97, v83
	;;#ASMEND
	;;#ASMSTART
	v_dot2_f32_f16 v82, v4, v98, v82
	;;#ASMEND
	s_nop 0
	;;#ASMSTART
	v_dot2_f32_f16 v82, v5, v99, v82
	;;#ASMEND
	s_nop 0
	;;#ASMSTART
	v_dot2_f32_f16 v82, v6, v100, v82
	;;#ASMEND
	s_nop 0
	;;#ASMSTART
	v_dot2_f32_f16 v82, v7, v101, v82
	;;#ASMEND
	;;#ASMSTART
	v_dot2_f32_f16 v85, v86, v94, v85
	;;#ASMEND
	s_nop 0
	;;#ASMSTART
	v_dot2_f32_f16 v85, v87, v95, v85
	;;#ASMEND
	s_nop 0
	;;#ASMSTART
	v_dot2_f32_f16 v85, v88, v96, v85
	;;#ASMEND
	s_nop 0
	;;#ASMSTART
	v_dot2_f32_f16 v85, v89, v97, v85
	;;#ASMEND
	;;#ASMSTART
	v_dot2_f32_f16 v84, v86, v98, v84
	;;#ASMEND
	s_nop 0
	;;#ASMSTART
	v_dot2_f32_f16 v84, v87, v99, v84
	;;#ASMEND
	s_nop 0
	;;#ASMSTART
	v_dot2_f32_f16 v84, v88, v100, v84
	;;#ASMEND
	s_nop 0
	;;#ASMSTART
	v_dot2_f32_f16 v84, v89, v101, v84
	;;#ASMEND
	;;#ASMSTART
	v_dot2_f32_f16 v12, v90, v94, v12
	;;#ASMEND
	s_nop 0
	;;#ASMSTART
	v_dot2_f32_f16 v12, v91, v95, v12
	;;#ASMEND
	s_nop 0
	;;#ASMSTART
	v_dot2_f32_f16 v12, v92, v96, v12
	;;#ASMEND
	s_nop 0
	;;#ASMSTART
	v_dot2_f32_f16 v12, v93, v97, v12
	;;#ASMEND
	;;#ASMSTART
	v_dot2_f32_f16 v8, v90, v98, v8
	;;#ASMEND
	s_nop 0
	;;#ASMSTART
	v_dot2_f32_f16 v8, v91, v99, v8
	;;#ASMEND
	s_nop 0
	;;#ASMSTART
	v_dot2_f32_f16 v8, v92, v100, v8
	;;#ASMEND
	s_nop 0
	;;#ASMSTART
	v_dot2_f32_f16 v8, v93, v101, v8
	;;#ASMEND
	ds_read_b128 v[0:3], v53 offset:96
	ds_read_b128 v[4:7], v53 offset:4704
	;; [unrolled: 1-line block ×6, first 2 shown]
	s_waitcnt lgkmcnt(1)
	;;#ASMSTART
	v_dot2_f32_f16 v80, v0, v94, v80
	;;#ASMEND
	s_nop 0
	;;#ASMSTART
	v_dot2_f32_f16 v80, v1, v95, v80
	;;#ASMEND
	s_nop 0
	;;#ASMSTART
	v_dot2_f32_f16 v80, v2, v96, v80
	;;#ASMEND
	s_nop 0
	;;#ASMSTART
	v_dot2_f32_f16 v80, v3, v97, v80
	;;#ASMEND
	s_waitcnt lgkmcnt(0)
	;;#ASMSTART
	v_dot2_f32_f16 v81, v0, v98, v81
	;;#ASMEND
	s_nop 0
	;;#ASMSTART
	v_dot2_f32_f16 v81, v1, v99, v81
	;;#ASMEND
	s_nop 0
	;;#ASMSTART
	v_dot2_f32_f16 v81, v2, v100, v81
	;;#ASMEND
	s_nop 0
	;;#ASMSTART
	v_dot2_f32_f16 v81, v3, v101, v81
	;;#ASMEND
	;;#ASMSTART
	v_dot2_f32_f16 v83, v4, v94, v83
	;;#ASMEND
	s_nop 0
	;;#ASMSTART
	v_dot2_f32_f16 v83, v5, v95, v83
	;;#ASMEND
	s_nop 0
	;;#ASMSTART
	v_dot2_f32_f16 v83, v6, v96, v83
	;;#ASMEND
	s_nop 0
	;;#ASMSTART
	v_dot2_f32_f16 v83, v7, v97, v83
	;;#ASMEND
	;; [unrolled: 15-line block ×7, first 2 shown]
	ds_read_b128 v[0:3], v53 offset:112
	ds_read_b128 v[4:7], v53 offset:4720
	ds_read_b128 v[86:89], v53 offset:9328
	ds_read_b128 v[90:93], v53 offset:13936
	ds_read_b128 v[94:97], v52 offset:112
	ds_read_b128 v[98:101], v52 offset:240
	s_waitcnt lgkmcnt(1)
	;;#ASMSTART
	v_dot2_f32_f16 v80, v0, v94, v80
	;;#ASMEND
	s_nop 0
	;;#ASMSTART
	v_dot2_f32_f16 v80, v1, v95, v80
	;;#ASMEND
	s_nop 0
	;; [unrolled: 4-line block ×3, first 2 shown]
	;;#ASMSTART
	v_dot2_f32_f16 v80, v3, v97, v80
	;;#ASMEND
	s_waitcnt lgkmcnt(0)
	;;#ASMSTART
	v_dot2_f32_f16 v81, v0, v98, v81
	;;#ASMEND
	v_add_u32_e32 v0, s2, v30
	;;#ASMSTART
	v_dot2_f32_f16 v81, v1, v99, v81
	;;#ASMEND
	v_cndmask_b32_e32 v1, v31, v46, vcc
	;;#ASMSTART
	v_dot2_f32_f16 v81, v2, v100, v81
	;;#ASMEND
	v_cmp_lt_i32_e32 vcc, v45, v41
	;;#ASMSTART
	v_dot2_f32_f16 v81, v3, v101, v81
	;;#ASMEND
	;;#ASMSTART
	v_dot2_f32_f16 v83, v4, v94, v83
	;;#ASMEND
	v_lshlrev_b32_e32 v2, 2, v1
	;;#ASMSTART
	v_dot2_f32_f16 v83, v5, v95, v83
	;;#ASMEND
	s_nop 0
	;;#ASMSTART
	v_dot2_f32_f16 v83, v6, v96, v83
	;;#ASMEND
	v_cndmask_b32_e32 v1, v31, v45, vcc
	;;#ASMSTART
	v_dot2_f32_f16 v83, v7, v97, v83
	;;#ASMEND
	;;#ASMSTART
	v_dot2_f32_f16 v82, v4, v98, v82
	;;#ASMEND
	v_cmp_lt_i32_e32 vcc, v44, v41
	;;#ASMSTART
	v_dot2_f32_f16 v82, v5, v99, v82
	;;#ASMEND
	v_lshlrev_b32_e32 v3, 2, v1
	;;#ASMSTART
	v_dot2_f32_f16 v82, v6, v100, v82
	;;#ASMEND
	s_nop 0
	;;#ASMSTART
	v_dot2_f32_f16 v82, v7, v101, v82
	;;#ASMEND
	;;#ASMSTART
	v_dot2_f32_f16 v85, v86, v94, v85
	;;#ASMEND
	v_cndmask_b32_e32 v1, v31, v44, vcc
	;;#ASMSTART
	v_dot2_f32_f16 v85, v87, v95, v85
	;;#ASMEND
	v_cmp_lt_i32_e32 vcc, v43, v41
	;;#ASMSTART
	v_dot2_f32_f16 v85, v88, v96, v85
	;;#ASMEND
	v_lshlrev_b32_e32 v4, 2, v1
	;;#ASMSTART
	v_dot2_f32_f16 v85, v89, v97, v85
	;;#ASMEND
	;;#ASMSTART
	v_dot2_f32_f16 v84, v86, v98, v84
	;;#ASMEND
	s_nop 0
	;;#ASMSTART
	v_dot2_f32_f16 v84, v87, v99, v84
	;;#ASMEND
	v_cndmask_b32_e32 v1, v31, v43, vcc
	;;#ASMSTART
	v_dot2_f32_f16 v84, v88, v100, v84
	;;#ASMEND
	v_cmp_lt_i32_e32 vcc, v42, v41
	;;#ASMSTART
	v_dot2_f32_f16 v84, v89, v101, v84
	;;#ASMEND
	;;#ASMSTART
	v_dot2_f32_f16 v12, v90, v94, v12
	;;#ASMEND
	v_lshlrev_b32_e32 v5, 2, v1
	;;#ASMSTART
	v_dot2_f32_f16 v12, v91, v95, v12
	;;#ASMEND
	s_nop 0
	;;#ASMSTART
	v_dot2_f32_f16 v12, v92, v96, v12
	;;#ASMEND
	v_cndmask_b32_e32 v1, v31, v42, vcc
	;;#ASMSTART
	v_dot2_f32_f16 v12, v93, v97, v12
	;;#ASMEND
	;;#ASMSTART
	v_dot2_f32_f16 v8, v90, v98, v8
	;;#ASMEND
	v_lshlrev_b32_e32 v6, 2, v1
	;;#ASMSTART
	v_dot2_f32_f16 v8, v91, v99, v8
	;;#ASMEND
	v_ashrrev_i32_e32 v1, 31, v0
	;;#ASMSTART
	v_dot2_f32_f16 v8, v92, v100, v8
	;;#ASMEND
	v_lshl_add_u64 v[0:1], v[0:1], 1, s[26:27]
	;;#ASMSTART
	v_dot2_f32_f16 v8, v93, v101, v8
	;;#ASMEND
	global_load_ushort v7, v[0:1], off
	global_load_ushort v11, v[0:1], off offset:64
	s_waitcnt vmcnt(1)
	v_cvt_f32_f16_e32 v7, v7
	s_waitcnt vmcnt(0)
	v_cvt_f32_f16_e32 v11, v11
	v_add_f32_e32 v9, v80, v7
	v_add_f32_e32 v13, v83, v11
	v_add_f32_e32 v10, 0x40051340, v9
	v_add_f32_e32 v14, 0x40051340, v13
	v_max3_f32 v10, v79, v10, v14
	global_load_ushort v14, v[0:1], off offset:128
	v_add_f32_e32 v7, v81, v7
	global_load_ushort v0, v[0:1], off offset:192
	v_add_f32_e32 v11, v82, v11
	s_barrier
	s_waitcnt vmcnt(1)
	v_cvt_f32_f16_e32 v14, v14
	s_waitcnt vmcnt(0)
	v_cvt_f32_f16_e32 v1, v0
	v_add_f32_e32 v15, v85, v14
	v_add_f32_e32 v80, 0x40051340, v15
	;; [unrolled: 1-line block ×4, first 2 shown]
	v_max3_f32 v0, v10, v80, v0
	ds_bpermute_b32 v10, v2, v0
	v_add_f32_e32 v80, 0x40051340, v11
	v_add_f32_e32 v14, v84, v14
	;; [unrolled: 1-line block ×4, first 2 shown]
	s_waitcnt lgkmcnt(0)
	v_max_f32_e32 v10, v10, v10
	v_max_f32_e32 v0, v0, v10
	ds_bpermute_b32 v10, v3, v0
	s_waitcnt lgkmcnt(0)
	v_max_f32_e32 v10, v10, v10
	v_max_f32_e32 v0, v0, v10
	ds_bpermute_b32 v10, v4, v0
	;; [unrolled: 4-line block ×4, first 2 shown]
	s_waitcnt lgkmcnt(0)
	v_max_f32_e32 v10, v10, v10
	v_max_f32_e32 v0, v0, v10
	v_add_f32_e32 v10, 0x40051340, v7
	v_max3_f32 v10, v78, v10, v80
	v_add_f32_e32 v80, 0x40051340, v14
	v_max3_f32 v1, v10, v80, v1
	ds_bpermute_b32 v2, v2, v1
	s_waitcnt lgkmcnt(0)
	v_max_f32_e32 v2, v2, v2
	v_max_f32_e32 v1, v1, v2
	ds_bpermute_b32 v2, v3, v1
	v_sub_f32_e32 v3, v9, v0
	v_cmp_ngt_f32_e32 vcc, s21, v3
	s_waitcnt lgkmcnt(0)
	v_max_f32_e32 v2, v2, v2
	v_max_f32_e32 v1, v1, v2
	ds_bpermute_b32 v2, v4, v1
	v_mul_f32_e32 v4, 0x3fb8aa3b, v3
	s_waitcnt lgkmcnt(0)
	v_max_f32_e32 v2, v2, v2
	v_max_f32_e32 v1, v1, v2
	ds_bpermute_b32 v2, v5, v1
	v_fma_f32 v5, v3, s20, -v4
	v_fmac_f32_e32 v5, 0x32a5705f, v3
	s_waitcnt lgkmcnt(0)
	v_max_f32_e32 v2, v2, v2
	v_max_f32_e32 v1, v1, v2
	ds_bpermute_b32 v2, v6, v1
	v_rndne_f32_e32 v6, v4
	v_sub_f32_e32 v4, v4, v6
	v_add_f32_e32 v4, v4, v5
	v_exp_f32_e32 v4, v4
	v_cvt_i32_f32_e32 v5, v6
	s_waitcnt lgkmcnt(0)
	v_max_f32_e32 v2, v2, v2
	v_max_f32_e32 v1, v1, v2
	v_sub_f32_e32 v2, v79, v0
	v_ldexp_f32 v4, v4, v5
	v_cndmask_b32_e32 v4, 0, v4, vcc
	v_cmp_nlt_f32_e32 vcc, s28, v3
	v_sub_f32_e32 v3, v13, v0
	v_mul_f32_e32 v5, 0x3fb8aa3b, v3
	v_fma_f32 v6, v3, s20, -v5
	v_rndne_f32_e32 v8, v5
	v_fmac_f32_e32 v6, 0x32a5705f, v3
	v_sub_f32_e32 v5, v5, v8
	v_add_f32_e32 v5, v5, v6
	v_exp_f32_e32 v5, v5
	v_cvt_i32_f32_e32 v6, v8
	v_cndmask_b32_e32 v4, v59, v4, vcc
	v_cmp_ngt_f32_e32 vcc, s21, v3
	v_ldexp_f32 v5, v5, v6
	s_nop 0
	v_cndmask_b32_e32 v5, 0, v5, vcc
	v_cmp_nlt_f32_e32 vcc, s28, v3
	v_sub_f32_e32 v3, v15, v0
	s_nop 0
	v_cndmask_b32_e32 v6, v59, v5, vcc
	v_mul_f32_e32 v5, 0x3fb8aa3b, v3
	v_fma_f32 v8, v3, s20, -v5
	v_rndne_f32_e32 v9, v5
	v_fmac_f32_e32 v8, 0x32a5705f, v3
	v_sub_f32_e32 v5, v5, v9
	v_add_f32_e32 v5, v5, v8
	v_exp_f32_e32 v5, v5
	v_cvt_i32_f32_e32 v8, v9
	v_cmp_ngt_f32_e32 vcc, s21, v3
	v_ldexp_f32 v5, v5, v8
	s_nop 0
	v_cndmask_b32_e32 v5, 0, v5, vcc
	v_cmp_nlt_f32_e32 vcc, s28, v3
	v_sub_f32_e32 v3, v12, v0
	s_nop 0
	v_cndmask_b32_e32 v8, v59, v5, vcc
	v_mul_f32_e32 v5, 0x3fb8aa3b, v3
	v_fma_f32 v9, v3, s20, -v5
	v_rndne_f32_e32 v10, v5
	v_fmac_f32_e32 v9, 0x32a5705f, v3
	v_sub_f32_e32 v5, v5, v10
	v_add_f32_e32 v5, v5, v9
	v_exp_f32_e32 v5, v5
	v_cvt_i32_f32_e32 v9, v10
	v_cmp_ngt_f32_e32 vcc, s21, v3
	v_ldexp_f32 v5, v5, v9
	s_nop 0
	v_cndmask_b32_e32 v5, 0, v5, vcc
	v_cmp_nlt_f32_e32 vcc, s28, v3
	v_mul_f32_e32 v3, 0x3fb8aa3b, v2
	v_rndne_f32_e32 v9, v3
	v_cndmask_b32_e32 v10, v59, v5, vcc
	v_fma_f32 v5, v2, s20, -v3
	v_fmac_f32_e32 v5, 0x32a5705f, v2
	v_sub_f32_e32 v3, v3, v9
	v_add_f32_e32 v3, v3, v5
	v_exp_f32_e32 v3, v3
	v_cvt_i32_f32_e32 v5, v9
	v_cmp_ngt_f32_e32 vcc, s21, v2
	v_ldexp_f32 v3, v3, v5
	v_sub_f32_e32 v5, v7, v1
	v_mul_f32_e32 v7, 0x3fb8aa3b, v5
	v_fma_f32 v9, v5, s20, -v7
	v_rndne_f32_e32 v13, v7
	v_fmac_f32_e32 v9, 0x32a5705f, v5
	v_sub_f32_e32 v7, v7, v13
	v_add_f32_e32 v7, v7, v9
	v_exp_f32_e32 v7, v7
	v_cvt_i32_f32_e32 v9, v13
	v_cndmask_b32_e32 v3, 0, v3, vcc
	v_cmp_nlt_f32_e32 vcc, s28, v2
	v_ldexp_f32 v7, v7, v9
	s_nop 0
	v_cndmask_b32_e32 v12, v59, v3, vcc
	v_cmp_ngt_f32_e32 vcc, s21, v5
	v_sub_f32_e32 v3, v78, v1
	v_cvt_f16_f32_e32 v2, v12
	v_cndmask_b32_e32 v7, 0, v7, vcc
	v_cmp_nlt_f32_e32 vcc, s28, v5
	v_mul_u32_u24_e32 v2, 0x10001, v2
	s_nop 0
	v_cndmask_b32_e32 v5, v59, v7, vcc
	v_sub_f32_e32 v7, v11, v1
	v_mul_f32_e32 v9, 0x3fb8aa3b, v7
	v_fma_f32 v11, v7, s20, -v9
	v_rndne_f32_e32 v13, v9
	v_fmac_f32_e32 v11, 0x32a5705f, v7
	v_sub_f32_e32 v9, v9, v13
	v_add_f32_e32 v9, v9, v11
	v_exp_f32_e32 v9, v9
	v_cvt_i32_f32_e32 v11, v13
	v_cmp_ngt_f32_e32 vcc, s21, v7
	v_ldexp_f32 v9, v9, v11
	s_nop 0
	v_cndmask_b32_e32 v9, 0, v9, vcc
	v_cmp_nlt_f32_e32 vcc, s28, v7
	s_nop 1
	v_cndmask_b32_e32 v7, v59, v9, vcc
	v_sub_f32_e32 v9, v14, v1
	v_mul_f32_e32 v11, 0x3fb8aa3b, v9
	v_fma_f32 v13, v9, s20, -v11
	v_rndne_f32_e32 v14, v11
	v_fmac_f32_e32 v13, 0x32a5705f, v9
	v_sub_f32_e32 v11, v11, v14
	v_add_f32_e32 v11, v11, v13
	v_exp_f32_e32 v11, v11
	v_cvt_i32_f32_e32 v13, v14
	v_cmp_ngt_f32_e32 vcc, s21, v9
	v_ldexp_f32 v11, v11, v13
	s_nop 0
	v_cndmask_b32_e32 v11, 0, v11, vcc
	v_cmp_nlt_f32_e32 vcc, s28, v9
	;; [unrolled: 16-line block ×3, first 2 shown]
	s_nop 1
	v_cndmask_b32_e32 v11, v59, v13, vcc
	v_mul_f32_e32 v13, 0x3fb8aa3b, v3
	v_fma_f32 v14, v3, s20, -v13
	v_rndne_f32_e32 v15, v13
	v_fmac_f32_e32 v14, 0x32a5705f, v3
	v_sub_f32_e32 v13, v13, v15
	v_add_f32_e32 v13, v13, v14
	v_exp_f32_e32 v13, v13
	v_cvt_i32_f32_e32 v14, v15
	v_cmp_ngt_f32_e32 vcc, s21, v3
	v_ldexp_f32 v13, v13, v14
	v_pk_add_f32 v[14:15], v[4:5], v[6:7]
	v_cvt_pk_f16_f32 v4, v4, v5
	v_cvt_pk_f16_f32 v5, v6, v7
	ds_write2_b32 v60, v4, v5 offset1:32
	v_cvt_pk_f16_f32 v4, v8, v9
	v_cvt_pk_f16_f32 v5, v10, v11
	v_lshl_add_u64 v[6:7], v[34:35], 2, s[6:7]
	v_cndmask_b32_e32 v13, 0, v13, vcc
	v_cmp_nlt_f32_e32 vcc, s28, v3
	v_pk_add_f32 v[14:15], v[8:9], v[14:15]
	ds_write2_b32 v60, v4, v5 offset0:64 offset1:96
	v_lshl_add_u64 v[4:5], v[32:33], 2, s[6:7]
	v_lshl_add_u64 v[8:9], v[6:7], 0, v[18:19]
	;; [unrolled: 1-line block ×3, first 2 shown]
	v_cndmask_b32_e32 v13, v59, v13, vcc
	v_pk_add_f32 v[14:15], v[10:11], v[14:15]
	v_lshl_add_u64 v[4:5], v[4:5], 0, v[18:19]
	v_lshl_add_u64 v[10:11], v[6:7], 0, v[18:19]
	;; [unrolled: 1-line block ×3, first 2 shown]
	v_pk_fma_f32 v[26:27], v[26:27], v[12:13], v[14:15]
	v_cvt_f16_f32_e32 v3, v13
	v_lshl_add_u64 v[12:13], v[6:7], 0, v[18:19]
	global_load_dwordx4 v[4:7], v[4:5], off
	v_mul_u32_u24_e32 v3, 0x10001, v3
	s_waitcnt vmcnt(0)
	ds_write_b128 v55, v[4:7]
	global_load_dwordx4 v[4:7], v[8:9], off
	s_waitcnt vmcnt(0)
	ds_write_b128 v56, v[4:7]
	global_load_dwordx4 v[4:7], v[10:11], off
	;; [unrolled: 3-line block ×3, first 2 shown]
	s_waitcnt vmcnt(0)
	ds_write_b128 v58, v[4:7]
	s_waitcnt lgkmcnt(0)
	s_barrier
	ds_read2_b32 v[8:9], v47 offset1:32
	ds_read_b128 v[4:7], v54
	s_waitcnt lgkmcnt(0)
	v_mul_u32_u24_sdwa v10, v4, s29 dst_sel:DWORD dst_unused:UNUSED_PAD src0_sel:WORD_0 src1_sel:DWORD
	v_mul_u32_u24_sdwa v4, v4, s29 dst_sel:DWORD dst_unused:UNUSED_PAD src0_sel:WORD_1 src1_sel:DWORD
	v_pk_mul_f16 v10, v8, v10
	v_pk_mul_f16 v4, v8, v4
	v_pk_fma_f16 v2, v77, v2, v10
	v_pk_fma_f16 v3, v76, v3, v4
	v_mul_u32_u24_sdwa v4, v5, s29 dst_sel:DWORD dst_unused:UNUSED_PAD src0_sel:WORD_0 src1_sel:DWORD
	v_mul_u32_u24_sdwa v5, v5, s29 dst_sel:DWORD dst_unused:UNUSED_PAD src0_sel:WORD_1 src1_sel:DWORD
	v_pk_fma_f16 v4, v9, v4, v2
	v_pk_fma_f16 v5, v9, v5, v3
	ds_read2_b32 v[2:3], v47 offset0:64 offset1:96
	v_mul_u32_u24_sdwa v8, v6, s29 dst_sel:DWORD dst_unused:UNUSED_PAD src0_sel:WORD_0 src1_sel:DWORD
	v_mul_u32_u24_sdwa v6, v6, s29 dst_sel:DWORD dst_unused:UNUSED_PAD src0_sel:WORD_1 src1_sel:DWORD
	s_waitcnt lgkmcnt(0)
	v_pk_fma_f16 v4, v2, v8, v4
	v_pk_fma_f16 v2, v2, v6, v5
	v_mul_u32_u24_sdwa v5, v7, s29 dst_sel:DWORD dst_unused:UNUSED_PAD src0_sel:WORD_0 src1_sel:DWORD
	v_mul_u32_u24_sdwa v6, v7, s29 dst_sel:DWORD dst_unused:UNUSED_PAD src0_sel:WORD_1 src1_sel:DWORD
	v_pk_fma_f16 v8, v3, v5, v4
	v_pk_fma_f16 v9, v3, v6, v2
	ds_read2_b32 v[6:7], v47 offset0:128 offset1:160
	ds_read_b128 v[2:5], v54 offset:16
	s_waitcnt lgkmcnt(0)
	v_mul_u32_u24_sdwa v10, v2, s29 dst_sel:DWORD dst_unused:UNUSED_PAD src0_sel:WORD_0 src1_sel:DWORD
	v_mul_u32_u24_sdwa v2, v2, s29 dst_sel:DWORD dst_unused:UNUSED_PAD src0_sel:WORD_1 src1_sel:DWORD
	v_pk_fma_f16 v8, v6, v10, v8
	v_pk_fma_f16 v2, v6, v2, v9
	v_mul_u32_u24_sdwa v6, v3, s29 dst_sel:DWORD dst_unused:UNUSED_PAD src0_sel:WORD_0 src1_sel:DWORD
	v_mul_u32_u24_sdwa v3, v3, s29 dst_sel:DWORD dst_unused:UNUSED_PAD src0_sel:WORD_1 src1_sel:DWORD
	v_pk_fma_f16 v6, v7, v6, v8
	v_pk_fma_f16 v7, v7, v3, v2
	ds_read2_b32 v[2:3], v47 offset0:192 offset1:224
	v_mul_u32_u24_sdwa v8, v4, s29 dst_sel:DWORD dst_unused:UNUSED_PAD src0_sel:WORD_0 src1_sel:DWORD
	v_mul_u32_u24_sdwa v4, v4, s29 dst_sel:DWORD dst_unused:UNUSED_PAD src0_sel:WORD_1 src1_sel:DWORD
	s_waitcnt lgkmcnt(0)
	v_pk_fma_f16 v6, v2, v8, v6
	v_pk_fma_f16 v2, v2, v4, v7
	v_mul_u32_u24_sdwa v4, v5, s29 dst_sel:DWORD dst_unused:UNUSED_PAD src0_sel:WORD_0 src1_sel:DWORD
	v_mul_u32_u24_sdwa v5, v5, s29 dst_sel:DWORD dst_unused:UNUSED_PAD src0_sel:WORD_1 src1_sel:DWORD
	v_pk_fma_f16 v8, v3, v4, v6
	v_pk_fma_f16 v9, v3, v5, v2
	ds_read2_b32 v[6:7], v61 offset1:32
	ds_read_b128 v[2:5], v54 offset:32
	s_waitcnt lgkmcnt(0)
	v_mul_u32_u24_sdwa v10, v2, s29 dst_sel:DWORD dst_unused:UNUSED_PAD src0_sel:WORD_0 src1_sel:DWORD
	v_mul_u32_u24_sdwa v2, v2, s29 dst_sel:DWORD dst_unused:UNUSED_PAD src0_sel:WORD_1 src1_sel:DWORD
	v_pk_fma_f16 v8, v6, v10, v8
	v_pk_fma_f16 v2, v6, v2, v9
	v_mul_u32_u24_sdwa v6, v3, s29 dst_sel:DWORD dst_unused:UNUSED_PAD src0_sel:WORD_0 src1_sel:DWORD
	v_mul_u32_u24_sdwa v3, v3, s29 dst_sel:DWORD dst_unused:UNUSED_PAD src0_sel:WORD_1 src1_sel:DWORD
	v_pk_fma_f16 v6, v7, v6, v8
	v_pk_fma_f16 v7, v7, v3, v2
	ds_read2_b32 v[2:3], v61 offset0:64 offset1:96
	v_mul_u32_u24_sdwa v8, v4, s29 dst_sel:DWORD dst_unused:UNUSED_PAD src0_sel:WORD_0 src1_sel:DWORD
	v_mul_u32_u24_sdwa v4, v4, s29 dst_sel:DWORD dst_unused:UNUSED_PAD src0_sel:WORD_1 src1_sel:DWORD
	s_waitcnt lgkmcnt(0)
	v_pk_fma_f16 v6, v2, v8, v6
	v_pk_fma_f16 v2, v2, v4, v7
	v_mul_u32_u24_sdwa v4, v5, s29 dst_sel:DWORD dst_unused:UNUSED_PAD src0_sel:WORD_0 src1_sel:DWORD
	v_mul_u32_u24_sdwa v5, v5, s29 dst_sel:DWORD dst_unused:UNUSED_PAD src0_sel:WORD_1 src1_sel:DWORD
	v_pk_fma_f16 v8, v3, v4, v6
	v_pk_fma_f16 v9, v3, v5, v2
	ds_read2_b32 v[6:7], v61 offset0:128 offset1:160
	ds_read_b128 v[2:5], v54 offset:48
	s_waitcnt lgkmcnt(0)
	v_mul_u32_u24_sdwa v10, v2, s29 dst_sel:DWORD dst_unused:UNUSED_PAD src0_sel:WORD_0 src1_sel:DWORD
	v_mul_u32_u24_sdwa v2, v2, s29 dst_sel:DWORD dst_unused:UNUSED_PAD src0_sel:WORD_1 src1_sel:DWORD
	v_pk_fma_f16 v8, v6, v10, v8
	v_pk_fma_f16 v2, v6, v2, v9
	v_mul_u32_u24_sdwa v6, v3, s29 dst_sel:DWORD dst_unused:UNUSED_PAD src0_sel:WORD_0 src1_sel:DWORD
	v_mul_u32_u24_sdwa v3, v3, s29 dst_sel:DWORD dst_unused:UNUSED_PAD src0_sel:WORD_1 src1_sel:DWORD
	v_pk_fma_f16 v6, v7, v6, v8
	v_pk_fma_f16 v7, v7, v3, v2
	ds_read2_b32 v[2:3], v61 offset0:192 offset1:224
	v_mul_u32_u24_sdwa v8, v4, s29 dst_sel:DWORD dst_unused:UNUSED_PAD src0_sel:WORD_0 src1_sel:DWORD
	v_mul_u32_u24_sdwa v4, v4, s29 dst_sel:DWORD dst_unused:UNUSED_PAD src0_sel:WORD_1 src1_sel:DWORD
	s_waitcnt lgkmcnt(0)
	v_pk_fma_f16 v6, v2, v8, v6
	v_pk_fma_f16 v2, v2, v4, v7
	v_mul_u32_u24_sdwa v4, v5, s29 dst_sel:DWORD dst_unused:UNUSED_PAD src0_sel:WORD_0 src1_sel:DWORD
	v_mul_u32_u24_sdwa v5, v5, s29 dst_sel:DWORD dst_unused:UNUSED_PAD src0_sel:WORD_1 src1_sel:DWORD
	v_pk_fma_f16 v8, v3, v4, v6
	v_pk_fma_f16 v9, v3, v5, v2
	ds_read2_b32 v[6:7], v62 offset1:32
	ds_read_b128 v[2:5], v54 offset:64
	s_waitcnt lgkmcnt(0)
	v_mul_u32_u24_sdwa v10, v2, s29 dst_sel:DWORD dst_unused:UNUSED_PAD src0_sel:WORD_0 src1_sel:DWORD
	v_mul_u32_u24_sdwa v2, v2, s29 dst_sel:DWORD dst_unused:UNUSED_PAD src0_sel:WORD_1 src1_sel:DWORD
	;; [unrolled: 42-line block ×15, first 2 shown]
	v_pk_fma_f16 v8, v6, v10, v8
	v_pk_fma_f16 v2, v6, v2, v9
	v_mul_u32_u24_sdwa v6, v3, s29 dst_sel:DWORD dst_unused:UNUSED_PAD src0_sel:WORD_0 src1_sel:DWORD
	v_mul_u32_u24_sdwa v3, v3, s29 dst_sel:DWORD dst_unused:UNUSED_PAD src0_sel:WORD_1 src1_sel:DWORD
	v_pk_fma_f16 v6, v7, v6, v8
	v_pk_fma_f16 v7, v7, v3, v2
	ds_read2_b32 v[2:3], v75 offset0:64 offset1:96
	v_mul_u32_u24_sdwa v8, v4, s29 dst_sel:DWORD dst_unused:UNUSED_PAD src0_sel:WORD_0 src1_sel:DWORD
	v_mul_u32_u24_sdwa v4, v4, s29 dst_sel:DWORD dst_unused:UNUSED_PAD src0_sel:WORD_1 src1_sel:DWORD
	s_waitcnt lgkmcnt(0)
	v_pk_fma_f16 v6, v2, v8, v6
	v_pk_fma_f16 v2, v2, v4, v7
	v_mul_u32_u24_sdwa v4, v5, s29 dst_sel:DWORD dst_unused:UNUSED_PAD src0_sel:WORD_0 src1_sel:DWORD
	v_mul_u32_u24_sdwa v5, v5, s29 dst_sel:DWORD dst_unused:UNUSED_PAD src0_sel:WORD_1 src1_sel:DWORD
	v_pk_fma_f16 v8, v3, v4, v6
	v_pk_fma_f16 v9, v3, v5, v2
	ds_read2_b32 v[6:7], v75 offset0:128 offset1:160
	ds_read_b128 v[2:5], v54 offset:496
	s_waitcnt lgkmcnt(0)
	v_mul_u32_u24_sdwa v10, v2, s29 dst_sel:DWORD dst_unused:UNUSED_PAD src0_sel:WORD_0 src1_sel:DWORD
	v_mul_u32_u24_sdwa v2, v2, s29 dst_sel:DWORD dst_unused:UNUSED_PAD src0_sel:WORD_1 src1_sel:DWORD
	v_pk_fma_f16 v8, v6, v10, v8
	v_pk_fma_f16 v2, v6, v2, v9
	v_mul_u32_u24_sdwa v6, v3, s29 dst_sel:DWORD dst_unused:UNUSED_PAD src0_sel:WORD_0 src1_sel:DWORD
	v_mul_u32_u24_sdwa v3, v3, s29 dst_sel:DWORD dst_unused:UNUSED_PAD src0_sel:WORD_1 src1_sel:DWORD
	v_pk_fma_f16 v6, v7, v6, v8
	v_pk_fma_f16 v7, v7, v3, v2
	ds_read2_b32 v[2:3], v75 offset0:192 offset1:224
	s_waitcnt lgkmcnt(0)
	s_barrier
	s_load_dword s6, s[4:5], 0x4
	v_mul_u32_u24_sdwa v8, v4, s29 dst_sel:DWORD dst_unused:UNUSED_PAD src0_sel:WORD_0 src1_sel:DWORD
	v_mul_u32_u24_sdwa v4, v4, s29 dst_sel:DWORD dst_unused:UNUSED_PAD src0_sel:WORD_1 src1_sel:DWORD
	v_pk_fma_f16 v6, v2, v8, v6
	v_pk_fma_f16 v2, v2, v4, v7
	s_waitcnt lgkmcnt(0)
	s_lshl_b32 s6, s6, 7
	v_mul_u32_u24_sdwa v4, v5, s29 dst_sel:DWORD dst_unused:UNUSED_PAD src0_sel:WORD_0 src1_sel:DWORD
	v_mul_u32_u24_sdwa v5, v5, s29 dst_sel:DWORD dst_unused:UNUSED_PAD src0_sel:WORD_1 src1_sel:DWORD
	s_add_i32 s2, s6, s2
	v_pk_fma_f16 v77, v3, v4, v6
	v_pk_fma_f16 v76, v3, v5, v2
	s_cmp_ge_i32 s2, s24
	s_cbranch_scc0 .LBB9_9
.LBB9_10:
	v_cmp_lt_i32_e32 vcc, v46, v41
	s_cmp_lg_u64 s[12:13], 0
	s_cselect_b64 s[4:5], -1, 0
	v_cndmask_b32_e32 v2, v31, v46, vcc
	v_lshlrev_b32_e32 v3, 2, v2
	ds_bpermute_b32 v2, v3, v26
	ds_bpermute_b32 v3, v3, v27
	v_cmp_lt_i32_e32 vcc, v45, v41
	s_cmp_eq_u32 s3, 0
	s_cselect_b64 s[6:7], -1, 0
	v_cndmask_b32_e32 v4, v31, v45, vcc
	v_lshlrev_b32_e32 v5, 2, v4
	s_waitcnt lgkmcnt(0)
	v_pk_add_f32 v[2:3], v[26:27], v[2:3]
	ds_bpermute_b32 v4, v5, v2
	ds_bpermute_b32 v5, v5, v3
	v_cmp_lt_i32_e32 vcc, v44, v41
	s_and_b64 s[4:5], s[6:7], s[4:5]
	v_lshlrev_b32_e32 v7, 1, v16
	v_cndmask_b32_e32 v6, v31, v44, vcc
	v_lshlrev_b32_e32 v6, 2, v6
	s_waitcnt lgkmcnt(0)
	v_pk_add_f32 v[2:3], v[2:3], v[4:5]
	ds_bpermute_b32 v4, v6, v2
	ds_bpermute_b32 v5, v6, v3
	v_cmp_lt_i32_e32 vcc, v43, v41
	s_waitcnt lgkmcnt(0)
	v_pk_add_f32 v[2:3], v[2:3], v[4:5]
	v_cndmask_b32_e32 v6, v31, v43, vcc
	v_lshlrev_b32_e32 v6, 2, v6
	ds_bpermute_b32 v4, v6, v2
	ds_bpermute_b32 v5, v6, v3
	v_cmp_lt_i32_e32 vcc, v42, v41
	s_waitcnt lgkmcnt(0)
	v_pk_add_f32 v[2:3], v[2:3], v[4:5]
	v_cndmask_b32_e32 v6, v31, v42, vcc
	v_lshlrev_b32_e32 v6, 2, v6
	ds_bpermute_b32 v4, v6, v2
	ds_bpermute_b32 v5, v6, v3
	s_and_b64 vcc, exec, s[4:5]
	s_waitcnt lgkmcnt(0)
	v_pk_add_f32 v[2:3], v[2:3], v[4:5]
	s_cbranch_vccz .LBB9_12
; %bb.11:
	v_add_u32_e32 v4, s25, v40
	v_ashrrev_i32_e32 v5, 31, v4
	v_lshl_add_u64 v[4:5], v[4:5], 2, s[12:13]
	global_load_dwordx2 v[4:5], v[4:5], off
	v_max_f32_e32 v6, v0, v0
	v_max_f32_e32 v9, v1, v1
	s_mov_b32 s2, 0x3fb8aa3b
	s_mov_b32 s4, 0xc2ce8ed0
	;; [unrolled: 1-line block ×3, first 2 shown]
	v_mov_b32_e32 v10, 0x7f800000
	s_waitcnt vmcnt(0)
	v_max_f32_e32 v8, v4, v4
	v_max_f32_e32 v8, v6, v8
	;; [unrolled: 1-line block ×3, first 2 shown]
	v_sub_f32_e32 v0, v0, v8
	v_max_f32_e32 v9, v9, v11
	v_sub_f32_e32 v4, v4, v8
	v_mul_f32_e32 v6, 0x3fb8aa3b, v0
	v_sub_f32_e32 v1, v1, v9
	v_mul_f32_e32 v11, 0x3fb8aa3b, v4
	v_fma_f32 v14, v0, s2, -v6
	v_rndne_f32_e32 v15, v6
	v_sub_f32_e32 v5, v5, v9
	v_mul_f32_e32 v12, 0x3fb8aa3b, v1
	v_fma_f32 v18, v4, s2, -v11
	v_rndne_f32_e32 v19, v11
	v_fmac_f32_e32 v14, 0x32a5705f, v0
	v_sub_f32_e32 v6, v6, v15
	v_mul_f32_e32 v13, 0x3fb8aa3b, v5
	v_fma_f32 v20, v1, s2, -v12
	v_rndne_f32_e32 v21, v12
	v_fmac_f32_e32 v18, 0x32a5705f, v4
	v_sub_f32_e32 v11, v11, v19
	v_add_f32_e32 v6, v6, v14
	v_fma_f32 v22, v5, s2, -v13
	v_rndne_f32_e32 v23, v13
	v_cvt_i32_f32_e32 v15, v15
	v_fmac_f32_e32 v20, 0x32a5705f, v1
	v_sub_f32_e32 v12, v12, v21
	v_add_f32_e32 v11, v11, v18
	v_exp_f32_e32 v6, v6
	v_cvt_i32_f32_e32 v19, v19
	v_fmac_f32_e32 v22, 0x32a5705f, v5
	v_sub_f32_e32 v13, v13, v23
	v_add_f32_e32 v12, v12, v20
	v_exp_f32_e32 v11, v11
	v_cvt_i32_f32_e32 v21, v21
	v_add_f32_e32 v13, v13, v22
	v_exp_f32_e32 v12, v12
	v_cvt_i32_f32_e32 v23, v23
	v_exp_f32_e32 v13, v13
	v_ldexp_f32 v6, v6, v15
	v_cmp_ngt_f32_e32 vcc, s4, v0
	v_ldexp_f32 v11, v11, v19
	v_ldexp_f32 v12, v12, v21
	v_cndmask_b32_e32 v6, 0, v6, vcc
	v_cmp_ngt_f32_e32 vcc, s4, v4
	v_ldexp_f32 v13, v13, v23
	s_nop 0
	v_cndmask_b32_e32 v11, 0, v11, vcc
	v_cmp_ngt_f32_e32 vcc, s4, v1
	s_nop 1
	v_cndmask_b32_e32 v12, 0, v12, vcc
	v_cmp_ngt_f32_e32 vcc, s4, v5
	s_nop 1
	v_cndmask_b32_e32 v13, 0, v13, vcc
	v_cmp_nlt_f32_e32 vcc, s5, v0
	s_nop 1
	v_cndmask_b32_e32 v0, v10, v6, vcc
	v_cmp_nlt_f32_e32 vcc, s5, v4
	v_cvt_f16_f32_e32 v6, v0
	s_nop 0
	v_cndmask_b32_e32 v4, v10, v11, vcc
	v_cmp_nlt_f32_e32 vcc, s5, v1
	s_nop 1
	v_cndmask_b32_e32 v1, v10, v12, vcc
	v_cvt_f16_f32_e32 v11, v1
	v_cmp_nlt_f32_e32 vcc, s5, v5
	s_nop 1
	v_cndmask_b32_e32 v5, v10, v13, vcc
	v_pk_fma_f32 v[2:3], v[2:3], v[0:1], v[4:5]
	v_mul_u32_u24_e32 v0, 0x10001, v6
	v_mul_u32_u24_e32 v1, 0x10001, v11
	v_pk_mul_f16 v77, v77, v0
	v_pk_mul_f16 v76, v76, v1
	v_mov_b64_e32 v[0:1], v[8:9]
.LBB9_12:
	v_cmp_gt_i32_e32 vcc, s22, v17
	s_and_saveexec_b64 s[4:5], vcc
	s_cbranch_execz .LBB9_21
; %bb.13:
	s_load_dword s6, s[0:1], 0xd4
	v_mov_b32_e32 v6, 1.0
	s_waitcnt lgkmcnt(0)
	s_cmp_lg_u32 s6, 1
	s_cselect_b64 s[0:1], -1, 0
	s_cmp_eq_u32 s6, 1
	s_cselect_b64 s[4:5], -1, 0
	s_and_b64 vcc, exec, s[0:1]
	s_cbranch_vccnz .LBB9_15
; %bb.14:
	v_div_scale_f32 v4, s[8:9], v2, v2, 1.0
	v_rcp_f32_e32 v5, v4
	v_div_scale_f32 v6, vcc, 1.0, v2, 1.0
	v_fma_f32 v8, -v4, v5, 1.0
	v_fmac_f32_e32 v5, v8, v5
	v_mul_f32_e32 v8, v6, v5
	v_fma_f32 v9, -v4, v8, v6
	v_fmac_f32_e32 v8, v9, v5
	v_fma_f32 v4, -v4, v8, v6
	v_div_fmas_f32 v4, v4, v5, v8
	v_div_fixup_f32 v6, v4, v2, 1.0
.LBB9_15:
	s_mul_i32 s30, s30, s22
	v_add_u32_e32 v4, s30, v17
	v_mul_lo_u32 v4, v4, s23
	v_add3_u32 v4, s25, v40, v4
	v_cvt_f32_f16_sdwa v9, v77 dst_sel:DWORD dst_unused:UNUSED_PAD src0_sel:WORD_1
	v_cvt_f32_f16_e32 v8, v77
	v_mul_lo_u32 v4, s6, v4
	v_add_u32_e32 v4, s3, v4
	v_cmp_eq_u32_e32 vcc, 0, v16
	v_lshl_add_u32 v10, v4, 6, v7
	v_mov_b32_e32 v11, 0
	s_and_b64 s[0:1], vcc, s[0:1]
	v_lshl_add_u64 v[10:11], v[10:11], 2, s[16:17]
	v_pk_mul_f32 v[8:9], v[6:7], v[8:9] op_sel_hi:[0,1]
	global_store_dwordx2 v[10:11], v[8:9], off
	s_and_saveexec_b64 s[2:3], s[0:1]
	s_cbranch_execz .LBB9_17
; %bb.16:
	v_ashrrev_i32_e32 v5, 31, v4
	v_lshl_add_u64 v[8:9], v[4:5], 3, s[18:19]
	v_mov_b32_e32 v10, v0
	v_mov_b32_e32 v11, v2
	global_store_dwordx2 v[8:9], v[10:11], off
.LBB9_17:
	s_or_b64 exec, exec, s[2:3]
	s_andn2_b64 vcc, exec, s[4:5]
	v_mov_b32_e32 v0, 1.0
	s_cbranch_vccnz .LBB9_19
; %bb.18:
	v_div_scale_f32 v0, s[2:3], v3, v3, 1.0
	v_rcp_f32_e32 v2, v0
	v_div_scale_f32 v5, vcc, 1.0, v3, 1.0
	v_fma_f32 v6, -v0, v2, 1.0
	v_fmac_f32_e32 v2, v6, v2
	v_mul_f32_e32 v6, v5, v2
	v_fma_f32 v8, -v0, v6, v5
	v_fmac_f32_e32 v6, v8, v2
	v_fma_f32 v0, -v0, v6, v5
	v_div_fmas_f32 v0, v0, v2, v6
	v_div_fixup_f32 v0, v0, v3, 1.0
.LBB9_19:
	v_cvt_f32_f16_sdwa v9, v76 dst_sel:DWORD dst_unused:UNUSED_PAD src0_sel:WORD_1
	v_cvt_f32_f16_e32 v8, v76
	v_add_u32_e32 v4, s6, v4
	v_lshl_add_u32 v6, v4, 6, v7
	v_mov_b32_e32 v7, 0
	v_lshl_add_u64 v[6:7], v[6:7], 2, s[16:17]
	v_pk_mul_f32 v[8:9], v[0:1], v[8:9] op_sel_hi:[0,1]
	global_store_dwordx2 v[6:7], v[8:9], off
	s_and_b64 exec, exec, s[0:1]
	s_cbranch_execz .LBB9_21
; %bb.20:
	v_ashrrev_i32_e32 v5, 31, v4
	v_lshl_add_u64 v[4:5], v[4:5], 3, s[18:19]
	v_mov_b32_e32 v2, v1
	global_store_dwordx2 v[4:5], v[2:3], off
.LBB9_21:
	s_endpgm
	.section	.rodata,"a",@progbits
	.p2align	6, 0x0
	.amdhsa_kernel _ZL15flash_attn_tileILi64ELi64ELi2ELi8ELb0EEvPKcS1_S1_S1_S1_PKiPfP15HIP_vector_typeIfLj2EEffffjfiS5_IjLj3EEiiiiiiiiiiiliiliiiiil
		.amdhsa_group_segment_fixed_size 24576
		.amdhsa_private_segment_fixed_size 0
		.amdhsa_kernarg_size 464
		.amdhsa_user_sgpr_count 2
		.amdhsa_user_sgpr_dispatch_ptr 0
		.amdhsa_user_sgpr_queue_ptr 0
		.amdhsa_user_sgpr_kernarg_segment_ptr 1
		.amdhsa_user_sgpr_dispatch_id 0
		.amdhsa_user_sgpr_kernarg_preload_length 0
		.amdhsa_user_sgpr_kernarg_preload_offset 0
		.amdhsa_user_sgpr_private_segment_size 0
		.amdhsa_uses_dynamic_stack 0
		.amdhsa_enable_private_segment 0
		.amdhsa_system_sgpr_workgroup_id_x 1
		.amdhsa_system_sgpr_workgroup_id_y 1
		.amdhsa_system_sgpr_workgroup_id_z 1
		.amdhsa_system_sgpr_workgroup_info 0
		.amdhsa_system_vgpr_workitem_id 1
		.amdhsa_next_free_vgpr 102
		.amdhsa_next_free_sgpr 91
		.amdhsa_accum_offset 104
		.amdhsa_reserve_vcc 1
		.amdhsa_float_round_mode_32 0
		.amdhsa_float_round_mode_16_64 0
		.amdhsa_float_denorm_mode_32 3
		.amdhsa_float_denorm_mode_16_64 3
		.amdhsa_dx10_clamp 1
		.amdhsa_ieee_mode 1
		.amdhsa_fp16_overflow 0
		.amdhsa_tg_split 0
		.amdhsa_exception_fp_ieee_invalid_op 0
		.amdhsa_exception_fp_denorm_src 0
		.amdhsa_exception_fp_ieee_div_zero 0
		.amdhsa_exception_fp_ieee_overflow 0
		.amdhsa_exception_fp_ieee_underflow 0
		.amdhsa_exception_fp_ieee_inexact 0
		.amdhsa_exception_int_div_zero 0
	.end_amdhsa_kernel
	.section	.text._ZL15flash_attn_tileILi64ELi64ELi2ELi8ELb0EEvPKcS1_S1_S1_S1_PKiPfP15HIP_vector_typeIfLj2EEffffjfiS5_IjLj3EEiiiiiiiiiiiliiliiiiil,"axG",@progbits,_ZL15flash_attn_tileILi64ELi64ELi2ELi8ELb0EEvPKcS1_S1_S1_S1_PKiPfP15HIP_vector_typeIfLj2EEffffjfiS5_IjLj3EEiiiiiiiiiiiliiliiiiil,comdat
.Lfunc_end9:
	.size	_ZL15flash_attn_tileILi64ELi64ELi2ELi8ELb0EEvPKcS1_S1_S1_S1_PKiPfP15HIP_vector_typeIfLj2EEffffjfiS5_IjLj3EEiiiiiiiiiiiliiliiiiil, .Lfunc_end9-_ZL15flash_attn_tileILi64ELi64ELi2ELi8ELb0EEvPKcS1_S1_S1_S1_PKiPfP15HIP_vector_typeIfLj2EEffffjfiS5_IjLj3EEiiiiiiiiiiiliiliiiiil
                                        ; -- End function
	.set _ZL15flash_attn_tileILi64ELi64ELi2ELi8ELb0EEvPKcS1_S1_S1_S1_PKiPfP15HIP_vector_typeIfLj2EEffffjfiS5_IjLj3EEiiiiiiiiiiiliiliiiiil.num_vgpr, 102
	.set _ZL15flash_attn_tileILi64ELi64ELi2ELi8ELb0EEvPKcS1_S1_S1_S1_PKiPfP15HIP_vector_typeIfLj2EEffffjfiS5_IjLj3EEiiiiiiiiiiiliiliiiiil.num_agpr, 0
	.set _ZL15flash_attn_tileILi64ELi64ELi2ELi8ELb0EEvPKcS1_S1_S1_S1_PKiPfP15HIP_vector_typeIfLj2EEffffjfiS5_IjLj3EEiiiiiiiiiiiliiliiiiil.numbered_sgpr, 40
	.set _ZL15flash_attn_tileILi64ELi64ELi2ELi8ELb0EEvPKcS1_S1_S1_S1_PKiPfP15HIP_vector_typeIfLj2EEffffjfiS5_IjLj3EEiiiiiiiiiiiliiliiiiil.num_named_barrier, 0
	.set _ZL15flash_attn_tileILi64ELi64ELi2ELi8ELb0EEvPKcS1_S1_S1_S1_PKiPfP15HIP_vector_typeIfLj2EEffffjfiS5_IjLj3EEiiiiiiiiiiiliiliiiiil.private_seg_size, 0
	.set _ZL15flash_attn_tileILi64ELi64ELi2ELi8ELb0EEvPKcS1_S1_S1_S1_PKiPfP15HIP_vector_typeIfLj2EEffffjfiS5_IjLj3EEiiiiiiiiiiiliiliiiiil.uses_vcc, 1
	.set _ZL15flash_attn_tileILi64ELi64ELi2ELi8ELb0EEvPKcS1_S1_S1_S1_PKiPfP15HIP_vector_typeIfLj2EEffffjfiS5_IjLj3EEiiiiiiiiiiiliiliiiiil.uses_flat_scratch, 0
	.set _ZL15flash_attn_tileILi64ELi64ELi2ELi8ELb0EEvPKcS1_S1_S1_S1_PKiPfP15HIP_vector_typeIfLj2EEffffjfiS5_IjLj3EEiiiiiiiiiiiliiliiiiil.has_dyn_sized_stack, 0
	.set _ZL15flash_attn_tileILi64ELi64ELi2ELi8ELb0EEvPKcS1_S1_S1_S1_PKiPfP15HIP_vector_typeIfLj2EEffffjfiS5_IjLj3EEiiiiiiiiiiiliiliiiiil.has_recursion, 0
	.set _ZL15flash_attn_tileILi64ELi64ELi2ELi8ELb0EEvPKcS1_S1_S1_S1_PKiPfP15HIP_vector_typeIfLj2EEffffjfiS5_IjLj3EEiiiiiiiiiiiliiliiiiil.has_indirect_call, 0
	.section	.AMDGPU.csdata,"",@progbits
; Kernel info:
; codeLenInByte = 14948
; TotalNumSgprs: 46
; NumVgprs: 102
; NumAgprs: 0
; TotalNumVgprs: 102
; ScratchSize: 0
; MemoryBound: 0
; FloatMode: 240
; IeeeMode: 1
; LDSByteSize: 24576 bytes/workgroup (compile time only)
; SGPRBlocks: 12
; VGPRBlocks: 12
; NumSGPRsForWavesPerEU: 97
; NumVGPRsForWavesPerEU: 102
; AccumOffset: 104
; Occupancy: 4
; WaveLimiterHint : 1
; COMPUTE_PGM_RSRC2:SCRATCH_EN: 0
; COMPUTE_PGM_RSRC2:USER_SGPR: 2
; COMPUTE_PGM_RSRC2:TRAP_HANDLER: 0
; COMPUTE_PGM_RSRC2:TGID_X_EN: 1
; COMPUTE_PGM_RSRC2:TGID_Y_EN: 1
; COMPUTE_PGM_RSRC2:TGID_Z_EN: 1
; COMPUTE_PGM_RSRC2:TIDIG_COMP_CNT: 1
; COMPUTE_PGM_RSRC3_GFX90A:ACCUM_OFFSET: 25
; COMPUTE_PGM_RSRC3_GFX90A:TG_SPLIT: 0
	.section	.text._ZL25flash_attn_mask_to_KV_maxILi2EEvPK7__half2Piiii,"axG",@progbits,_ZL25flash_attn_mask_to_KV_maxILi2EEvPK7__half2Piiii,comdat
	.globl	_ZL25flash_attn_mask_to_KV_maxILi2EEvPK7__half2Piiii ; -- Begin function _ZL25flash_attn_mask_to_KV_maxILi2EEvPK7__half2Piiii
	.p2align	8
	.type	_ZL25flash_attn_mask_to_KV_maxILi2EEvPK7__half2Piiii,@function
_ZL25flash_attn_mask_to_KV_maxILi2EEvPK7__half2Piiii: ; @_ZL25flash_attn_mask_to_KV_maxILi2EEvPK7__half2Piiii
; %bb.0:
	s_load_dwordx4 s[4:7], s[0:1], 0x0
	v_cmp_gt_u32_e32 vcc, 32, v0
	s_and_saveexec_b64 s[8:9], vcc
; %bb.1:
	v_lshlrev_b32_e32 v1, 2, v0
	v_mov_b32_e32 v2, 1
	ds_write_b32 v1, v2
; %bb.2:
	s_or_b64 exec, exec, s[8:9]
	s_load_dwordx4 s[8:11], s[0:1], 0x10
	s_load_dword s16, s[0:1], 0x20
	v_and_b32_e32 v2, 31, v0
	v_lshlrev_b32_e32 v4, 2, v2
	v_lshrrev_b32_e32 v1, 3, v0
	s_waitcnt lgkmcnt(0)
	s_mul_i32 s1, s2, s9
	s_mul_i32 s0, s10, s3
	s_lshl_b32 s1, s1, 1
	s_add_i32 s0, s0, s1
	s_ashr_i32 s1, s0, 31
	s_lshl_b64 s[0:1], s[0:1], 2
	s_add_u32 s10, s4, s0
	s_addc_u32 s11, s5, s1
	v_cmp_eq_u32_e64 s[0:1], 0, v2
	v_mbcnt_lo_u32_b32 v2, -1, 0
	v_mbcnt_hi_u32_b32 v5, -1, v2
	v_and_b32_e32 v2, 0x60, v5
	s_lshl_b32 s8, s8, 8
	s_mov_b64 s[12:13], 0
	v_mov_b32_e32 v3, 0
	s_movk_i32 s17, 0x204
	v_add_u32_e32 v6, 32, v2
	v_xor_b32_e32 v7, 16, v5
	v_xor_b32_e32 v8, 8, v5
	;; [unrolled: 1-line block ×5, first 2 shown]
	s_barrier
                                        ; implicit-def: $sgpr4_sgpr5
	s_branch .LBB10_5
.LBB10_3:                               ;   in Loop: Header=BB10_5 Depth=1
	s_or_b64 exec, exec, s[14:15]
	s_waitcnt lgkmcnt(0)
	s_barrier
	ds_read_b32 v16, v4
	s_waitcnt lgkmcnt(0)
	s_barrier
	ds_bpermute_b32 v2, v2, v16
	v_cmp_ne_u32_e32 vcc, 0, v16
	s_waitcnt lgkmcnt(0)
	v_cmp_ne_u32_e64 s[4:5], 0, v2
	s_and_b64 s[4:5], vcc, s[4:5]
	s_nop 0
	v_cndmask_b32_e64 v2, 0, 1, s[4:5]
	ds_bpermute_b32 v2, v12, v2
	s_waitcnt lgkmcnt(0)
	v_cmp_ne_u32_e32 vcc, 0, v2
	s_and_b64 s[4:5], vcc, s[4:5]
	v_cndmask_b32_e64 v2, 0, 1, s[4:5]
	ds_bpermute_b32 v2, v13, v2
	s_waitcnt lgkmcnt(0)
	v_cmp_ne_u32_e32 vcc, 0, v2
	s_and_b64 s[4:5], vcc, s[4:5]
	;; [unrolled: 5-line block ×3, first 2 shown]
	v_cndmask_b32_e64 v2, 0, 1, s[4:5]
	ds_bpermute_b32 v2, v15, v2
	s_xor_b64 s[4:5], s[4:5], -1
	s_waitcnt lgkmcnt(0)
	v_cmp_eq_u32_e32 vcc, 0, v2
	s_or_b64 s[4:5], vcc, s[4:5]
.LBB10_4:                               ;   in Loop: Header=BB10_5 Depth=1
	s_and_b64 s[14:15], exec, s[4:5]
	s_or_b64 s[12:13], s[14:15], s[12:13]
	v_mov_b32_e32 v2, s8
	s_mov_b32 s8, s18
	s_andn2_b64 exec, exec, s[12:13]
	s_cbranch_execz .LBB10_12
.LBB10_5:                               ; =>This Inner Loop Header: Depth=1
	s_add_i32 s18, s8, 0xffffff00
	s_or_b64 s[4:5], s[4:5], exec
	s_cmp_lt_i32 s18, 0
	s_cbranch_scc1 .LBB10_4
; %bb.6:                                ;   in Loop: Header=BB10_5 Depth=1
	s_lshr_b32 s4, s18, 1
	v_add_u32_e32 v2, s4, v0
	v_lshl_add_u64 v[12:13], v[2:3], 2, s[10:11]
	global_load_dword v12, v[12:13], off
	s_waitcnt vmcnt(0)
	v_cmp_class_f16_e64 s[4:5], v12, s17
	v_cmp_class_f16_sdwa s[14:15], v12, s17 src0_sel:WORD_1 src1_sel:DWORD
	s_and_b64 s[14:15], s[4:5], s[14:15]
	v_mov_b32_e32 v12, 0
	s_and_saveexec_b64 s[4:5], s[14:15]
	s_cbranch_execz .LBB10_10
; %bb.7:                                ;   in Loop: Header=BB10_5 Depth=1
	v_add_u32_e32 v12, s9, v2
	v_ashrrev_i32_e32 v13, 31, v12
	v_lshl_add_u64 v[12:13], v[12:13], 2, s[10:11]
	global_load_dword v2, v[12:13], off
	v_mov_b32_e32 v12, 0
	s_waitcnt vmcnt(0)
	v_cmp_class_f16_e64 s[20:21], v2, s17
	s_and_saveexec_b64 s[14:15], s[20:21]
; %bb.8:                                ;   in Loop: Header=BB10_5 Depth=1
	v_cmp_class_f16_sdwa s[20:21], v2, s17 src0_sel:WORD_1 src1_sel:DWORD
	s_nop 1
	v_cndmask_b32_e64 v12, 0, 1, s[20:21]
; %bb.9:                                ;   in Loop: Header=BB10_5 Depth=1
	s_or_b64 exec, exec, s[14:15]
.LBB10_10:                              ;   in Loop: Header=BB10_5 Depth=1
	s_or_b64 exec, exec, s[4:5]
	v_cmp_lt_i32_e32 vcc, v7, v6
	s_nop 1
	v_cndmask_b32_e32 v2, v5, v7, vcc
	v_lshlrev_b32_e32 v2, 2, v2
	ds_bpermute_b32 v13, v2, v12
	v_cmp_ne_u32_e32 vcc, 0, v12
	s_waitcnt lgkmcnt(0)
	v_cmp_ne_u32_e64 s[4:5], 0, v13
	s_and_b64 s[4:5], vcc, s[4:5]
	v_cmp_lt_i32_e32 vcc, v8, v6
	v_cndmask_b32_e64 v13, 0, 1, s[4:5]
	s_nop 0
	v_cndmask_b32_e32 v12, v5, v8, vcc
	v_lshlrev_b32_e32 v12, 2, v12
	ds_bpermute_b32 v13, v12, v13
	s_waitcnt lgkmcnt(0)
	v_cmp_ne_u32_e32 vcc, 0, v13
	s_and_b64 s[4:5], vcc, s[4:5]
	v_cmp_lt_i32_e32 vcc, v9, v6
	v_cndmask_b32_e64 v14, 0, 1, s[4:5]
	s_nop 0
	v_cndmask_b32_e32 v13, v5, v9, vcc
	v_lshlrev_b32_e32 v13, 2, v13
	ds_bpermute_b32 v14, v13, v14
	s_waitcnt lgkmcnt(0)
	v_cmp_ne_u32_e32 vcc, 0, v14
	;; [unrolled: 9-line block ×3, first 2 shown]
	s_and_b64 s[4:5], vcc, s[4:5]
	v_cmp_lt_i32_e32 vcc, v11, v6
	v_cndmask_b32_e64 v16, 0, 1, s[4:5]
	s_nop 0
	v_cndmask_b32_e32 v15, v5, v11, vcc
	v_lshlrev_b32_e32 v15, 2, v15
	ds_bpermute_b32 v16, v15, v16
	s_and_saveexec_b64 s[14:15], s[0:1]
	s_cbranch_execz .LBB10_3
; %bb.11:                               ;   in Loop: Header=BB10_5 Depth=1
	s_waitcnt lgkmcnt(0)
	v_cmp_ne_u32_e32 vcc, 0, v16
	s_and_b64 s[4:5], vcc, s[4:5]
	v_cndmask_b32_e64 v16, 0, 1, s[4:5]
	ds_write_b32 v1, v16
	s_branch .LBB10_3
.LBB10_12:
	s_or_b64 exec, exec, s[12:13]
	v_cmp_eq_u32_e32 vcc, 0, v0
	s_and_saveexec_b64 s[0:1], vcc
	s_cbranch_execz .LBB10_14
; %bb.13:
	s_mul_i32 s0, s16, s3
	s_add_i32 s0, s0, s2
	s_ashr_i32 s1, s0, 31
	s_lshl_b64 s[0:1], s[0:1], 2
	s_add_u32 s0, s6, s0
	s_addc_u32 s1, s7, s1
	v_mov_b32_e32 v0, 0
	global_store_dword v0, v2, s[0:1]
.LBB10_14:
	s_endpgm
	.section	.rodata,"a",@progbits
	.p2align	6, 0x0
	.amdhsa_kernel _ZL25flash_attn_mask_to_KV_maxILi2EEvPK7__half2Piiii
		.amdhsa_group_segment_fixed_size 128
		.amdhsa_private_segment_fixed_size 0
		.amdhsa_kernarg_size 288
		.amdhsa_user_sgpr_count 2
		.amdhsa_user_sgpr_dispatch_ptr 0
		.amdhsa_user_sgpr_queue_ptr 0
		.amdhsa_user_sgpr_kernarg_segment_ptr 1
		.amdhsa_user_sgpr_dispatch_id 0
		.amdhsa_user_sgpr_kernarg_preload_length 0
		.amdhsa_user_sgpr_kernarg_preload_offset 0
		.amdhsa_user_sgpr_private_segment_size 0
		.amdhsa_uses_dynamic_stack 0
		.amdhsa_enable_private_segment 0
		.amdhsa_system_sgpr_workgroup_id_x 1
		.amdhsa_system_sgpr_workgroup_id_y 1
		.amdhsa_system_sgpr_workgroup_id_z 0
		.amdhsa_system_sgpr_workgroup_info 0
		.amdhsa_system_vgpr_workitem_id 0
		.amdhsa_next_free_vgpr 17
		.amdhsa_next_free_sgpr 22
		.amdhsa_accum_offset 20
		.amdhsa_reserve_vcc 1
		.amdhsa_float_round_mode_32 0
		.amdhsa_float_round_mode_16_64 0
		.amdhsa_float_denorm_mode_32 3
		.amdhsa_float_denorm_mode_16_64 3
		.amdhsa_dx10_clamp 1
		.amdhsa_ieee_mode 1
		.amdhsa_fp16_overflow 0
		.amdhsa_tg_split 0
		.amdhsa_exception_fp_ieee_invalid_op 0
		.amdhsa_exception_fp_denorm_src 0
		.amdhsa_exception_fp_ieee_div_zero 0
		.amdhsa_exception_fp_ieee_overflow 0
		.amdhsa_exception_fp_ieee_underflow 0
		.amdhsa_exception_fp_ieee_inexact 0
		.amdhsa_exception_int_div_zero 0
	.end_amdhsa_kernel
	.section	.text._ZL25flash_attn_mask_to_KV_maxILi2EEvPK7__half2Piiii,"axG",@progbits,_ZL25flash_attn_mask_to_KV_maxILi2EEvPK7__half2Piiii,comdat
.Lfunc_end10:
	.size	_ZL25flash_attn_mask_to_KV_maxILi2EEvPK7__half2Piiii, .Lfunc_end10-_ZL25flash_attn_mask_to_KV_maxILi2EEvPK7__half2Piiii
                                        ; -- End function
	.set _ZL25flash_attn_mask_to_KV_maxILi2EEvPK7__half2Piiii.num_vgpr, 17
	.set _ZL25flash_attn_mask_to_KV_maxILi2EEvPK7__half2Piiii.num_agpr, 0
	.set _ZL25flash_attn_mask_to_KV_maxILi2EEvPK7__half2Piiii.numbered_sgpr, 22
	.set _ZL25flash_attn_mask_to_KV_maxILi2EEvPK7__half2Piiii.num_named_barrier, 0
	.set _ZL25flash_attn_mask_to_KV_maxILi2EEvPK7__half2Piiii.private_seg_size, 0
	.set _ZL25flash_attn_mask_to_KV_maxILi2EEvPK7__half2Piiii.uses_vcc, 1
	.set _ZL25flash_attn_mask_to_KV_maxILi2EEvPK7__half2Piiii.uses_flat_scratch, 0
	.set _ZL25flash_attn_mask_to_KV_maxILi2EEvPK7__half2Piiii.has_dyn_sized_stack, 0
	.set _ZL25flash_attn_mask_to_KV_maxILi2EEvPK7__half2Piiii.has_recursion, 0
	.set _ZL25flash_attn_mask_to_KV_maxILi2EEvPK7__half2Piiii.has_indirect_call, 0
	.section	.AMDGPU.csdata,"",@progbits
; Kernel info:
; codeLenInByte = 836
; TotalNumSgprs: 28
; NumVgprs: 17
; NumAgprs: 0
; TotalNumVgprs: 17
; ScratchSize: 0
; MemoryBound: 0
; FloatMode: 240
; IeeeMode: 1
; LDSByteSize: 128 bytes/workgroup (compile time only)
; SGPRBlocks: 3
; VGPRBlocks: 2
; NumSGPRsForWavesPerEU: 28
; NumVGPRsForWavesPerEU: 17
; AccumOffset: 20
; Occupancy: 8
; WaveLimiterHint : 0
; COMPUTE_PGM_RSRC2:SCRATCH_EN: 0
; COMPUTE_PGM_RSRC2:USER_SGPR: 2
; COMPUTE_PGM_RSRC2:TRAP_HANDLER: 0
; COMPUTE_PGM_RSRC2:TGID_X_EN: 1
; COMPUTE_PGM_RSRC2:TGID_Y_EN: 1
; COMPUTE_PGM_RSRC2:TGID_Z_EN: 0
; COMPUTE_PGM_RSRC2:TIDIG_COMP_CNT: 0
; COMPUTE_PGM_RSRC3_GFX90A:ACCUM_OFFSET: 4
; COMPUTE_PGM_RSRC3_GFX90A:TG_SPLIT: 0
	.section	.text._ZL33flash_attn_stream_k_fixup_uniformILi64ELi2ELi8EEvPfPK15HIP_vector_typeIfLj2EEiiiiiiS1_IjLj3EES5_S5_,"axG",@progbits,_ZL33flash_attn_stream_k_fixup_uniformILi64ELi2ELi8EEvPfPK15HIP_vector_typeIfLj2EEiiiiiiS1_IjLj3EES5_S5_,comdat
	.globl	_ZL33flash_attn_stream_k_fixup_uniformILi64ELi2ELi8EEvPfPK15HIP_vector_typeIfLj2EEiiiiiiS1_IjLj3EES5_S5_ ; -- Begin function _ZL33flash_attn_stream_k_fixup_uniformILi64ELi2ELi8EEvPfPK15HIP_vector_typeIfLj2EEiiiiiiS1_IjLj3EES5_S5_
	.p2align	8
	.type	_ZL33flash_attn_stream_k_fixup_uniformILi64ELi2ELi8EEvPfPK15HIP_vector_typeIfLj2EEiiiiiiS1_IjLj3EES5_S5_,@function
_ZL33flash_attn_stream_k_fixup_uniformILi64ELi2ELi8EEvPfPK15HIP_vector_typeIfLj2EEiiiiiiS1_IjLj3EES5_S5_: ; @_ZL33flash_attn_stream_k_fixup_uniformILi64ELi2ELi8EEvPfPK15HIP_vector_typeIfLj2EEiiiiiiS1_IjLj3EES5_S5_
; %bb.0:
	s_load_dwordx8 s[8:15], s[0:1], 0x1c
	s_load_dwordx2 s[6:7], s[0:1], 0x10
	s_load_dwordx4 s[20:23], s[0:1], 0x3c
	s_waitcnt lgkmcnt(0)
	s_mul_hi_u32 s5, s11, s2
	s_add_i32 s5, s2, s5
	s_lshr_b32 s5, s5, s12
	s_mul_i32 s11, s5, s13
	s_sub_i32 s11, s2, s11
	s_mul_hi_u32 s12, s11, s14
	s_add_i32 s12, s11, s12
	s_lshr_b32 s16, s12, s15
	s_mul_i32 s12, s16, s20
	s_sub_i32 s11, s11, s12
	;; [unrolled: 5-line block ×3, first 2 shown]
	s_lshl_b32 s11, s12, 3
	s_lshl_b32 s12, s17, 1
	s_add_i32 s12, s12, s3
	s_cmp_lt_i32 s12, s6
	s_cselect_b64 s[12:13], -1, 0
	s_add_i32 s14, s11, s4
	s_cmp_lt_i32 s14, s9
	s_cselect_b64 s[14:15], -1, 0
	s_and_b64 s[12:13], s[12:13], s[14:15]
	s_andn2_b64 vcc, exec, s[12:13]
	s_cbranch_vccnz .LBB11_6
; %bb.1:
	s_load_dwordx4 s[12:15], s[0:1], 0x0
	s_mul_i32 s0, s5, s6
	s_add_i32 s0, s0, s3
	s_mul_i32 s0, s0, s7
	s_mul_i32 s16, s16, s9
	s_add_i32 s0, s0, s4
	s_add_i32 s0, s0, s16
	s_mul_i32 s1, s7, s17
	s_add_i32 s0, s0, s11
	s_lshl_b32 s1, s1, 7
	s_lshl_b32 s0, s0, 6
	s_add_i32 s1, s1, s0
	v_or_b32_e32 v4, s1, v0
	s_waitcnt lgkmcnt(0)
	v_mov_b32_e32 v2, s12
	v_mov_b32_e32 v3, s13
	v_ashrrev_i32_e32 v5, 31, v4
	v_lshl_add_u64 v[2:3], v[4:5], 2, v[2:3]
	global_load_dword v5, v[2:3], off
	s_mul_i32 s5, s10, s2
	s_lshl_b32 s11, s3, 3
	s_add_i32 s9, s5, s10
	s_add_i32 s0, s11, s4
	s_lshl_b32 s1, s9, 4
	s_add_i32 s0, s0, s1
	s_add_i32 s0, s0, -16
	s_ashr_i32 s1, s0, 31
	s_lshl_b64 s[0:1], s[0:1], 3
	s_add_u32 s0, s14, s0
	s_addc_u32 s1, s15, s1
	s_load_dword s12, s[0:1], 0x4
	s_add_i32 s6, s9, -2
	s_cmp_lt_i32 s6, s5
	s_cbranch_scc1 .LBB11_4
; %bb.2:
	s_lshl_b32 s6, s8, 6
	s_ashr_i32 s7, s6, 31
	s_lshl_b64 s[6:7], s[6:7], 2
	s_add_u32 s6, s14, s6
	s_addc_u32 s7, s15, s7
	s_add_i32 s2, s2, 1
	s_load_dword s0, s[0:1], 0x0
	s_mul_i32 s1, s10, s2
	s_lshl_b32 s3, s3, 9
	s_lshl_b32 s10, s4, 6
	;; [unrolled: 1-line block ×3, first 2 shown]
	s_add_i32 s3, s10, s3
	s_lshl_b32 s1, s1, 4
	s_add_i32 s3, s3, s2
	s_add_i32 s1, s4, s1
	s_lshl_b32 s2, s8, 4
	s_add_i32 s1, s1, s2
	v_or_b32_e32 v0, s3, v0
	s_add_i32 s1, s1, s11
	s_add_i32 s9, s9, -1
	v_add_u32_e32 v0, 0xfffff800, v0
	s_sub_i32 s2, s1, 32
	s_waitcnt lgkmcnt(0)
	v_mov_b32_e32 v7, s0
	v_mov_b32_e32 v4, s12
	s_mov_b32 s4, 0x3fb8aa3b
	s_mov_b32 s8, 0xc2ce8ed0
	s_mov_b32 s10, 0x42b17218
	v_mov_b32_e32 v6, 0x7f800000
	s_mov_b32 s11, 0xc1a00000
.LBB11_3:                               ; =>This Inner Loop Header: Depth=1
	v_ashrrev_i32_e32 v1, 31, v0
	v_lshl_add_u64 v[8:9], v[0:1], 2, s[6:7]
	global_load_dword v9, v[8:9], off
	s_ashr_i32 s3, s2, 31
	s_lshl_b64 s[0:1], s[2:3], 3
	s_add_u32 s0, s14, s0
	s_addc_u32 s1, s15, s1
	s_load_dwordx2 s[0:1], s[0:1], 0x0
	v_max_f32_e32 v1, v7, v7
	s_add_i32 s9, s9, -1
	s_add_i32 s2, s2, -16
	v_add_u32_e32 v0, 0xfffffc00, v0
	s_waitcnt lgkmcnt(0)
	v_max_f32_e64 v10, s0, s0
	v_max_f32_e32 v1, v1, v10
	v_sub_f32_e32 v11, s0, v1
	v_sub_f32_e32 v10, v7, v1
	v_mul_f32_e32 v12, 0x3fb8aa3b, v11
	v_mov_b32_e32 v7, v1
	v_mul_f32_e32 v1, 0x3fb8aa3b, v10
	v_fma_f32 v15, v11, s4, -v12
	v_rndne_f32_e32 v16, v12
	v_fma_f32 v13, v10, s4, -v1
	v_rndne_f32_e32 v14, v1
	v_fmac_f32_e32 v15, 0x32a5705f, v11
	v_sub_f32_e32 v12, v12, v16
	v_fmac_f32_e32 v13, 0x32a5705f, v10
	v_sub_f32_e32 v1, v1, v14
	v_add_f32_e32 v12, v12, v15
	v_cvt_i32_f32_e32 v16, v16
	v_add_f32_e32 v1, v1, v13
	v_exp_f32_e32 v12, v12
	v_cvt_i32_f32_e32 v14, v14
	v_exp_f32_e32 v1, v1
	v_cmp_ngt_f32_e32 vcc, s8, v11
	v_ldexp_f32 v12, v12, v16
	v_mov_b32_e32 v8, s1
	v_ldexp_f32 v1, v1, v14
	v_cmp_ngt_f32_e64 s[0:1], s8, v10
	v_cndmask_b32_e32 v12, 0, v12, vcc
	v_cmp_nlt_f32_e32 vcc, s10, v11
	v_cndmask_b32_e64 v1, 0, v1, s[0:1]
	v_cmp_nlt_f32_e64 s[0:1], s10, v10
	v_cndmask_b32_e32 v12, v6, v12, vcc
	v_cmp_le_f32_e32 vcc, s11, v11
	v_cndmask_b32_e64 v1, v6, v1, s[0:1]
	v_cmp_le_f32_e64 s[0:1], s11, v10
	v_cndmask_b32_e32 v12, 0, v12, vcc
	s_cmp_le_i32 s9, s5
	v_cndmask_b32_e64 v10, 0, v1, s[0:1]
	s_waitcnt vmcnt(0)
	v_pk_mul_f32 v[8:9], v[8:9], v[12:13] op_sel_hi:[1,0]
	s_nop 0
	v_pk_fma_f32 v[4:5], v[4:5], v[10:11], v[8:9] op_sel_hi:[1,0,1]
	s_cbranch_scc0 .LBB11_3
	s_branch .LBB11_5
.LBB11_4:
	s_waitcnt lgkmcnt(0)
	v_mov_b32_e32 v4, s12
.LBB11_5:
	s_waitcnt vmcnt(0)
	v_div_scale_f32 v0, s[0:1], v4, v4, v5
	v_rcp_f32_e32 v1, v0
	v_div_scale_f32 v6, vcc, v5, v4, v5
	v_fma_f32 v7, -v0, v1, 1.0
	v_fmac_f32_e32 v1, v7, v1
	v_mul_f32_e32 v7, v6, v1
	v_fma_f32 v8, -v0, v7, v6
	v_fmac_f32_e32 v7, v8, v1
	v_fma_f32 v0, -v0, v7, v6
	v_div_fmas_f32 v0, v0, v1, v7
	v_div_fixup_f32 v0, v0, v4, v5
	global_store_dword v[2:3], v0, off
.LBB11_6:
	s_endpgm
	.section	.rodata,"a",@progbits
	.p2align	6, 0x0
	.amdhsa_kernel _ZL33flash_attn_stream_k_fixup_uniformILi64ELi2ELi8EEvPfPK15HIP_vector_typeIfLj2EEiiiiiiS1_IjLj3EES5_S5_
		.amdhsa_group_segment_fixed_size 0
		.amdhsa_private_segment_fixed_size 0
		.amdhsa_kernarg_size 76
		.amdhsa_user_sgpr_count 2
		.amdhsa_user_sgpr_dispatch_ptr 0
		.amdhsa_user_sgpr_queue_ptr 0
		.amdhsa_user_sgpr_kernarg_segment_ptr 1
		.amdhsa_user_sgpr_dispatch_id 0
		.amdhsa_user_sgpr_kernarg_preload_length 0
		.amdhsa_user_sgpr_kernarg_preload_offset 0
		.amdhsa_user_sgpr_private_segment_size 0
		.amdhsa_uses_dynamic_stack 0
		.amdhsa_enable_private_segment 0
		.amdhsa_system_sgpr_workgroup_id_x 1
		.amdhsa_system_sgpr_workgroup_id_y 1
		.amdhsa_system_sgpr_workgroup_id_z 1
		.amdhsa_system_sgpr_workgroup_info 0
		.amdhsa_system_vgpr_workitem_id 0
		.amdhsa_next_free_vgpr 17
		.amdhsa_next_free_sgpr 24
		.amdhsa_accum_offset 20
		.amdhsa_reserve_vcc 1
		.amdhsa_float_round_mode_32 0
		.amdhsa_float_round_mode_16_64 0
		.amdhsa_float_denorm_mode_32 3
		.amdhsa_float_denorm_mode_16_64 3
		.amdhsa_dx10_clamp 1
		.amdhsa_ieee_mode 1
		.amdhsa_fp16_overflow 0
		.amdhsa_tg_split 0
		.amdhsa_exception_fp_ieee_invalid_op 0
		.amdhsa_exception_fp_denorm_src 0
		.amdhsa_exception_fp_ieee_div_zero 0
		.amdhsa_exception_fp_ieee_overflow 0
		.amdhsa_exception_fp_ieee_underflow 0
		.amdhsa_exception_fp_ieee_inexact 0
		.amdhsa_exception_int_div_zero 0
	.end_amdhsa_kernel
	.section	.text._ZL33flash_attn_stream_k_fixup_uniformILi64ELi2ELi8EEvPfPK15HIP_vector_typeIfLj2EEiiiiiiS1_IjLj3EES5_S5_,"axG",@progbits,_ZL33flash_attn_stream_k_fixup_uniformILi64ELi2ELi8EEvPfPK15HIP_vector_typeIfLj2EEiiiiiiS1_IjLj3EES5_S5_,comdat
.Lfunc_end11:
	.size	_ZL33flash_attn_stream_k_fixup_uniformILi64ELi2ELi8EEvPfPK15HIP_vector_typeIfLj2EEiiiiiiS1_IjLj3EES5_S5_, .Lfunc_end11-_ZL33flash_attn_stream_k_fixup_uniformILi64ELi2ELi8EEvPfPK15HIP_vector_typeIfLj2EEiiiiiiS1_IjLj3EES5_S5_
                                        ; -- End function
	.set _ZL33flash_attn_stream_k_fixup_uniformILi64ELi2ELi8EEvPfPK15HIP_vector_typeIfLj2EEiiiiiiS1_IjLj3EES5_S5_.num_vgpr, 17
	.set _ZL33flash_attn_stream_k_fixup_uniformILi64ELi2ELi8EEvPfPK15HIP_vector_typeIfLj2EEiiiiiiS1_IjLj3EES5_S5_.num_agpr, 0
	.set _ZL33flash_attn_stream_k_fixup_uniformILi64ELi2ELi8EEvPfPK15HIP_vector_typeIfLj2EEiiiiiiS1_IjLj3EES5_S5_.numbered_sgpr, 24
	.set _ZL33flash_attn_stream_k_fixup_uniformILi64ELi2ELi8EEvPfPK15HIP_vector_typeIfLj2EEiiiiiiS1_IjLj3EES5_S5_.num_named_barrier, 0
	.set _ZL33flash_attn_stream_k_fixup_uniformILi64ELi2ELi8EEvPfPK15HIP_vector_typeIfLj2EEiiiiiiS1_IjLj3EES5_S5_.private_seg_size, 0
	.set _ZL33flash_attn_stream_k_fixup_uniformILi64ELi2ELi8EEvPfPK15HIP_vector_typeIfLj2EEiiiiiiS1_IjLj3EES5_S5_.uses_vcc, 1
	.set _ZL33flash_attn_stream_k_fixup_uniformILi64ELi2ELi8EEvPfPK15HIP_vector_typeIfLj2EEiiiiiiS1_IjLj3EES5_S5_.uses_flat_scratch, 0
	.set _ZL33flash_attn_stream_k_fixup_uniformILi64ELi2ELi8EEvPfPK15HIP_vector_typeIfLj2EEiiiiiiS1_IjLj3EES5_S5_.has_dyn_sized_stack, 0
	.set _ZL33flash_attn_stream_k_fixup_uniformILi64ELi2ELi8EEvPfPK15HIP_vector_typeIfLj2EEiiiiiiS1_IjLj3EES5_S5_.has_recursion, 0
	.set _ZL33flash_attn_stream_k_fixup_uniformILi64ELi2ELi8EEvPfPK15HIP_vector_typeIfLj2EEiiiiiiS1_IjLj3EES5_S5_.has_indirect_call, 0
	.section	.AMDGPU.csdata,"",@progbits
; Kernel info:
; codeLenInByte = 836
; TotalNumSgprs: 30
; NumVgprs: 17
; NumAgprs: 0
; TotalNumVgprs: 17
; ScratchSize: 0
; MemoryBound: 0
; FloatMode: 240
; IeeeMode: 1
; LDSByteSize: 0 bytes/workgroup (compile time only)
; SGPRBlocks: 3
; VGPRBlocks: 2
; NumSGPRsForWavesPerEU: 30
; NumVGPRsForWavesPerEU: 17
; AccumOffset: 20
; Occupancy: 8
; WaveLimiterHint : 0
; COMPUTE_PGM_RSRC2:SCRATCH_EN: 0
; COMPUTE_PGM_RSRC2:USER_SGPR: 2
; COMPUTE_PGM_RSRC2:TRAP_HANDLER: 0
; COMPUTE_PGM_RSRC2:TGID_X_EN: 1
; COMPUTE_PGM_RSRC2:TGID_Y_EN: 1
; COMPUTE_PGM_RSRC2:TGID_Z_EN: 1
; COMPUTE_PGM_RSRC2:TIDIG_COMP_CNT: 0
; COMPUTE_PGM_RSRC3_GFX90A:ACCUM_OFFSET: 4
; COMPUTE_PGM_RSRC3_GFX90A:TG_SPLIT: 0
	.section	.text._ZL33flash_attn_stream_k_fixup_generalILi64ELi2ELi8EEvPfPK15HIP_vector_typeIfLj2EEiiiiS1_IjLj3EES5_S5_S5_,"axG",@progbits,_ZL33flash_attn_stream_k_fixup_generalILi64ELi2ELi8EEvPfPK15HIP_vector_typeIfLj2EEiiiiS1_IjLj3EES5_S5_S5_,comdat
	.globl	_ZL33flash_attn_stream_k_fixup_generalILi64ELi2ELi8EEvPfPK15HIP_vector_typeIfLj2EEiiiiS1_IjLj3EES5_S5_S5_ ; -- Begin function _ZL33flash_attn_stream_k_fixup_generalILi64ELi2ELi8EEvPfPK15HIP_vector_typeIfLj2EEiiiiS1_IjLj3EES5_S5_S5_
	.p2align	8
	.type	_ZL33flash_attn_stream_k_fixup_generalILi64ELi2ELi8EEvPfPK15HIP_vector_typeIfLj2EEiiiiS1_IjLj3EES5_S5_S5_,@function
_ZL33flash_attn_stream_k_fixup_generalILi64ELi2ELi8EEvPfPK15HIP_vector_typeIfLj2EEiiiiS1_IjLj3EES5_S5_S5_: ; @_ZL33flash_attn_stream_k_fixup_generalILi64ELi2ELi8EEvPfPK15HIP_vector_typeIfLj2EEiiiiS1_IjLj3EES5_S5_S5_
; %bb.0:
	s_load_dwordx4 s[8:11], s[0:1], 0x10
	s_load_dword s22, s[0:1], 0x50
	s_mov_b32 s12, 0
	s_waitcnt lgkmcnt(0)
	s_mul_hi_i32 s13, s11, s2
	s_cmp_lg_u64 s[12:13], 0
	s_mul_i32 s5, s11, s2
	s_cbranch_scc0 .LBB12_20
; %bb.1:
	s_add_u32 s6, s22, 0
	s_addc_u32 s7, 0, 0
	s_xor_b64 s[6:7], s[6:7], 0
	v_cvt_f32_u32_e32 v1, s6
	v_cvt_f32_u32_e32 v2, s7
	s_sub_u32 s12, 0, s6
	s_subb_u32 s18, 0, s7
	v_fmamk_f32 v1, v2, 0x4f800000, v1
	v_rcp_f32_e32 v1, v1
	s_nop 0
	v_mul_f32_e32 v1, 0x5f7ffffc, v1
	v_mul_f32_e32 v2, 0x2f800000, v1
	v_trunc_f32_e32 v2, v2
	v_fmamk_f32 v1, v2, 0xcf800000, v1
	v_cvt_u32_f32_e32 v2, v2
	v_cvt_u32_f32_e32 v1, v1
	v_readfirstlane_b32 s19, v2
	v_readfirstlane_b32 s14, v1
	s_mul_i32 s15, s12, s19
	s_mul_hi_u32 s21, s12, s14
	s_mul_i32 s20, s18, s14
	s_add_i32 s15, s21, s15
	s_add_i32 s15, s15, s20
	s_mul_i32 s23, s12, s14
	s_mul_i32 s21, s14, s15
	s_mul_hi_u32 s24, s14, s23
	s_mul_hi_u32 s20, s14, s15
	s_add_u32 s21, s24, s21
	s_addc_u32 s20, 0, s20
	s_mul_hi_u32 s25, s19, s23
	s_mul_i32 s23, s19, s23
	s_add_u32 s21, s21, s23
	s_mul_hi_u32 s24, s19, s15
	s_addc_u32 s20, s20, s25
	s_addc_u32 s21, s24, 0
	s_mul_i32 s15, s19, s15
	s_add_u32 s15, s20, s15
	s_addc_u32 s20, 0, s21
	s_add_u32 s21, s14, s15
	s_cselect_b64 s[14:15], -1, 0
	s_cmp_lg_u64 s[14:15], 0
	s_addc_u32 s19, s19, s20
	s_mul_i32 s14, s12, s19
	s_mul_hi_u32 s15, s12, s21
	s_add_i32 s14, s15, s14
	s_mul_i32 s18, s18, s21
	s_add_i32 s14, s14, s18
	s_mul_i32 s12, s12, s21
	s_mul_hi_u32 s18, s19, s12
	s_mul_i32 s20, s19, s12
	s_mul_i32 s24, s21, s14
	s_mul_hi_u32 s12, s21, s12
	s_mul_hi_u32 s23, s21, s14
	s_add_u32 s12, s12, s24
	s_addc_u32 s23, 0, s23
	s_add_u32 s12, s12, s20
	s_mul_hi_u32 s15, s19, s14
	s_addc_u32 s12, s23, s18
	s_addc_u32 s15, s15, 0
	s_mul_i32 s14, s19, s14
	s_add_u32 s12, s12, s14
	s_addc_u32 s18, 0, s15
	s_add_u32 s20, s21, s12
	s_cselect_b64 s[14:15], -1, 0
	s_cmp_lg_u64 s[14:15], 0
	s_addc_u32 s18, s19, s18
	s_ashr_i32 s14, s13, 31
	s_add_u32 s12, s5, s14
	s_mov_b32 s15, s14
	s_addc_u32 s13, s13, s14
	s_xor_b64 s[12:13], s[12:13], s[14:15]
	s_mul_i32 s21, s12, s18
	s_mul_hi_u32 s23, s12, s20
	s_mul_hi_u32 s19, s12, s18
	s_add_u32 s21, s23, s21
	s_addc_u32 s19, 0, s19
	s_mul_hi_u32 s24, s13, s20
	s_mul_i32 s20, s13, s20
	s_add_u32 s20, s21, s20
	s_mul_hi_u32 s23, s13, s18
	s_addc_u32 s19, s19, s24
	s_addc_u32 s20, s23, 0
	s_mul_i32 s18, s13, s18
	s_add_u32 s23, s19, s18
	s_addc_u32 s24, 0, s20
	s_mul_i32 s18, s6, s24
	s_mul_hi_u32 s19, s6, s23
	s_add_i32 s18, s19, s18
	s_mul_i32 s19, s7, s23
	s_add_i32 s25, s18, s19
	s_sub_i32 s20, s13, s25
	s_mul_i32 s18, s6, s23
	s_sub_u32 s12, s12, s18
	s_cselect_b64 s[18:19], -1, 0
	s_cmp_lg_u64 s[18:19], 0
	s_subb_u32 s26, s20, s7
	s_sub_u32 s27, s12, s6
	s_cselect_b64 s[20:21], -1, 0
	s_cmp_lg_u64 s[20:21], 0
	s_subb_u32 s20, s26, 0
	s_cmp_ge_u32 s20, s7
	s_cselect_b32 s21, -1, 0
	s_cmp_ge_u32 s27, s6
	s_cselect_b32 s26, -1, 0
	s_cmp_eq_u32 s20, s7
	s_cselect_b32 s20, s26, s21
	s_add_u32 s21, s23, 1
	s_addc_u32 s26, s24, 0
	s_add_u32 s27, s23, 2
	s_addc_u32 s28, s24, 0
	s_cmp_lg_u32 s20, 0
	s_cselect_b32 s20, s27, s21
	s_cselect_b32 s21, s28, s26
	s_cmp_lg_u64 s[18:19], 0
	s_subb_u32 s13, s13, s25
	s_cmp_ge_u32 s13, s7
	s_cselect_b32 s18, -1, 0
	s_cmp_ge_u32 s12, s6
	s_cselect_b32 s6, -1, 0
	s_cmp_eq_u32 s13, s7
	s_cselect_b32 s6, s6, s18
	s_cmp_lg_u32 s6, 0
	s_cselect_b32 s7, s21, s24
	s_cselect_b32 s6, s20, s23
	s_xor_b64 s[12:13], s[14:15], 0
	s_xor_b64 s[6:7], s[6:7], s[12:13]
	s_sub_u32 s6, s6, s12
	s_load_dwordx4 s[12:15], s[0:1], 0x44
	s_cbranch_execnz .LBB12_3
.LBB12_2:
	v_cvt_f32_u32_e32 v1, s22
	s_sub_i32 s6, 0, s22
	v_rcp_iflag_f32_e32 v1, v1
	s_nop 0
	v_mul_f32_e32 v1, 0x4f7ffffe, v1
	v_cvt_u32_f32_e32 v1, v1
	s_nop 0
	v_readfirstlane_b32 s7, v1
	s_mul_i32 s6, s6, s7
	s_mul_hi_u32 s6, s7, s6
	s_add_i32 s7, s7, s6
	s_mul_hi_u32 s6, s5, s7
	s_waitcnt lgkmcnt(0)
	s_mul_i32 s15, s6, s22
	s_sub_i32 s5, s5, s15
	s_add_i32 s7, s6, 1
	s_sub_i32 s15, s5, s22
	s_cmp_ge_u32 s5, s22
	s_cselect_b32 s6, s7, s6
	s_cselect_b32 s5, s15, s5
	s_add_i32 s7, s6, 1
	s_cmp_ge_u32 s5, s22
	s_cselect_b32 s6, s7, s6
.LBB12_3:
	s_add_i32 s5, s2, 1
	s_mul_hi_i32 s21, s11, s5
	s_mov_b32 s20, 0
	s_cmp_lg_u64 s[20:21], 0
	s_mul_i32 s5, s11, s5
	s_cbranch_scc0 .LBB12_21
; %bb.4:
	s_add_u32 s16, s22, 0
	s_addc_u32 s17, 0, 0
	s_xor_b64 s[18:19], s[16:17], 0
	v_cvt_f32_u32_e32 v1, s18
	v_cvt_f32_u32_e32 v2, s19
	s_sub_u32 s7, 0, s18
	s_waitcnt lgkmcnt(0)
	s_subb_u32 s15, 0, s19
	v_fmamk_f32 v1, v2, 0x4f800000, v1
	v_rcp_f32_e32 v1, v1
	s_nop 0
	v_mul_f32_e32 v1, 0x5f7ffffc, v1
	v_mul_f32_e32 v2, 0x2f800000, v1
	v_trunc_f32_e32 v2, v2
	v_fmamk_f32 v1, v2, 0xcf800000, v1
	v_cvt_u32_f32_e32 v2, v2
	v_cvt_u32_f32_e32 v1, v1
	v_readfirstlane_b32 s20, v2
	v_readfirstlane_b32 s23, v1
	s_mul_i32 s24, s7, s20
	s_mul_hi_u32 s26, s7, s23
	s_mul_i32 s25, s15, s23
	s_add_i32 s24, s26, s24
	s_add_i32 s24, s24, s25
	s_mul_i32 s27, s7, s23
	s_mul_i32 s26, s23, s24
	s_mul_hi_u32 s28, s23, s27
	s_mul_hi_u32 s25, s23, s24
	s_add_u32 s26, s28, s26
	s_addc_u32 s25, 0, s25
	s_mul_hi_u32 s29, s20, s27
	s_mul_i32 s27, s20, s27
	s_add_u32 s26, s26, s27
	s_mul_hi_u32 s28, s20, s24
	s_addc_u32 s25, s25, s29
	s_addc_u32 s26, s28, 0
	s_mul_i32 s24, s20, s24
	s_add_u32 s24, s25, s24
	s_addc_u32 s26, 0, s26
	s_add_u32 s23, s23, s24
	s_cselect_b64 s[24:25], -1, 0
	s_cmp_lg_u64 s[24:25], 0
	s_addc_u32 s20, s20, s26
	s_mul_i32 s24, s7, s20
	s_mul_hi_u32 s25, s7, s23
	s_add_i32 s24, s25, s24
	s_mul_i32 s15, s15, s23
	s_add_i32 s24, s24, s15
	s_mul_i32 s7, s7, s23
	s_mul_hi_u32 s25, s20, s7
	s_mul_i32 s26, s20, s7
	s_mul_i32 s28, s23, s24
	s_mul_hi_u32 s7, s23, s7
	s_mul_hi_u32 s27, s23, s24
	s_add_u32 s7, s7, s28
	s_addc_u32 s27, 0, s27
	s_add_u32 s7, s7, s26
	s_mul_hi_u32 s15, s20, s24
	s_addc_u32 s7, s27, s25
	s_addc_u32 s15, s15, 0
	s_mul_i32 s24, s20, s24
	s_add_u32 s7, s7, s24
	s_addc_u32 s15, 0, s15
	s_add_u32 s7, s23, s7
	s_cselect_b64 s[24:25], -1, 0
	s_cmp_lg_u64 s[24:25], 0
	s_addc_u32 s15, s20, s15
	s_ashr_i32 s24, s21, 31
	s_add_u32 s20, s5, s24
	s_mov_b32 s25, s24
	s_addc_u32 s21, s21, s24
	s_xor_b64 s[20:21], s[20:21], s[24:25]
	s_mul_i32 s26, s20, s15
	s_mul_hi_u32 s27, s20, s7
	s_mul_hi_u32 s23, s20, s15
	s_add_u32 s26, s27, s26
	s_addc_u32 s23, 0, s23
	s_mul_hi_u32 s28, s21, s7
	s_mul_i32 s7, s21, s7
	s_add_u32 s7, s26, s7
	s_mul_hi_u32 s27, s21, s15
	s_addc_u32 s7, s23, s28
	s_addc_u32 s23, s27, 0
	s_mul_i32 s15, s21, s15
	s_add_u32 s7, s7, s15
	s_addc_u32 s15, 0, s23
	s_mul_i32 s23, s18, s15
	s_mul_hi_u32 s26, s18, s7
	s_add_i32 s23, s26, s23
	s_mul_i32 s26, s19, s7
	s_add_i32 s23, s23, s26
	s_sub_i32 s28, s21, s23
	s_mul_i32 s26, s18, s7
	s_sub_u32 s20, s20, s26
	s_cselect_b64 s[26:27], -1, 0
	s_cmp_lg_u64 s[26:27], 0
	s_subb_u32 s30, s28, s19
	s_sub_u32 s31, s20, s18
	s_cselect_b64 s[28:29], -1, 0
	s_cmp_lg_u64 s[28:29], 0
	s_subb_u32 s28, s30, 0
	s_cmp_ge_u32 s28, s19
	s_cselect_b32 s29, -1, 0
	s_cmp_ge_u32 s31, s18
	s_cselect_b32 s30, -1, 0
	s_cmp_eq_u32 s28, s19
	s_cselect_b32 s28, s30, s29
	s_add_u32 s29, s7, 1
	s_addc_u32 s30, s15, 0
	s_add_u32 s31, s7, 2
	s_addc_u32 s33, s15, 0
	s_cmp_lg_u32 s28, 0
	s_cselect_b32 s28, s31, s29
	s_cselect_b32 s29, s33, s30
	s_cmp_lg_u64 s[26:27], 0
	s_subb_u32 s21, s21, s23
	s_cmp_ge_u32 s21, s19
	s_cselect_b32 s23, -1, 0
	s_cmp_ge_u32 s20, s18
	s_cselect_b32 s18, -1, 0
	s_cmp_eq_u32 s21, s19
	s_cselect_b32 s18, s18, s23
	s_cmp_lg_u32 s18, 0
	s_cselect_b32 s19, s29, s15
	s_cselect_b32 s18, s28, s7
	s_xor_b64 s[20:21], s[24:25], 0
	s_xor_b64 s[18:19], s[18:19], s[20:21]
	s_sub_u32 s18, s18, s20
	s_cbranch_execnz .LBB12_6
.LBB12_5:
	v_cvt_f32_u32_e32 v1, s22
	s_sub_i32 s7, 0, s22
	v_rcp_iflag_f32_e32 v1, v1
	s_nop 0
	v_mul_f32_e32 v1, 0x4f7ffffe, v1
	v_cvt_u32_f32_e32 v1, v1
	s_waitcnt lgkmcnt(0)
	v_readfirstlane_b32 s15, v1
	s_mul_i32 s7, s7, s15
	s_mul_hi_u32 s7, s15, s7
	s_add_i32 s15, s15, s7
	s_mul_hi_u32 s7, s5, s15
	s_mul_i32 s16, s7, s22
	s_sub_i32 s5, s5, s16
	s_add_i32 s15, s7, 1
	s_sub_i32 s16, s5, s22
	s_cmp_ge_u32 s5, s22
	s_cselect_b32 s7, s15, s7
	s_cselect_b32 s5, s16, s5
	s_add_i32 s15, s7, 1
	s_cmp_ge_u32 s5, s22
	s_cselect_b32 s18, s15, s7
.LBB12_6:
	s_cmp_eq_u32 s6, s18
	s_waitcnt lgkmcnt(0)
	s_mul_hi_u32 s5, s6, s12
	s_cselect_b64 s[16:17], -1, 0
	s_add_i32 s5, s5, s6
	s_lshr_b32 s7, s5, s13
	s_mul_i32 s5, s7, s14
	s_cmp_eq_u32 s5, s6
	s_mul_hi_u32 s5, s18, s12
	s_cselect_b64 s[20:21], -1, 0
	s_add_i32 s5, s5, s18
	s_lshr_b32 s5, s5, s13
	s_cmp_eq_u32 s7, s5
	s_mul_i32 s5, s5, s14
	s_cselect_b64 s[24:25], -1, 0
	s_cmp_lg_u32 s5, s18
	s_cselect_b64 s[18:19], -1, 0
	s_and_b64 s[18:19], s[24:25], s[18:19]
	s_or_b64 s[16:17], s[16:17], s[20:21]
	s_or_b64 s[16:17], s[16:17], s[18:19]
	s_and_b64 vcc, exec, s[16:17]
	s_cbranch_vccnz .LBB12_23
; %bb.7:
	s_load_dwordx8 s[24:31], s[0:1], 0x20
	s_load_dword s15, s[0:1], 0x40
	s_waitcnt lgkmcnt(0)
	s_mul_hi_u32 s5, s6, s24
	s_add_i32 s5, s5, s6
	s_lshr_b32 s5, s5, s25
	s_mul_i32 s16, s5, s26
	s_sub_i32 s16, s6, s16
	s_mul_hi_u32 s17, s16, s27
	s_add_i32 s17, s16, s17
	s_lshr_b32 s20, s17, s28
	s_mul_i32 s17, s20, s29
	s_sub_i32 s16, s16, s17
	;; [unrolled: 5-line block ×3, first 2 shown]
	s_mul_hi_u32 s16, s15, s12
	s_add_i32 s15, s15, s16
	s_lshr_b32 s23, s15, s13
	s_lshl_b32 s15, s23, 1
	s_lshl_b32 s21, s17, 3
	s_add_i32 s15, s15, s3
	s_cmp_lt_i32 s15, s8
	s_cselect_b64 s[16:17], -1, 0
	s_add_i32 s15, s21, s4
	s_cmp_lt_i32 s15, s10
	s_cselect_b64 s[18:19], -1, 0
	s_and_b64 s[16:17], s[16:17], s[18:19]
	s_andn2_b64 vcc, exec, s[16:17]
	s_cbranch_vccnz .LBB12_23
; %bb.8:
	s_load_dwordx4 s[16:19], s[0:1], 0x0
	s_mov_b32 s0, 0
	s_lshl_b32 s15, s3, 3
	s_lshl_b32 s24, s22, 6
	s_mov_b32 s25, s0
	s_add_i32 s15, s15, s4
	s_waitcnt lgkmcnt(0)
	v_mov_b32_e32 v2, s16
	v_mov_b32_e32 v3, s17
	s_lshl_b64 s[16:17], s[24:25], 2
	s_add_u32 s16, s18, s16
	s_mul_i32 s1, s5, s8
	s_addc_u32 s17, s19, s17
	s_add_i32 s1, s1, s3
	s_mul_i32 s1, s1, s9
	s_mul_i32 s20, s20, s10
	s_add_i32 s1, s1, s4
	s_add_i32 s1, s1, s20
	s_mul_i32 s5, s9, s23
	s_add_i32 s1, s1, s21
	s_lshl_b32 s5, s5, 7
	s_lshl_b32 s1, s1, 6
	s_add_i32 s5, s5, s1
	v_or_b32_e32 v4, s5, v0
	v_ashrrev_i32_e32 v5, 31, v4
	v_lshl_add_u64 v[2:3], v[4:5], 2, v[2:3]
	global_load_dword v1, v[2:3], off
	v_cvt_f32_u32_e32 v4, s22
	s_lshl_b32 s1, s2, 4
	s_add_i32 s4, s15, s1
	s_ashr_i32 s5, s4, 31
	s_lshl_b64 s[4:5], s[4:5], 3
	v_rcp_iflag_f32_e32 v4, v4
	s_add_u32 s4, s18, s4
	s_addc_u32 s5, s19, s5
	s_load_dwordx2 s[4:5], s[4:5], 0x0
	v_mul_f32_e32 v4, 0x4f7ffffe, v4
	v_cvt_u32_f32_e32 v7, v4
	s_add_i32 s24, s2, -1
	v_lshl_or_b32 v6, s15, 6, v0
	s_waitcnt lgkmcnt(0)
	v_mov_b32_e32 v0, s5
	v_mov_b32_e32 v9, s4
	s_mov_b32 s10, 0x3fb8aa3b
	s_mov_b32 s20, 0xc2ce8ed0
	;; [unrolled: 1-line block ×4, first 2 shown]
	v_mov_b32_e32 v8, 0x7f800000
	s_mul_hi_i32 s1, s24, s11
	s_cmp_lg_u64 s[0:1], 0
	s_mul_i32 s8, s24, s11
	s_cbranch_scc0 .LBB12_19
.LBB12_9:
	s_add_u32 s2, s22, 0
	s_addc_u32 s3, 0, 0
	s_xor_b64 s[2:3], s[2:3], 0
	v_cvt_f32_u32_e32 v4, s2
	v_cvt_f32_u32_e32 v5, s3
	s_sub_u32 s9, 0, s2
	s_subb_u32 s25, 0, s3
	v_fmac_f32_e32 v4, 0x4f800000, v5
	v_rcp_f32_e32 v4, v4
	s_nop 0
	v_mul_f32_e32 v4, 0x5f7ffffc, v4
	v_mul_f32_e32 v5, 0x2f800000, v4
	v_trunc_f32_e32 v5, v5
	v_fmac_f32_e32 v4, 0xcf800000, v5
	v_cvt_u32_f32_e32 v5, v5
	v_cvt_u32_f32_e32 v4, v4
	v_readfirstlane_b32 s26, v5
	v_readfirstlane_b32 s4, v4
	s_mul_i32 s5, s9, s26
	s_mul_hi_u32 s28, s9, s4
	s_mul_i32 s27, s25, s4
	s_add_i32 s5, s28, s5
	s_mul_i32 s29, s9, s4
	s_add_i32 s5, s5, s27
	s_mul_i32 s28, s4, s5
	s_mul_hi_u32 s30, s4, s29
	s_mul_hi_u32 s27, s4, s5
	s_add_u32 s28, s30, s28
	s_addc_u32 s27, 0, s27
	s_mul_hi_u32 s31, s26, s29
	s_mul_i32 s29, s26, s29
	s_add_u32 s28, s28, s29
	s_mul_hi_u32 s30, s26, s5
	s_addc_u32 s27, s27, s31
	s_addc_u32 s28, s30, 0
	s_mul_i32 s5, s26, s5
	s_add_u32 s5, s27, s5
	s_addc_u32 s27, 0, s28
	s_add_u32 s28, s4, s5
	s_cselect_b64 s[4:5], -1, 0
	s_cmp_lg_u64 s[4:5], 0
	s_addc_u32 s26, s26, s27
	s_mul_i32 s4, s9, s26
	s_mul_hi_u32 s5, s9, s28
	s_add_i32 s4, s5, s4
	s_mul_i32 s25, s25, s28
	s_add_i32 s4, s4, s25
	s_mul_i32 s9, s9, s28
	s_mul_hi_u32 s25, s26, s9
	s_mul_i32 s27, s26, s9
	s_mul_i32 s30, s28, s4
	s_mul_hi_u32 s9, s28, s9
	s_mul_hi_u32 s29, s28, s4
	s_add_u32 s9, s9, s30
	s_addc_u32 s29, 0, s29
	s_add_u32 s9, s9, s27
	s_mul_hi_u32 s5, s26, s4
	s_addc_u32 s9, s29, s25
	s_addc_u32 s5, s5, 0
	s_mul_i32 s4, s26, s4
	s_add_u32 s4, s9, s4
	s_addc_u32 s9, 0, s5
	s_add_u32 s25, s28, s4
	s_cselect_b64 s[4:5], -1, 0
	s_cmp_lg_u64 s[4:5], 0
	s_addc_u32 s9, s26, s9
	s_ashr_i32 s4, s1, 31
	s_add_u32 s26, s8, s4
	s_mov_b32 s5, s4
	s_addc_u32 s27, s1, s4
	s_xor_b64 s[26:27], s[26:27], s[4:5]
	s_mul_i32 s28, s26, s9
	s_mul_hi_u32 s29, s26, s25
	s_mul_hi_u32 s1, s26, s9
	s_add_u32 s28, s29, s28
	s_addc_u32 s1, 0, s1
	s_mul_hi_u32 s30, s27, s25
	s_mul_i32 s25, s27, s25
	s_add_u32 s25, s28, s25
	s_mul_hi_u32 s29, s27, s9
	s_addc_u32 s1, s1, s30
	s_addc_u32 s25, s29, 0
	s_mul_i32 s9, s27, s9
	s_add_u32 s1, s1, s9
	s_addc_u32 s9, 0, s25
	s_mul_i32 s25, s2, s9
	s_mul_hi_u32 s28, s2, s1
	s_add_i32 s25, s28, s25
	s_mul_i32 s28, s3, s1
	s_add_i32 s25, s25, s28
	s_sub_i32 s30, s27, s25
	s_mul_i32 s28, s2, s1
	s_sub_u32 s26, s26, s28
	s_cselect_b64 s[28:29], -1, 0
	s_cmp_lg_u64 s[28:29], 0
	s_subb_u32 s33, s30, s3
	s_sub_u32 s34, s26, s2
	s_cselect_b64 s[30:31], -1, 0
	s_cmp_lg_u64 s[30:31], 0
	s_subb_u32 s30, s33, 0
	s_cmp_ge_u32 s30, s3
	s_cselect_b32 s31, -1, 0
	s_cmp_ge_u32 s34, s2
	s_cselect_b32 s33, -1, 0
	s_cmp_eq_u32 s30, s3
	s_cselect_b32 s30, s33, s31
	s_add_u32 s31, s1, 1
	s_addc_u32 s33, s9, 0
	s_add_u32 s34, s1, 2
	s_addc_u32 s35, s9, 0
	s_cmp_lg_u32 s30, 0
	s_cselect_b32 s30, s34, s31
	s_cselect_b32 s31, s35, s33
	s_cmp_lg_u64 s[28:29], 0
	s_subb_u32 s25, s27, s25
	s_cmp_ge_u32 s25, s3
	s_cselect_b32 s27, -1, 0
	s_cmp_ge_u32 s26, s2
	s_cselect_b32 s2, -1, 0
	s_cmp_eq_u32 s25, s3
	s_cselect_b32 s2, s2, s27
	s_cmp_lg_u32 s2, 0
	s_cselect_b32 s3, s31, s9
	s_cselect_b32 s2, s30, s1
	s_xor_b64 s[4:5], s[4:5], 0
	s_xor_b64 s[2:3], s[2:3], s[4:5]
	s_sub_u32 s4, s2, s4
	s_cbranch_execnz .LBB12_11
.LBB12_10:
	s_sub_i32 s1, 0, s22
	v_readfirstlane_b32 s2, v7
	s_mul_i32 s1, s1, s2
	s_mul_hi_u32 s1, s2, s1
	s_add_i32 s2, s2, s1
	s_mul_hi_u32 s1, s8, s2
	s_mul_i32 s3, s1, s22
	s_sub_i32 s3, s8, s3
	s_add_i32 s2, s1, 1
	s_sub_i32 s4, s3, s22
	s_cmp_ge_u32 s3, s22
	s_cselect_b32 s1, s2, s1
	s_cselect_b32 s3, s4, s3
	s_add_i32 s2, s1, 1
	s_cmp_ge_u32 s3, s22
	s_cselect_b32 s4, s2, s1
.LBB12_11:
	s_cmp_lg_u32 s6, s4
	s_cbranch_scc0 .LBB12_15
; %bb.12:
	s_add_i32 s1, s24, s22
	s_lshl_b32 s1, s1, 4
	s_add_i32 s2, s1, s15
	s_mov_b32 s3, s0
	s_lshl_b64 s[2:3], s[2:3], 3
	s_add_u32 s8, s18, s2
	s_mul_hi_u32 s1, s4, s12
	s_addc_u32 s9, s19, s3
	s_add_i32 s1, s1, s4
	s_lshr_b32 s1, s1, s13
	s_mul_i32 s2, s1, s14
	s_cmp_eq_u32 s2, s4
	s_cselect_b64 s[2:3], -1, 0
	s_cmp_lt_u32 s1, s7
	s_cselect_b64 s[26:27], -1, 0
	s_or_b64 s[26:27], s[26:27], s[2:3]
	s_mov_b64 s[2:3], -1
	s_and_b64 vcc, exec, s[26:27]
	s_mov_b32 s1, s24
	s_mov_b32 s25, s6
	s_cbranch_vccnz .LBB12_14
; %bb.13:
	s_add_i32 s1, s24, -1
	s_mov_b64 s[2:3], 0
	s_mov_b32 s25, s4
.LBB12_14:
	v_lshl_add_u32 v4, s24, 10, v6
	v_ashrrev_i32_e32 v5, 31, v4
	v_lshl_add_u64 v[4:5], v[4:5], 2, s[16:17]
	global_load_dword v5, v[4:5], off
	s_load_dwordx2 s[4:5], s[8:9], 0x0
	v_max_f32_e32 v4, v9, v9
	s_waitcnt lgkmcnt(0)
	v_max_f32_e64 v10, s4, s4
	v_max_f32_e32 v10, v4, v10
	v_sub_f32_e32 v11, v9, v10
	v_sub_f32_e32 v13, s4, v10
	v_mul_f32_e32 v4, 0x3fb8aa3b, v11
	v_mul_f32_e32 v12, 0x3fb8aa3b, v13
	v_fma_f32 v14, v11, s10, -v4
	v_rndne_f32_e32 v15, v4
	v_fma_f32 v16, v13, s10, -v12
	v_rndne_f32_e32 v17, v12
	v_fmac_f32_e32 v14, 0x32a5705f, v11
	v_sub_f32_e32 v4, v4, v15
	v_fmac_f32_e32 v16, 0x32a5705f, v13
	v_sub_f32_e32 v12, v12, v17
	v_add_f32_e32 v4, v4, v14
	v_cvt_i32_f32_e32 v15, v15
	v_add_f32_e32 v12, v12, v16
	v_exp_f32_e32 v14, v4
	v_cvt_i32_f32_e32 v17, v17
	v_exp_f32_e32 v12, v12
	v_cmp_ngt_f32_e32 vcc, s20, v11
	v_ldexp_f32 v14, v14, v15
	v_mov_b32_e32 v4, s5
	v_ldexp_f32 v12, v12, v17
	v_cndmask_b32_e32 v14, 0, v14, vcc
	v_cmp_ngt_f32_e32 vcc, s20, v13
	s_nop 1
	v_cndmask_b32_e32 v12, 0, v12, vcc
	v_cmp_nlt_f32_e32 vcc, s21, v11
	s_nop 1
	v_cndmask_b32_e32 v14, v8, v14, vcc
	v_cmp_nlt_f32_e32 vcc, s21, v13
	s_nop 1
	v_cndmask_b32_e32 v15, v8, v12, vcc
	v_cmp_le_f32_e32 vcc, s23, v11
	s_nop 1
	v_cndmask_b32_e32 v12, 0, v14, vcc
	v_cmp_le_f32_e32 vcc, s23, v13
	s_nop 1
	v_cndmask_b32_e32 v14, 0, v15, vcc
	s_waitcnt vmcnt(0)
	v_pk_mul_f32 v[4:5], v[4:5], v[14:15] op_sel_hi:[1,0]
	s_nop 0
	v_pk_fma_f32 v[4:5], v[0:1], v[12:13], v[4:5] op_sel_hi:[1,0,1]
	s_cbranch_execz .LBB12_16
	s_branch .LBB12_17
.LBB12_15:
                                        ; implicit-def: $vgpr4_vgpr5
                                        ; implicit-def: $sgpr2_sgpr3
                                        ; implicit-def: $vgpr10
                                        ; implicit-def: $sgpr1
                                        ; implicit-def: $sgpr25
.LBB12_16:
	s_add_i32 s1, s24, -1
	s_mov_b64 s[2:3], 0
	s_mov_b32 s25, s6
	v_mov_b32_e32 v10, v9
	s_waitcnt vmcnt(0)
	v_mov_b64_e32 v[4:5], v[0:1]
.LBB12_17:
	s_andn2_b64 vcc, exec, s[2:3]
	s_cbranch_vccz .LBB12_22
; %bb.18:
	s_mov_b32 s6, s25
	s_mov_b32 s24, s1
	v_mov_b32_e32 v9, v10
	s_waitcnt vmcnt(0)
	v_mov_b64_e32 v[0:1], v[4:5]
	s_mul_hi_i32 s1, s24, s11
	s_cmp_lg_u64 s[0:1], 0
	s_mul_i32 s8, s24, s11
	s_cbranch_scc1 .LBB12_9
.LBB12_19:
                                        ; implicit-def: $sgpr4_sgpr5
	s_branch .LBB12_10
.LBB12_20:
                                        ; implicit-def: $sgpr6_sgpr7
	s_load_dwordx4 s[12:15], s[0:1], 0x44
	s_branch .LBB12_2
.LBB12_21:
                                        ; implicit-def: $sgpr18_sgpr19
	s_branch .LBB12_5
.LBB12_22:
	v_div_scale_f32 v0, s[0:1], v4, v4, v5
	s_waitcnt vmcnt(0)
	v_rcp_f32_e32 v1, v0
	v_div_scale_f32 v6, vcc, v5, v4, v5
	v_fma_f32 v7, -v0, v1, 1.0
	v_fmac_f32_e32 v1, v7, v1
	v_mul_f32_e32 v7, v6, v1
	v_fma_f32 v8, -v0, v7, v6
	v_fmac_f32_e32 v7, v8, v1
	v_fma_f32 v0, -v0, v7, v6
	v_div_fmas_f32 v0, v0, v1, v7
	v_div_fixup_f32 v0, v0, v4, v5
	global_store_dword v[2:3], v0, off
.LBB12_23:
	s_endpgm
	.section	.rodata,"a",@progbits
	.p2align	6, 0x0
	.amdhsa_kernel _ZL33flash_attn_stream_k_fixup_generalILi64ELi2ELi8EEvPfPK15HIP_vector_typeIfLj2EEiiiiS1_IjLj3EES5_S5_S5_
		.amdhsa_group_segment_fixed_size 0
		.amdhsa_private_segment_fixed_size 0
		.amdhsa_kernarg_size 336
		.amdhsa_user_sgpr_count 2
		.amdhsa_user_sgpr_dispatch_ptr 0
		.amdhsa_user_sgpr_queue_ptr 0
		.amdhsa_user_sgpr_kernarg_segment_ptr 1
		.amdhsa_user_sgpr_dispatch_id 0
		.amdhsa_user_sgpr_kernarg_preload_length 0
		.amdhsa_user_sgpr_kernarg_preload_offset 0
		.amdhsa_user_sgpr_private_segment_size 0
		.amdhsa_uses_dynamic_stack 0
		.amdhsa_enable_private_segment 0
		.amdhsa_system_sgpr_workgroup_id_x 1
		.amdhsa_system_sgpr_workgroup_id_y 1
		.amdhsa_system_sgpr_workgroup_id_z 1
		.amdhsa_system_sgpr_workgroup_info 0
		.amdhsa_system_vgpr_workitem_id 0
		.amdhsa_next_free_vgpr 18
		.amdhsa_next_free_sgpr 36
		.amdhsa_accum_offset 20
		.amdhsa_reserve_vcc 1
		.amdhsa_float_round_mode_32 0
		.amdhsa_float_round_mode_16_64 0
		.amdhsa_float_denorm_mode_32 3
		.amdhsa_float_denorm_mode_16_64 3
		.amdhsa_dx10_clamp 1
		.amdhsa_ieee_mode 1
		.amdhsa_fp16_overflow 0
		.amdhsa_tg_split 0
		.amdhsa_exception_fp_ieee_invalid_op 0
		.amdhsa_exception_fp_denorm_src 0
		.amdhsa_exception_fp_ieee_div_zero 0
		.amdhsa_exception_fp_ieee_overflow 0
		.amdhsa_exception_fp_ieee_underflow 0
		.amdhsa_exception_fp_ieee_inexact 0
		.amdhsa_exception_int_div_zero 0
	.end_amdhsa_kernel
	.section	.text._ZL33flash_attn_stream_k_fixup_generalILi64ELi2ELi8EEvPfPK15HIP_vector_typeIfLj2EEiiiiS1_IjLj3EES5_S5_S5_,"axG",@progbits,_ZL33flash_attn_stream_k_fixup_generalILi64ELi2ELi8EEvPfPK15HIP_vector_typeIfLj2EEiiiiS1_IjLj3EES5_S5_S5_,comdat
.Lfunc_end12:
	.size	_ZL33flash_attn_stream_k_fixup_generalILi64ELi2ELi8EEvPfPK15HIP_vector_typeIfLj2EEiiiiS1_IjLj3EES5_S5_S5_, .Lfunc_end12-_ZL33flash_attn_stream_k_fixup_generalILi64ELi2ELi8EEvPfPK15HIP_vector_typeIfLj2EEiiiiS1_IjLj3EES5_S5_S5_
                                        ; -- End function
	.set _ZL33flash_attn_stream_k_fixup_generalILi64ELi2ELi8EEvPfPK15HIP_vector_typeIfLj2EEiiiiS1_IjLj3EES5_S5_S5_.num_vgpr, 18
	.set _ZL33flash_attn_stream_k_fixup_generalILi64ELi2ELi8EEvPfPK15HIP_vector_typeIfLj2EEiiiiS1_IjLj3EES5_S5_S5_.num_agpr, 0
	.set _ZL33flash_attn_stream_k_fixup_generalILi64ELi2ELi8EEvPfPK15HIP_vector_typeIfLj2EEiiiiS1_IjLj3EES5_S5_S5_.numbered_sgpr, 36
	.set _ZL33flash_attn_stream_k_fixup_generalILi64ELi2ELi8EEvPfPK15HIP_vector_typeIfLj2EEiiiiS1_IjLj3EES5_S5_S5_.num_named_barrier, 0
	.set _ZL33flash_attn_stream_k_fixup_generalILi64ELi2ELi8EEvPfPK15HIP_vector_typeIfLj2EEiiiiS1_IjLj3EES5_S5_S5_.private_seg_size, 0
	.set _ZL33flash_attn_stream_k_fixup_generalILi64ELi2ELi8EEvPfPK15HIP_vector_typeIfLj2EEiiiiS1_IjLj3EES5_S5_S5_.uses_vcc, 1
	.set _ZL33flash_attn_stream_k_fixup_generalILi64ELi2ELi8EEvPfPK15HIP_vector_typeIfLj2EEiiiiS1_IjLj3EES5_S5_S5_.uses_flat_scratch, 0
	.set _ZL33flash_attn_stream_k_fixup_generalILi64ELi2ELi8EEvPfPK15HIP_vector_typeIfLj2EEiiiiS1_IjLj3EES5_S5_S5_.has_dyn_sized_stack, 0
	.set _ZL33flash_attn_stream_k_fixup_generalILi64ELi2ELi8EEvPfPK15HIP_vector_typeIfLj2EEiiiiS1_IjLj3EES5_S5_S5_.has_recursion, 0
	.set _ZL33flash_attn_stream_k_fixup_generalILi64ELi2ELi8EEvPfPK15HIP_vector_typeIfLj2EEiiiiS1_IjLj3EES5_S5_S5_.has_indirect_call, 0
	.section	.AMDGPU.csdata,"",@progbits
; Kernel info:
; codeLenInByte = 2940
; TotalNumSgprs: 42
; NumVgprs: 18
; NumAgprs: 0
; TotalNumVgprs: 18
; ScratchSize: 0
; MemoryBound: 0
; FloatMode: 240
; IeeeMode: 1
; LDSByteSize: 0 bytes/workgroup (compile time only)
; SGPRBlocks: 5
; VGPRBlocks: 2
; NumSGPRsForWavesPerEU: 42
; NumVGPRsForWavesPerEU: 18
; AccumOffset: 20
; Occupancy: 8
; WaveLimiterHint : 0
; COMPUTE_PGM_RSRC2:SCRATCH_EN: 0
; COMPUTE_PGM_RSRC2:USER_SGPR: 2
; COMPUTE_PGM_RSRC2:TRAP_HANDLER: 0
; COMPUTE_PGM_RSRC2:TGID_X_EN: 1
; COMPUTE_PGM_RSRC2:TGID_Y_EN: 1
; COMPUTE_PGM_RSRC2:TGID_Z_EN: 1
; COMPUTE_PGM_RSRC2:TIDIG_COMP_CNT: 0
; COMPUTE_PGM_RSRC3_GFX90A:ACCUM_OFFSET: 4
; COMPUTE_PGM_RSRC3_GFX90A:TG_SPLIT: 0
	.section	.text._ZL15flash_attn_tileILi64ELi64ELi1ELi8ELb0EEvPKcS1_S1_S1_S1_PKiPfP15HIP_vector_typeIfLj2EEffffjfiS5_IjLj3EEiiiiiiiiiiiliiliiiiil,"axG",@progbits,_ZL15flash_attn_tileILi64ELi64ELi1ELi8ELb0EEvPKcS1_S1_S1_S1_PKiPfP15HIP_vector_typeIfLj2EEffffjfiS5_IjLj3EEiiiiiiiiiiiliiliiiiil,comdat
	.globl	_ZL15flash_attn_tileILi64ELi64ELi1ELi8ELb0EEvPKcS1_S1_S1_S1_PKiPfP15HIP_vector_typeIfLj2EEffffjfiS5_IjLj3EEiiiiiiiiiiiliiliiiiil ; -- Begin function _ZL15flash_attn_tileILi64ELi64ELi1ELi8ELb0EEvPKcS1_S1_S1_S1_PKiPfP15HIP_vector_typeIfLj2EEffffjfiS5_IjLj3EEiiiiiiiiiiiliiliiiiil
	.p2align	8
	.type	_ZL15flash_attn_tileILi64ELi64ELi1ELi8ELb0EEvPKcS1_S1_S1_S1_PKiPfP15HIP_vector_typeIfLj2EEffffjfiS5_IjLj3EEiiiiiiiiiiiliiliiiiil,@function
_ZL15flash_attn_tileILi64ELi64ELi1ELi8ELb0EEvPKcS1_S1_S1_S1_PKiPfP15HIP_vector_typeIfLj2EEffffjfiS5_IjLj3EEiiiiiiiiiiiliiliiiiil: ; @_ZL15flash_attn_tileILi64ELi64ELi1ELi8ELb0EEvPKcS1_S1_S1_S1_PKiPfP15HIP_vector_typeIfLj2EEffffjfiS5_IjLj3EEiiiiiiiiiiiliiliiiiil
; %bb.0:
	s_load_dwordx4 s[20:23], s[0:1], 0x5c
	s_load_dwordx2 s[24:25], s[0:1], 0x80
	s_load_dwordx2 s[28:29], s[0:1], 0xb8
	s_mov_b64 s[26:27], 0
	s_waitcnt lgkmcnt(0)
	s_ashr_i32 s5, s23, 31
	s_lshr_b32 s5, s5, 29
	s_add_i32 s5, s23, s5
	s_ashr_i32 s5, s5, 3
	v_cvt_f32_u32_e32 v1, s5
	s_sub_i32 s6, 0, s5
	v_rcp_iflag_f32_e32 v1, v1
	s_nop 0
	v_mul_f32_e32 v1, 0x4f7ffffe, v1
	v_cvt_u32_f32_e32 v1, v1
	s_nop 0
	v_readfirstlane_b32 s7, v1
	s_mul_i32 s6, s6, s7
	s_mul_hi_u32 s6, s7, s6
	s_add_i32 s7, s7, s6
	s_mul_hi_u32 s6, s4, s7
	s_mul_i32 s7, s6, s5
	s_sub_i32 s7, s4, s7
	s_add_i32 s8, s6, 1
	s_sub_i32 s9, s7, s5
	s_cmp_ge_u32 s7, s5
	s_cselect_b32 s6, s8, s6
	s_cselect_b32 s7, s9, s7
	s_add_i32 s8, s6, 1
	s_cmp_ge_u32 s7, s5
	s_cselect_b32 s30, s8, s6
	s_abs_i32 s5, s25
	v_cvt_f32_u32_e32 v1, s5
	s_lshl_b32 s4, s4, 3
	s_mul_i32 s8, s30, s23
	s_xor_b32 s6, s23, s25
	v_rcp_iflag_f32_e32 v1, v1
	s_sub_i32 s9, 0, s5
	s_sub_i32 s25, s4, s8
	s_abs_i32 s7, s23
	v_mul_f32_e32 v1, 0x4f7ffffe, v1
	v_cvt_u32_f32_e32 v1, v1
	s_ashr_i32 s6, s6, 31
	v_readfirstlane_b32 s4, v1
	s_mul_i32 s9, s9, s4
	s_mul_hi_u32 s8, s4, s9
	s_add_i32 s4, s4, s8
	s_mul_hi_u32 s4, s7, s4
	s_mul_i32 s8, s4, s5
	s_sub_i32 s7, s7, s8
	s_add_i32 s9, s4, 1
	s_sub_i32 s8, s7, s5
	s_cmp_ge_u32 s7, s5
	s_cselect_b32 s4, s9, s4
	s_cselect_b32 s7, s8, s7
	s_add_i32 s8, s4, 1
	s_cmp_ge_u32 s7, s5
	s_cselect_b32 s4, s8, s4
	s_xor_b32 s4, s4, s6
	s_sub_i32 s33, s4, s6
	s_abs_i32 s31, s33
	v_cvt_f32_u32_e32 v1, s31
	s_load_dwordx16 s[4:19], s[0:1], 0x0
	v_rcp_iflag_f32_e32 v1, v1
	s_waitcnt lgkmcnt(0)
	s_cmp_eq_u64 s[10:11], 0
	v_mul_f32_e32 v1, 0x4f7ffffe, v1
	v_cvt_u32_f32_e32 v1, v1
	s_nop 0
	v_readfirstlane_b32 s34, v1
	s_cbranch_scc1 .LBB13_2
; %bb.1:
	s_abs_i32 s28, s28
	v_cvt_f32_u32_e32 v1, s28
	s_sub_i32 s37, 0, s28
	s_abs_i32 s36, s30
	s_ashr_i32 s35, s30, 31
	v_rcp_iflag_f32_e32 v1, v1
	s_load_dwordx2 s[26:27], s[0:1], 0xc8
	v_mul_f32_e32 v1, 0x4f7ffffe, v1
	v_cvt_u32_f32_e32 v1, v1
	s_nop 0
	v_readfirstlane_b32 s38, v1
	s_mul_i32 s37, s37, s38
	s_mul_hi_u32 s37, s38, s37
	s_add_i32 s38, s38, s37
	s_mul_hi_u32 s37, s36, s38
	s_mul_i32 s37, s37, s28
	s_sub_i32 s36, s36, s37
	s_sub_i32 s37, s36, s28
	s_cmp_ge_u32 s36, s28
	s_cselect_b32 s36, s37, s36
	s_sub_i32 s37, s36, s28
	s_cmp_ge_u32 s36, s28
	s_cselect_b32 s28, s37, s36
	s_xor_b32 s28, s28, s35
	s_sub_i32 s28, s28, s35
	s_ashr_i32 s35, s28, 31
	s_waitcnt lgkmcnt(0)
	s_mul_hi_u32 s36, s26, s28
	s_mul_i32 s35, s26, s35
	s_mul_i32 s27, s27, s28
	s_add_i32 s35, s36, s35
	s_add_i32 s35, s35, s27
	s_mul_i32 s26, s26, s28
	s_add_u32 s26, s10, s26
	s_addc_u32 s27, s11, s35
.LBB13_2:
	s_load_dwordx4 s[36:39], s[0:1], 0x70
	v_lshrrev_b32_e32 v2, 10, v0
	v_bfe_u32 v2, v2, 2, 8
	v_add_u32_e32 v9, s2, v2
	v_mul_hi_u32 v2, s20, v9
	s_waitcnt lgkmcnt(0)
	s_mul_i32 s10, s30, s38
	s_ashr_i32 s28, s10, 31
	s_mul_i32 s11, s25, s37
	s_add_u32 s4, s4, s10
	s_addc_u32 s5, s5, s28
	s_ashr_i32 s10, s11, 31
	v_add_u32_e32 v2, v9, v2
	s_add_u32 s4, s4, s11
	v_lshrrev_b32_e32 v2, s21, v2
	s_addc_u32 s5, s5, s10
	s_ashr_i32 s11, s37, 31
	s_mov_b32 s10, s37
	v_mul_lo_u32 v2, v2, s22
	s_ashr_i32 s37, s36, 31
	v_sub_u32_e32 v2, v9, v2
	s_lshr_b64 s[20:21], s[36:37], 2
	v_mad_u64_u32 v[4:5], s[20:21], s20, v2, 0
	s_lshr_b64 s[38:39], s[10:11], 2
	v_mov_b32_e32 v6, v5
	s_lshr_b32 s10, s37, 2
	v_bfe_u32 v1, v0, 10, 10
	v_mad_u64_u32 v[6:7], s[20:21], s10, v2, v[6:7]
	v_lshlrev_b32_e32 v3, 1, v1
	v_mov_b32_e32 v5, v6
	v_and_b32_e32 v8, 0x3ff, v0
	v_lshl_add_u64 v[4:5], v[4:5], 2, s[4:5]
	v_lshlrev_b32_e32 v6, 3, v8
	v_mov_b32_e32 v7, 0
	v_and_b32_e32 v26, 6, v3
	v_lshl_add_u64 v[4:5], v[4:5], 0, v[6:7]
	v_mad_u64_u32 v[6:7], s[4:5], s38, v26, 0
	v_mov_b32_e32 v0, v7
	s_lshr_b32 s10, s11, 2
	v_mad_u64_u32 v[10:11], s[4:5], s10, v26, v[0:1]
	v_bitop3_b32 v12, v3, 7, 1 bitop3:0xc8
	v_mov_b32_e32 v7, v10
	v_mad_u64_u32 v[10:11], s[4:5], s38, v12, 0
	v_mov_b32_e32 v0, v11
	v_mad_u64_u32 v[12:13], s[4:5], s10, v12, v[0:1]
	v_lshl_add_u64 v[6:7], v[6:7], 2, v[4:5]
	v_mov_b32_e32 v11, v12
	global_load_dwordx2 v[6:7], v[6:7], off
	v_lshl_add_u64 v[4:5], v[10:11], 2, v[4:5]
	global_load_dwordx2 v[4:5], v[4:5], off
	s_load_dword s4, s[0:1], 0x40
	v_mov_b32_e32 v0, 0x1200
	v_lshl_add_u32 v10, v8, 2, v0
	v_lshlrev_b32_e32 v0, 8, v1
	v_add_u32_e32 v11, v10, v0
	v_or_b32_e32 v3, 1, v3
	s_cmp_eq_u64 s[14:15], 0
	v_lshl_add_u32 v3, v3, 7, v10
	s_waitcnt vmcnt(1) lgkmcnt(0)
	v_fma_mixlo_f16 v7, s4, v7, 0
	v_fma_mixlo_f16 v6, s4, v6, 0
	s_waitcnt vmcnt(0)
	v_fma_mixlo_f16 v5, s4, v5, 0
	v_lshlrev_b32_e32 v7, 16, v7
	v_fma_mixlo_f16 v4, s4, v4, 0
	v_lshlrev_b32_e32 v5, 16, v5
	v_or_b32_sdwa v6, v7, v6 dst_sel:DWORD dst_unused:UNUSED_PAD src0_sel:DWORD src1_sel:WORD_0
	v_or_b32_sdwa v4, v5, v4 dst_sel:DWORD dst_unused:UNUSED_PAD src0_sel:DWORD src1_sel:WORD_0
	ds_write_b32 v11, v6
	ds_write_b32 v3, v4
	s_waitcnt lgkmcnt(0)
	s_barrier
	s_cbranch_scc1 .LBB13_4
; %bb.3:
	s_load_dword s4, s[0:1], 0xd0
	s_mov_b32 s5, 0
	s_waitcnt lgkmcnt(0)
	s_mul_i32 s4, s4, s30
	s_add_i32 s4, s4, s2
	s_lshl_b64 s[4:5], s[4:5], 2
	s_add_u32 s4, s14, s4
	s_addc_u32 s5, s15, s5
	s_load_dword s24, s[4:5], 0x0
.LBB13_4:
	s_lshl_b32 s2, s3, 5
	s_waitcnt lgkmcnt(0)
	s_cmp_lt_i32 s2, s24
	v_mbcnt_lo_u32_b32 v3, -1, 0
	s_cbranch_scc1 .LBB13_7
; %bb.5:
	v_mbcnt_hi_u32_b32 v28, -1, v3
	v_and_b32_e32 v4, 0x60, v28
	v_add_u32_e32 v29, 32, v4
	v_xor_b32_e32 v34, 16, v28
	v_xor_b32_e32 v33, 8, v28
	;; [unrolled: 1-line block ×5, first 2 shown]
	s_cbranch_execz .LBB13_8
; %bb.6:
	v_mov_b32_e32 v11, 0
	v_mov_b32_e32 v27, 0
	;; [unrolled: 1-line block ×6, first 2 shown]
	s_branch .LBB13_10
.LBB13_7:
                                        ; implicit-def: $vgpr28
                                        ; implicit-def: $vgpr29
                                        ; implicit-def: $vgpr34
                                        ; implicit-def: $vgpr33
                                        ; implicit-def: $vgpr32
                                        ; implicit-def: $vgpr31
                                        ; implicit-def: $vgpr30
.LBB13_8:
	s_sub_i32 s4, 0, s31
	s_mul_i32 s4, s4, s34
	s_mul_hi_u32 s4, s34, s4
	s_add_i32 s34, s34, s4
	s_load_dwordx2 s[4:5], s[0:1], 0x8c
	s_load_dwordx4 s[36:39], s[0:1], 0x98
	s_abs_i32 s20, s25
	s_mul_hi_u32 s21, s20, s34
	s_ashr_i32 s34, s29, 1
	s_waitcnt lgkmcnt(0)
	s_ashr_i32 s15, s4, 2
	s_ashr_i32 s4, s30, 31
	s_mul_hi_u32 s29, s36, s30
	s_mul_i32 s35, s36, s4
	s_add_i32 s29, s29, s35
	s_mul_i32 s35, s37, s30
	s_ashr_i32 s28, s25, 31
	s_ashr_i32 s33, s33, 31
	;; [unrolled: 1-line block ×3, first 2 shown]
	s_add_i32 s29, s29, s35
	s_mul_i32 s35, s36, s30
	s_add_u32 s6, s6, s35
	s_addc_u32 s7, s7, s29
	s_mul_i32 s29, s21, s31
	s_sub_i32 s20, s20, s29
	s_xor_b32 s28, s28, s33
	s_add_i32 s29, s21, 1
	s_sub_i32 s33, s20, s31
	s_cmp_ge_u32 s20, s31
	s_cselect_b32 s21, s29, s21
	s_cselect_b32 s20, s33, s20
	s_add_i32 s29, s21, 1
	s_cmp_ge_u32 s20, s31
	s_load_dwordx2 s[10:11], s[0:1], 0xa8
	s_cselect_b32 s20, s29, s21
	s_xor_b32 s20, s20, s28
	s_sub_i32 s28, s20, s28
	s_mul_i32 s5, s28, s5
	s_ashr_i32 s21, s5, 31
	s_add_u32 s20, s6, s5
	s_waitcnt lgkmcnt(0)
	s_mul_hi_u32 s5, s10, s30
	s_mul_i32 s4, s10, s4
	s_addc_u32 s21, s7, s21
	s_add_i32 s4, s5, s4
	s_mul_i32 s5, s11, s30
	s_add_i32 s4, s4, s5
	s_mul_i32 s5, s10, s30
	s_add_u32 s5, s8, s5
	s_mul_i32 s28, s28, s39
	s_addc_u32 s4, s9, s4
	s_ashr_i32 s6, s28, 31
	v_lshrrev_b32_e32 v4, 3, v8
	v_lshlrev_b32_e32 v35, 2, v8
	s_add_u32 s28, s5, s28
	v_lshl_add_u32 v5, v1, 2, v4
	v_and_b32_e32 v4, 28, v35
	s_addc_u32 s29, s4, s6
	v_lshlrev_b32_e32 v6, 2, v4
	s_movk_i32 s4, 0x90
	v_mul_lo_u32 v14, s15, v5
	v_add_u32_e32 v39, 0x1200, v0
	v_mov_b32_e32 v0, 0x1600
	v_mul_lo_u32 v20, s14, v5
	v_mbcnt_hi_u32_b32 v28, -1, v3
	v_mov_b32_e32 v13, 0
	v_mad_u32_u24 v36, v5, s4, v6
	v_lshl_add_u32 v16, s15, 4, v14
	v_mad_u64_u32 v[18:19], s[4:5], v2, s34, v[8:9]
	v_lshl_add_u32 v40, v1, 7, v0
	v_lshl_or_b32 v41, v5, 7, v6
	v_lshl_add_u32 v22, s14, 4, v20
	s_add_u32 s10, s0, 0xd0
	v_and_b32_e32 v0, 0x60, v28
	v_ashrrev_i32_e32 v15, 31, v14
	v_add_u32_e32 v37, 0x900, v36
	v_ashrrev_i32_e32 v17, 31, v16
	v_mul_u32_u24_e32 v38, 0x90, v8
	v_ashrrev_i32_e32 v21, 31, v20
	v_add_u32_e32 v42, 0x800, v41
	v_ashrrev_i32_e32 v23, 31, v22
	s_addc_u32 s11, s1, 0
	v_mov_b32_e32 v24, 0xfeffffff
	v_lshlrev_b32_e32 v12, 2, v4
	v_add_u32_e32 v29, 32, v0
	v_xor_b32_e32 v34, 16, v28
	v_xor_b32_e32 v33, 8, v28
	;; [unrolled: 1-line block ×5, first 2 shown]
	s_mov_b32 s31, 0x3fb8aa3b
	s_mov_b32 s33, 0xc2ce8ed0
	;; [unrolled: 1-line block ×3, first 2 shown]
	v_mov_b32_e32 v43, 0x7f800000
	s_mov_b32 s35, 0x10001
	v_add_u32_e32 v44, v40, v35
	v_add_u32_e32 v45, 0x400, v35
	v_add_u32_e32 v46, 0x800, v35
	v_add_u32_e32 v47, 0xc00, v35
	v_mov_b32_e32 v19, v13
	v_mov_b32_e32 v27, v13
	;; [unrolled: 1-line block ×5, first 2 shown]
.LBB13_9:                               ; =>This Inner Loop Header: Depth=1
	s_mul_hi_i32 s5, s2, s15
	s_mul_i32 s4, s2, s15
	v_cmp_lt_i32_e32 vcc, v34, v29
	s_lshl_b64 s[4:5], s[4:5], 2
	v_add_u32_e32 v0, s2, v18
	v_cndmask_b32_e32 v2, v28, v34, vcc
	v_cmp_lt_i32_e32 vcc, v33, v29
	s_add_u32 s4, s20, s4
	v_ashrrev_i32_e32 v1, 31, v0
	v_cndmask_b32_e32 v3, v28, v33, vcc
	v_cmp_lt_i32_e32 vcc, v32, v29
	s_addc_u32 s5, s21, s5
	v_lshl_add_u64 v[54:55], v[0:1], 1, s[26:27]
	v_cndmask_b32_e32 v4, v28, v32, vcc
	v_cmp_lt_i32_e32 vcc, v31, v29
	v_lshl_add_u64 v[0:1], v[14:15], 2, s[4:5]
	v_lshlrev_b32_e32 v62, 2, v2
	v_cndmask_b32_e32 v5, v28, v31, vcc
	v_cmp_lt_i32_e32 vcc, v30, v29
	v_lshlrev_b32_e32 v63, 2, v3
	v_lshl_add_u64 v[2:3], v[16:17], 2, s[4:5]
	v_cndmask_b32_e32 v6, v28, v30, vcc
	v_lshl_add_u64 v[50:51], v[0:1], 0, v[12:13]
	v_lshlrev_b32_e32 v64, 2, v4
	v_lshlrev_b32_e32 v65, 2, v5
	;; [unrolled: 1-line block ×3, first 2 shown]
	v_lshl_add_u64 v[52:53], v[2:3], 0, v[12:13]
	global_load_dwordx4 v[0:3], v[50:51], off
	global_load_dwordx4 v[4:7], v[52:53], off
	s_mul_hi_i32 s7, s2, s14
	s_mul_i32 s6, s2, s14
	s_lshl_b64 s[6:7], s[6:7], 2
	s_add_u32 s4, s28, s6
	s_addc_u32 s5, s29, s7
	v_lshl_add_u64 v[50:51], v[20:21], 2, s[4:5]
	v_lshl_add_u64 v[52:53], v[22:23], 2, s[4:5]
	;; [unrolled: 1-line block ×4, first 2 shown]
	v_mov_b32_e32 v49, v24
	v_mov_b32_e32 v24, 0
	;; [unrolled: 1-line block ×4, first 2 shown]
	v_max_f32_e32 v60, v49, v49
	v_max_f32_e32 v61, v48, v48
	s_waitcnt vmcnt(1)
	ds_write_b128 v36, v[0:3]
	s_waitcnt vmcnt(0)
	ds_write_b128 v37, v[4:7]
	s_waitcnt lgkmcnt(0)
	s_barrier
	ds_read_b128 v[0:3], v38
	ds_read_b128 v[4:7], v39
	ds_read_b128 v[50:53], v39 offset:128
	s_waitcnt lgkmcnt(1)
	;;#ASMSTART
	v_dot2_f32_f16 v24, v0, v4, v24
	;;#ASMEND
	s_nop 0
	;;#ASMSTART
	v_dot2_f32_f16 v24, v1, v5, v24
	;;#ASMEND
	s_nop 0
	;;#ASMSTART
	v_dot2_f32_f16 v24, v2, v6, v24
	;;#ASMEND
	s_nop 0
	;;#ASMSTART
	v_dot2_f32_f16 v24, v3, v7, v24
	;;#ASMEND
	s_waitcnt lgkmcnt(0)
	;;#ASMSTART
	v_dot2_f32_f16 v25, v0, v50, v25
	;;#ASMEND
	s_nop 0
	;;#ASMSTART
	v_dot2_f32_f16 v25, v1, v51, v25
	;;#ASMEND
	s_nop 0
	;;#ASMSTART
	v_dot2_f32_f16 v25, v2, v52, v25
	;;#ASMEND
	s_nop 0
	;;#ASMSTART
	v_dot2_f32_f16 v25, v3, v53, v25
	;;#ASMEND
	ds_read_b128 v[0:3], v38 offset:16
	ds_read_b128 v[4:7], v39 offset:16
	ds_read_b128 v[50:53], v39 offset:144
	s_waitcnt lgkmcnt(1)
	;;#ASMSTART
	v_dot2_f32_f16 v24, v0, v4, v24
	;;#ASMEND
	s_nop 0
	;;#ASMSTART
	v_dot2_f32_f16 v24, v1, v5, v24
	;;#ASMEND
	s_nop 0
	;;#ASMSTART
	v_dot2_f32_f16 v24, v2, v6, v24
	;;#ASMEND
	s_nop 0
	;;#ASMSTART
	v_dot2_f32_f16 v24, v3, v7, v24
	;;#ASMEND
	s_waitcnt lgkmcnt(0)
	;;#ASMSTART
	v_dot2_f32_f16 v25, v0, v50, v25
	;;#ASMEND
	s_nop 0
	;;#ASMSTART
	v_dot2_f32_f16 v25, v1, v51, v25
	;;#ASMEND
	s_nop 0
	;;#ASMSTART
	v_dot2_f32_f16 v25, v2, v52, v25
	;;#ASMEND
	s_nop 0
	;;#ASMSTART
	v_dot2_f32_f16 v25, v3, v53, v25
	;;#ASMEND
	ds_read_b128 v[0:3], v38 offset:32
	ds_read_b128 v[4:7], v39 offset:32
	;; [unrolled: 35-line block ×7, first 2 shown]
	ds_read_b128 v[50:53], v39 offset:240
	s_waitcnt lgkmcnt(1)
	;;#ASMSTART
	v_dot2_f32_f16 v24, v0, v4, v24
	;;#ASMEND
	s_nop 0
	;;#ASMSTART
	v_dot2_f32_f16 v24, v1, v5, v24
	;;#ASMEND
	s_nop 0
	;; [unrolled: 4-line block ×3, first 2 shown]
	;;#ASMSTART
	v_dot2_f32_f16 v24, v3, v7, v24
	;;#ASMEND
	s_waitcnt lgkmcnt(0)
	;;#ASMSTART
	v_dot2_f32_f16 v25, v0, v50, v25
	;;#ASMEND
	s_nop 0
	;;#ASMSTART
	v_dot2_f32_f16 v25, v1, v51, v25
	;;#ASMEND
	s_nop 0
	;; [unrolled: 4-line block ×3, first 2 shown]
	;;#ASMSTART
	v_dot2_f32_f16 v25, v3, v53, v25
	;;#ASMEND
	global_load_ushort v50, v[54:55], off
	s_barrier
	global_load_dwordx4 v[0:3], v[56:57], off
	global_load_dwordx4 v[4:7], v[58:59], off
	s_waitcnt vmcnt(2)
	v_cvt_f32_f16_e32 v50, v50
	v_add_f32_e32 v51, v24, v50
	v_add_f32_e32 v50, v25, v50
	;; [unrolled: 1-line block ×4, first 2 shown]
	v_max_f32_e32 v24, v60, v24
	v_max_f32_e32 v25, v61, v25
	ds_bpermute_b32 v52, v62, v24
	ds_bpermute_b32 v53, v62, v25
	s_waitcnt lgkmcnt(1)
	v_max_f32_e32 v52, v52, v52
	s_waitcnt lgkmcnt(0)
	v_max_f32_e32 v53, v53, v53
	v_max_f32_e32 v24, v24, v52
	v_max_f32_e32 v25, v25, v53
	ds_bpermute_b32 v52, v63, v24
	ds_bpermute_b32 v53, v63, v25
	s_waitcnt lgkmcnt(1)
	v_max_f32_e32 v52, v52, v52
	s_waitcnt lgkmcnt(0)
	v_max_f32_e32 v53, v53, v53
	;; [unrolled: 8-line block ×5, first 2 shown]
	v_max_f32_e32 v24, v24, v52
	v_max_f32_e32 v25, v25, v53
	v_sub_f32_e32 v51, v51, v24
	v_sub_f32_e32 v50, v50, v25
	;; [unrolled: 1-line block ×4, first 2 shown]
	v_mul_f32_e32 v52, 0x3fb8aa3b, v51
	v_mul_f32_e32 v53, 0x3fb8aa3b, v50
	;; [unrolled: 1-line block ×4, first 2 shown]
	v_fma_f32 v56, v51, s31, -v52
	v_rndne_f32_e32 v57, v52
	v_fma_f32 v58, v50, s31, -v53
	v_rndne_f32_e32 v59, v53
	v_fma_f32 v60, v49, s31, -v54
	v_fma_f32 v61, v48, s31, -v55
	v_rndne_f32_e32 v62, v54
	v_rndne_f32_e32 v63, v55
	v_fmac_f32_e32 v56, 0x32a5705f, v51
	v_sub_f32_e32 v52, v52, v57
	v_fmac_f32_e32 v58, 0x32a5705f, v50
	v_sub_f32_e32 v53, v53, v59
	v_fmac_f32_e32 v60, 0x32a5705f, v49
	v_fmac_f32_e32 v61, 0x32a5705f, v48
	v_sub_f32_e32 v54, v54, v62
	v_sub_f32_e32 v55, v55, v63
	v_add_f32_e32 v52, v52, v56
	v_add_f32_e32 v53, v53, v58
	;; [unrolled: 1-line block ×4, first 2 shown]
	v_cvt_i32_f32_e32 v57, v57
	v_cvt_i32_f32_e32 v59, v59
	;; [unrolled: 1-line block ×4, first 2 shown]
	v_exp_f32_e32 v52, v52
	v_exp_f32_e32 v53, v53
	v_exp_f32_e32 v54, v54
	v_exp_f32_e32 v55, v55
	v_ldexp_f32 v52, v52, v57
	v_cmp_ngt_f32_e32 vcc, s33, v51
	v_ldexp_f32 v53, v53, v59
	v_ldexp_f32 v54, v54, v62
	v_cmp_ngt_f32_e64 s[4:5], s33, v49
	v_ldexp_f32 v55, v55, v63
	v_cmp_ngt_f32_e64 s[6:7], s33, v48
	v_cmp_ngt_f32_e64 s[8:9], s33, v50
	s_nop 1
	v_cndmask_b32_e64 v53, 0, v53, s[8:9]
	v_cmp_nlt_f32_e64 s[8:9], s34, v50
	v_cndmask_b32_e32 v50, 0, v52, vcc
	v_cndmask_b32_e64 v52, 0, v54, s[4:5]
	v_cmp_nlt_f32_e32 vcc, s34, v49
	v_cndmask_b32_e64 v54, 0, v55, s[6:7]
	v_cmp_nlt_f32_e64 s[4:5], s34, v48
	v_cmp_nlt_f32_e64 s[6:7], s34, v51
	v_cndmask_b32_e64 v49, v43, v53, s[8:9]
	v_cndmask_b32_e64 v51, v43, v54, s[4:5]
	;; [unrolled: 1-line block ×3, first 2 shown]
	v_cndmask_b32_e32 v50, v43, v52, vcc
	v_cvt_f16_f32_e32 v88, v50
	v_cvt_f16_f32_e32 v89, v51
	v_cvt_pk_f16_f32 v52, v48, v49
	v_pk_fma_f32 v[10:11], v[10:11], v[50:51], v[48:49]
	ds_write_b32 v44, v52
	s_waitcnt vmcnt(1)
	ds_write_b128 v41, v[0:3]
	s_waitcnt vmcnt(0)
	ds_write_b128 v42, v[4:7]
	s_waitcnt lgkmcnt(0)
	s_barrier
	ds_read_b128 v[0:3], v40
	ds_read_b128 v[4:7], v40 offset:16
	ds_read_b128 v[48:51], v40 offset:32
	;; [unrolled: 1-line block ×7, first 2 shown]
	ds_read2_b32 v[72:73], v35 offset1:32
	ds_read2_b32 v[74:75], v35 offset0:64 offset1:96
	ds_read2_b32 v[76:77], v35 offset0:128 offset1:160
	;; [unrolled: 1-line block ×3, first 2 shown]
	ds_read2_b32 v[80:81], v45 offset1:32
	ds_read2_b32 v[82:83], v45 offset0:64 offset1:96
	ds_read2_b32 v[84:85], v45 offset0:128 offset1:160
	;; [unrolled: 1-line block ×3, first 2 shown]
	s_waitcnt lgkmcnt(14)
	v_mul_u32_u24_sdwa v90, v0, s35 dst_sel:DWORD dst_unused:UNUSED_PAD src0_sel:WORD_0 src1_sel:DWORD
	v_mul_u32_u24_sdwa v91, v0, s35 dst_sel:DWORD dst_unused:UNUSED_PAD src0_sel:WORD_1 src1_sel:DWORD
	v_mul_u32_u24_sdwa v98, v4, s35 dst_sel:DWORD dst_unused:UNUSED_PAD src0_sel:WORD_0 src1_sel:DWORD
	v_mul_u32_u24_sdwa v99, v4, s35 dst_sel:DWORD dst_unused:UNUSED_PAD src0_sel:WORD_1 src1_sel:DWORD
	;; [unrolled: 2-line block ×5, first 2 shown]
	v_mul_u32_u24_e32 v4, 0x10001, v88
	s_waitcnt lgkmcnt(7)
	v_pk_mul_f16 v5, v72, v90
	v_mul_u32_u24_e32 v6, 0x10001, v89
	v_pk_mul_f16 v7, v72, v91
	v_mul_u32_u24_sdwa v92, v1, s35 dst_sel:DWORD dst_unused:UNUSED_PAD src0_sel:WORD_0 src1_sel:DWORD
	v_mul_u32_u24_sdwa v93, v1, s35 dst_sel:DWORD dst_unused:UNUSED_PAD src0_sel:WORD_1 src1_sel:DWORD
	v_pk_fma_f16 v27, v27, v4, v5
	v_pk_fma_f16 v19, v19, v6, v7
	v_mul_u32_u24_sdwa v94, v2, s35 dst_sel:DWORD dst_unused:UNUSED_PAD src0_sel:WORD_0 src1_sel:DWORD
	v_mul_u32_u24_sdwa v95, v2, s35 dst_sel:DWORD dst_unused:UNUSED_PAD src0_sel:WORD_1 src1_sel:DWORD
	v_pk_fma_f16 v27, v73, v92, v27
	v_pk_fma_f16 v19, v73, v93, v19
	v_mul_u32_u24_sdwa v96, v3, s35 dst_sel:DWORD dst_unused:UNUSED_PAD src0_sel:WORD_0 src1_sel:DWORD
	v_mul_u32_u24_sdwa v97, v3, s35 dst_sel:DWORD dst_unused:UNUSED_PAD src0_sel:WORD_1 src1_sel:DWORD
	s_waitcnt lgkmcnt(6)
	v_pk_fma_f16 v27, v74, v94, v27
	v_pk_fma_f16 v19, v74, v95, v19
	;; [unrolled: 1-line block ×4, first 2 shown]
	s_waitcnt lgkmcnt(5)
	v_pk_fma_f16 v27, v76, v98, v27
	v_pk_fma_f16 v19, v76, v99, v19
	;; [unrolled: 1-line block ×4, first 2 shown]
	s_waitcnt lgkmcnt(4)
	v_pk_fma_f16 v27, v78, v102, v27
	v_pk_fma_f16 v19, v78, v103, v19
	v_mul_u32_u24_sdwa v106, v48, s35 dst_sel:DWORD dst_unused:UNUSED_PAD src0_sel:WORD_0 src1_sel:DWORD
	v_mul_u32_u24_sdwa v107, v48, s35 dst_sel:DWORD dst_unused:UNUSED_PAD src0_sel:WORD_1 src1_sel:DWORD
	v_pk_fma_f16 v27, v79, v104, v27
	v_pk_fma_f16 v19, v79, v105, v19
	v_mul_u32_u24_sdwa v108, v49, s35 dst_sel:DWORD dst_unused:UNUSED_PAD src0_sel:WORD_0 src1_sel:DWORD
	v_mul_u32_u24_sdwa v109, v49, s35 dst_sel:DWORD dst_unused:UNUSED_PAD src0_sel:WORD_1 src1_sel:DWORD
	s_waitcnt lgkmcnt(3)
	v_pk_fma_f16 v27, v80, v106, v27
	v_pk_fma_f16 v19, v80, v107, v19
	v_mul_u32_u24_sdwa v110, v50, s35 dst_sel:DWORD dst_unused:UNUSED_PAD src0_sel:WORD_0 src1_sel:DWORD
	v_mul_u32_u24_sdwa v111, v50, s35 dst_sel:DWORD dst_unused:UNUSED_PAD src0_sel:WORD_1 src1_sel:DWORD
	v_pk_fma_f16 v27, v81, v108, v27
	v_pk_fma_f16 v19, v81, v109, v19
	v_mul_u32_u24_sdwa v112, v51, s35 dst_sel:DWORD dst_unused:UNUSED_PAD src0_sel:WORD_0 src1_sel:DWORD
	v_mul_u32_u24_sdwa v113, v51, s35 dst_sel:DWORD dst_unused:UNUSED_PAD src0_sel:WORD_1 src1_sel:DWORD
	;; [unrolled: 9-line block ×3, first 2 shown]
	ds_read2_b32 v[0:1], v46 offset1:32
	ds_read2_b32 v[2:3], v46 offset0:64 offset1:96
	s_waitcnt lgkmcnt(3)
	v_pk_fma_f16 v27, v84, v114, v27
	v_pk_fma_f16 v19, v84, v115, v19
	v_mul_u32_u24_sdwa v118, v54, s35 dst_sel:DWORD dst_unused:UNUSED_PAD src0_sel:WORD_0 src1_sel:DWORD
	v_mul_u32_u24_sdwa v119, v54, s35 dst_sel:DWORD dst_unused:UNUSED_PAD src0_sel:WORD_1 src1_sel:DWORD
	v_pk_fma_f16 v27, v85, v116, v27
	v_pk_fma_f16 v19, v85, v117, v19
	v_mul_u32_u24_sdwa v120, v55, s35 dst_sel:DWORD dst_unused:UNUSED_PAD src0_sel:WORD_0 src1_sel:DWORD
	v_mul_u32_u24_sdwa v121, v55, s35 dst_sel:DWORD dst_unused:UNUSED_PAD src0_sel:WORD_1 src1_sel:DWORD
	s_waitcnt lgkmcnt(2)
	v_pk_fma_f16 v27, v86, v118, v27
	v_pk_fma_f16 v19, v86, v119, v19
	v_mul_u32_u24_sdwa v122, v56, s35 dst_sel:DWORD dst_unused:UNUSED_PAD src0_sel:WORD_0 src1_sel:DWORD
	v_mul_u32_u24_sdwa v56, v56, s35 dst_sel:DWORD dst_unused:UNUSED_PAD src0_sel:WORD_1 src1_sel:DWORD
	ds_read2_b32 v[4:5], v46 offset0:128 offset1:160
	v_pk_fma_f16 v27, v87, v120, v27
	v_pk_fma_f16 v19, v87, v121, v19
	v_mul_u32_u24_sdwa v123, v57, s35 dst_sel:DWORD dst_unused:UNUSED_PAD src0_sel:WORD_0 src1_sel:DWORD
	v_mul_u32_u24_sdwa v57, v57, s35 dst_sel:DWORD dst_unused:UNUSED_PAD src0_sel:WORD_1 src1_sel:DWORD
	s_waitcnt lgkmcnt(2)
	v_pk_fma_f16 v27, v0, v122, v27
	v_pk_fma_f16 v0, v0, v56, v19
	v_mul_u32_u24_sdwa v124, v58, s35 dst_sel:DWORD dst_unused:UNUSED_PAD src0_sel:WORD_0 src1_sel:DWORD
	v_mul_u32_u24_sdwa v58, v58, s35 dst_sel:DWORD dst_unused:UNUSED_PAD src0_sel:WORD_1 src1_sel:DWORD
	ds_read2_b32 v[6:7], v46 offset0:192 offset1:224
	v_pk_fma_f16 v19, v1, v123, v27
	v_pk_fma_f16 v0, v1, v57, v0
	v_mul_u32_u24_sdwa v125, v59, s35 dst_sel:DWORD dst_unused:UNUSED_PAD src0_sel:WORD_0 src1_sel:DWORD
	v_mul_u32_u24_sdwa v59, v59, s35 dst_sel:DWORD dst_unused:UNUSED_PAD src0_sel:WORD_1 src1_sel:DWORD
	s_waitcnt lgkmcnt(2)
	v_pk_fma_f16 v1, v2, v124, v19
	v_pk_fma_f16 v0, v2, v58, v0
	v_mul_u32_u24_sdwa v126, v60, s35 dst_sel:DWORD dst_unused:UNUSED_PAD src0_sel:WORD_0 src1_sel:DWORD
	v_mul_u32_u24_sdwa v60, v60, s35 dst_sel:DWORD dst_unused:UNUSED_PAD src0_sel:WORD_1 src1_sel:DWORD
	v_pk_fma_f16 v1, v3, v125, v1
	v_pk_fma_f16 v0, v3, v59, v0
	v_mul_u32_u24_sdwa v127, v61, s35 dst_sel:DWORD dst_unused:UNUSED_PAD src0_sel:WORD_0 src1_sel:DWORD
	v_mul_u32_u24_sdwa v61, v61, s35 dst_sel:DWORD dst_unused:UNUSED_PAD src0_sel:WORD_1 src1_sel:DWORD
	ds_read2_b32 v[48:49], v47 offset1:32
	ds_read2_b32 v[50:51], v47 offset0:64 offset1:96
	s_waitcnt lgkmcnt(3)
	v_pk_fma_f16 v1, v4, v126, v1
	v_pk_fma_f16 v0, v4, v60, v0
	v_mul_u32_u24_sdwa v128, v62, s35 dst_sel:DWORD dst_unused:UNUSED_PAD src0_sel:WORD_0 src1_sel:DWORD
	v_mul_u32_u24_sdwa v62, v62, s35 dst_sel:DWORD dst_unused:UNUSED_PAD src0_sel:WORD_1 src1_sel:DWORD
	v_pk_fma_f16 v1, v5, v127, v1
	v_pk_fma_f16 v0, v5, v61, v0
	v_mul_u32_u24_sdwa v129, v63, s35 dst_sel:DWORD dst_unused:UNUSED_PAD src0_sel:WORD_0 src1_sel:DWORD
	v_mul_u32_u24_sdwa v63, v63, s35 dst_sel:DWORD dst_unused:UNUSED_PAD src0_sel:WORD_1 src1_sel:DWORD
	s_waitcnt lgkmcnt(2)
	v_pk_fma_f16 v1, v6, v128, v1
	v_pk_fma_f16 v0, v6, v62, v0
	v_mul_u32_u24_sdwa v130, v64, s35 dst_sel:DWORD dst_unused:UNUSED_PAD src0_sel:WORD_0 src1_sel:DWORD
	v_mul_u32_u24_sdwa v64, v64, s35 dst_sel:DWORD dst_unused:UNUSED_PAD src0_sel:WORD_1 src1_sel:DWORD
	ds_read2_b32 v[52:53], v47 offset0:128 offset1:160
	v_pk_fma_f16 v1, v7, v129, v1
	v_pk_fma_f16 v0, v7, v63, v0
	v_mul_u32_u24_sdwa v131, v65, s35 dst_sel:DWORD dst_unused:UNUSED_PAD src0_sel:WORD_0 src1_sel:DWORD
	v_mul_u32_u24_sdwa v65, v65, s35 dst_sel:DWORD dst_unused:UNUSED_PAD src0_sel:WORD_1 src1_sel:DWORD
	ds_read2_b32 v[54:55], v47 offset0:192 offset1:224
	s_waitcnt lgkmcnt(0)
	s_barrier
	s_load_dword s4, s[10:11], 0x4
	v_pk_fma_f16 v1, v48, v130, v1
	v_pk_fma_f16 v0, v48, v64, v0
	v_mul_u32_u24_sdwa v132, v66, s35 dst_sel:DWORD dst_unused:UNUSED_PAD src0_sel:WORD_0 src1_sel:DWORD
	v_mul_u32_u24_sdwa v66, v66, s35 dst_sel:DWORD dst_unused:UNUSED_PAD src0_sel:WORD_1 src1_sel:DWORD
	v_pk_fma_f16 v1, v49, v131, v1
	v_pk_fma_f16 v0, v49, v65, v0
	v_mul_u32_u24_sdwa v133, v67, s35 dst_sel:DWORD dst_unused:UNUSED_PAD src0_sel:WORD_0 src1_sel:DWORD
	v_mul_u32_u24_sdwa v67, v67, s35 dst_sel:DWORD dst_unused:UNUSED_PAD src0_sel:WORD_1 src1_sel:DWORD
	;; [unrolled: 4-line block ×5, first 2 shown]
	s_waitcnt lgkmcnt(0)
	s_lshl_b32 s4, s4, 5
	v_pk_fma_f16 v1, v53, v135, v1
	v_pk_fma_f16 v0, v53, v69, v0
	v_mul_u32_u24_sdwa v137, v71, s35 dst_sel:DWORD dst_unused:UNUSED_PAD src0_sel:WORD_0 src1_sel:DWORD
	v_mul_u32_u24_sdwa v71, v71, s35 dst_sel:DWORD dst_unused:UNUSED_PAD src0_sel:WORD_1 src1_sel:DWORD
	s_add_i32 s2, s4, s2
	v_pk_fma_f16 v1, v54, v136, v1
	v_pk_fma_f16 v0, v54, v70, v0
	s_cmp_ge_i32 s2, s24
	v_pk_fma_f16 v27, v55, v137, v1
	v_pk_fma_f16 v19, v55, v71, v0
	s_cbranch_scc0 .LBB13_9
.LBB13_10:
	v_cmp_lt_i32_e32 vcc, v34, v29
	s_cmp_lg_u64 s[12:13], 0
	s_cselect_b64 s[6:7], -1, 0
	v_cndmask_b32_e32 v0, v28, v34, vcc
	v_lshlrev_b32_e32 v1, 2, v0
	ds_bpermute_b32 v0, v1, v10
	ds_bpermute_b32 v1, v1, v11
	v_cmp_lt_i32_e32 vcc, v33, v29
	s_cmp_eq_u32 s3, 0
	s_cselect_b64 s[8:9], -1, 0
	v_cndmask_b32_e32 v2, v28, v33, vcc
	v_lshlrev_b32_e32 v3, 2, v2
	s_waitcnt lgkmcnt(0)
	v_pk_add_f32 v[0:1], v[10:11], v[0:1]
	ds_bpermute_b32 v2, v3, v0
	ds_bpermute_b32 v3, v3, v1
	v_cmp_lt_i32_e32 vcc, v32, v29
	s_and_b64 s[6:7], s[8:9], s[6:7]
	v_lshlrev_b32_e32 v6, 1, v8
	v_cndmask_b32_e32 v4, v28, v32, vcc
	v_lshlrev_b32_e32 v4, 2, v4
	s_waitcnt lgkmcnt(0)
	v_pk_add_f32 v[0:1], v[0:1], v[2:3]
	ds_bpermute_b32 v2, v4, v0
	ds_bpermute_b32 v3, v4, v1
	v_cmp_lt_i32_e32 vcc, v31, v29
	s_mov_b64 s[4:5], 0
	s_waitcnt lgkmcnt(0)
	v_pk_add_f32 v[0:1], v[0:1], v[2:3]
	v_cndmask_b32_e32 v4, v28, v31, vcc
	v_lshlrev_b32_e32 v4, 2, v4
	ds_bpermute_b32 v2, v4, v0
	ds_bpermute_b32 v3, v4, v1
	v_cmp_lt_i32_e32 vcc, v30, v29
	s_waitcnt lgkmcnt(0)
	v_pk_add_f32 v[0:1], v[0:1], v[2:3]
	v_cndmask_b32_e32 v4, v28, v30, vcc
	v_lshlrev_b32_e32 v5, 2, v4
	ds_bpermute_b32 v4, v5, v0
	ds_bpermute_b32 v5, v5, v1
	s_and_b64 vcc, exec, s[6:7]
	v_add_u32_e32 v2, s25, v26
	s_cbranch_vccnz .LBB13_13
; %bb.11:
	v_add_u32_e32 v3, s25, v26
	s_andn2_b64 vcc, exec, s[4:5]
	s_waitcnt lgkmcnt(0)
	v_pk_add_f32 v[0:1], v[0:1], v[4:5]
	s_cbranch_vccz .LBB13_14
; %bb.12:
	v_mov_b32_e32 v2, v3
	s_branch .LBB13_15
.LBB13_13:
                                        ; implicit-def: $vgpr3
	s_waitcnt lgkmcnt(0)
	v_pk_add_f32 v[0:1], v[0:1], v[4:5]
.LBB13_14:
	v_ashrrev_i32_e32 v3, 31, v2
	v_lshl_add_u64 v[4:5], v[2:3], 2, s[12:13]
	global_load_dwordx2 v[4:5], v[4:5], off
	v_max_f32_e32 v3, v24, v24
	v_max_f32_e32 v11, v25, v25
	s_mov_b32 s2, 0x3fb8aa3b
	s_mov_b32 s4, 0xc2ce8ed0
	;; [unrolled: 1-line block ×3, first 2 shown]
	v_mov_b32_e32 v7, 0x7f800000
	s_waitcnt vmcnt(0)
	v_max_f32_e32 v10, v4, v4
	v_max_f32_e32 v10, v3, v10
	;; [unrolled: 1-line block ×3, first 2 shown]
	v_sub_f32_e32 v3, v24, v10
	v_max_f32_e32 v11, v11, v12
	v_sub_f32_e32 v12, v4, v10
	v_mul_f32_e32 v4, 0x3fb8aa3b, v3
	v_sub_f32_e32 v13, v25, v11
	v_sub_f32_e32 v14, v5, v11
	v_mul_f32_e32 v5, 0x3fb8aa3b, v12
	v_fma_f32 v17, v3, s2, -v4
	v_rndne_f32_e32 v18, v4
	v_mul_f32_e32 v15, 0x3fb8aa3b, v13
	v_fma_f32 v20, v12, s2, -v5
	v_rndne_f32_e32 v21, v5
	v_fmac_f32_e32 v17, 0x32a5705f, v3
	v_sub_f32_e32 v4, v4, v18
	v_mul_f32_e32 v16, 0x3fb8aa3b, v14
	v_fma_f32 v22, v13, s2, -v15
	v_rndne_f32_e32 v23, v15
	v_fmac_f32_e32 v20, 0x32a5705f, v12
	v_sub_f32_e32 v5, v5, v21
	v_add_f32_e32 v4, v4, v17
	v_fma_f32 v24, v14, s2, -v16
	v_rndne_f32_e32 v25, v16
	v_cvt_i32_f32_e32 v18, v18
	v_fmac_f32_e32 v22, 0x32a5705f, v13
	v_sub_f32_e32 v15, v15, v23
	v_add_f32_e32 v5, v5, v20
	v_exp_f32_e32 v4, v4
	v_cvt_i32_f32_e32 v21, v21
	v_fmac_f32_e32 v24, 0x32a5705f, v14
	v_sub_f32_e32 v16, v16, v25
	v_add_f32_e32 v15, v15, v22
	v_exp_f32_e32 v5, v5
	v_cvt_i32_f32_e32 v23, v23
	v_add_f32_e32 v16, v16, v24
	v_exp_f32_e32 v15, v15
	v_cvt_i32_f32_e32 v25, v25
	v_exp_f32_e32 v16, v16
	v_ldexp_f32 v4, v4, v18
	v_cmp_ngt_f32_e32 vcc, s4, v3
	v_ldexp_f32 v5, v5, v21
	v_ldexp_f32 v15, v15, v23
	v_cndmask_b32_e32 v4, 0, v4, vcc
	v_cmp_ngt_f32_e32 vcc, s4, v12
	v_ldexp_f32 v16, v16, v25
	v_mov_b64_e32 v[24:25], v[10:11]
	v_cndmask_b32_e32 v5, 0, v5, vcc
	v_cmp_ngt_f32_e32 vcc, s4, v13
	s_nop 1
	v_cndmask_b32_e32 v15, 0, v15, vcc
	v_cmp_ngt_f32_e32 vcc, s4, v14
	s_nop 1
	v_cndmask_b32_e32 v16, 0, v16, vcc
	v_cmp_nlt_f32_e32 vcc, s5, v3
	s_nop 1
	v_cndmask_b32_e32 v4, v7, v4, vcc
	v_cmp_nlt_f32_e32 vcc, s5, v12
	v_cvt_f16_f32_e32 v3, v4
	v_mul_u32_u24_e32 v3, 0x10001, v3
	v_cndmask_b32_e32 v12, v7, v5, vcc
	v_cmp_nlt_f32_e32 vcc, s5, v13
	v_pk_mul_f16 v27, v27, v3
	s_nop 0
	v_cndmask_b32_e32 v5, v7, v15, vcc
	v_cvt_f16_f32_e32 v15, v5
	v_cmp_nlt_f32_e32 vcc, s5, v14
	s_nop 1
	v_cndmask_b32_e32 v13, v7, v16, vcc
	v_pk_fma_f32 v[0:1], v[0:1], v[4:5], v[12:13]
	v_mul_u32_u24_e32 v4, 0x10001, v15
	v_pk_mul_f16 v19, v19, v4
.LBB13_15:
	s_load_dword s6, s[0:1], 0xd4
	v_mov_b32_e32 v4, 1.0
	s_waitcnt lgkmcnt(0)
	s_cmp_lg_u32 s6, 1
	s_cselect_b64 s[0:1], -1, 0
	s_cmp_eq_u32 s6, 1
	s_cselect_b64 s[4:5], -1, 0
	s_and_b64 vcc, exec, s[0:1]
	s_cbranch_vccnz .LBB13_17
; %bb.16:
	v_div_scale_f32 v3, s[8:9], v0, v0, 1.0
	v_rcp_f32_e32 v4, v3
	v_div_scale_f32 v5, vcc, 1.0, v0, 1.0
	v_fma_f32 v7, -v3, v4, 1.0
	v_fmac_f32_e32 v4, v7, v4
	v_mul_f32_e32 v7, v5, v4
	v_fma_f32 v10, -v3, v7, v5
	v_fmac_f32_e32 v7, v10, v4
	v_fma_f32 v3, -v3, v7, v5
	v_div_fmas_f32 v3, v3, v4, v7
	v_div_fixup_f32 v4, v3, v0, 1.0
.LBB13_17:
	s_mul_i32 s30, s30, s22
	v_add_u32_e32 v3, s30, v9
	v_mad_u64_u32 v[2:3], s[8:9], v3, s23, v[2:3]
	v_cmp_eq_u32_e32 vcc, 0, v8
	v_cvt_f32_f16_sdwa v9, v27 dst_sel:DWORD dst_unused:UNUSED_PAD src0_sel:WORD_1
	v_cvt_f32_f16_e32 v8, v27
	v_mul_lo_u32 v2, s6, v2
	v_add_u32_e32 v2, s3, v2
	v_lshl_add_u32 v10, v2, 6, v6
	v_mov_b32_e32 v11, 0
	s_and_b64 s[0:1], vcc, s[0:1]
	v_lshl_add_u64 v[10:11], v[10:11], 2, s[16:17]
	v_pk_mul_f32 v[4:5], v[4:5], v[8:9] op_sel_hi:[0,1]
	global_store_dwordx2 v[10:11], v[4:5], off
	s_and_saveexec_b64 s[2:3], s[0:1]
	s_cbranch_execz .LBB13_19
; %bb.18:
	v_ashrrev_i32_e32 v3, 31, v2
	v_lshl_add_u64 v[4:5], v[2:3], 3, s[18:19]
	v_mov_b32_e32 v8, v24
	v_mov_b32_e32 v9, v0
	global_store_dwordx2 v[4:5], v[8:9], off
.LBB13_19:
	s_or_b64 exec, exec, s[2:3]
	s_andn2_b64 vcc, exec, s[4:5]
	v_mov_b32_e32 v0, 1.0
	s_cbranch_vccnz .LBB13_21
; %bb.20:
	v_div_scale_f32 v0, s[2:3], v1, v1, 1.0
	v_rcp_f32_e32 v3, v0
	v_div_scale_f32 v4, vcc, 1.0, v1, 1.0
	v_fma_f32 v5, -v0, v3, 1.0
	v_fmac_f32_e32 v3, v5, v3
	v_mul_f32_e32 v5, v4, v3
	v_fma_f32 v7, -v0, v5, v4
	v_fmac_f32_e32 v5, v7, v3
	v_fma_f32 v0, -v0, v5, v4
	v_div_fmas_f32 v0, v0, v3, v5
	v_div_fixup_f32 v0, v0, v1, 1.0
.LBB13_21:
	v_cvt_f32_f16_sdwa v5, v19 dst_sel:DWORD dst_unused:UNUSED_PAD src0_sel:WORD_1
	v_cvt_f32_f16_e32 v4, v19
	v_add_u32_e32 v2, s6, v2
	v_lshl_add_u32 v6, v2, 6, v6
	v_mov_b32_e32 v7, 0
	v_lshl_add_u64 v[6:7], v[6:7], 2, s[16:17]
	v_pk_mul_f32 v[4:5], v[0:1], v[4:5] op_sel_hi:[0,1]
	global_store_dwordx2 v[6:7], v[4:5], off
	s_and_saveexec_b64 s[2:3], s[0:1]
	s_cbranch_execz .LBB13_23
; %bb.22:
	v_ashrrev_i32_e32 v3, 31, v2
	v_lshl_add_u64 v[2:3], v[2:3], 3, s[18:19]
	v_mov_b32_e32 v0, v25
	global_store_dwordx2 v[2:3], v[0:1], off
.LBB13_23:
	s_endpgm
	.section	.rodata,"a",@progbits
	.p2align	6, 0x0
	.amdhsa_kernel _ZL15flash_attn_tileILi64ELi64ELi1ELi8ELb0EEvPKcS1_S1_S1_S1_PKiPfP15HIP_vector_typeIfLj2EEffffjfiS5_IjLj3EEiiiiiiiiiiiliiliiiiil
		.amdhsa_group_segment_fixed_size 6144
		.amdhsa_private_segment_fixed_size 0
		.amdhsa_kernarg_size 464
		.amdhsa_user_sgpr_count 2
		.amdhsa_user_sgpr_dispatch_ptr 0
		.amdhsa_user_sgpr_queue_ptr 0
		.amdhsa_user_sgpr_kernarg_segment_ptr 1
		.amdhsa_user_sgpr_dispatch_id 0
		.amdhsa_user_sgpr_kernarg_preload_length 0
		.amdhsa_user_sgpr_kernarg_preload_offset 0
		.amdhsa_user_sgpr_private_segment_size 0
		.amdhsa_uses_dynamic_stack 0
		.amdhsa_enable_private_segment 0
		.amdhsa_system_sgpr_workgroup_id_x 1
		.amdhsa_system_sgpr_workgroup_id_y 1
		.amdhsa_system_sgpr_workgroup_id_z 1
		.amdhsa_system_sgpr_workgroup_info 0
		.amdhsa_system_vgpr_workitem_id 1
		.amdhsa_next_free_vgpr 138
		.amdhsa_next_free_sgpr 40
		.amdhsa_accum_offset 140
		.amdhsa_reserve_vcc 1
		.amdhsa_float_round_mode_32 0
		.amdhsa_float_round_mode_16_64 0
		.amdhsa_float_denorm_mode_32 3
		.amdhsa_float_denorm_mode_16_64 3
		.amdhsa_dx10_clamp 1
		.amdhsa_ieee_mode 1
		.amdhsa_fp16_overflow 0
		.amdhsa_tg_split 0
		.amdhsa_exception_fp_ieee_invalid_op 0
		.amdhsa_exception_fp_denorm_src 0
		.amdhsa_exception_fp_ieee_div_zero 0
		.amdhsa_exception_fp_ieee_overflow 0
		.amdhsa_exception_fp_ieee_underflow 0
		.amdhsa_exception_fp_ieee_inexact 0
		.amdhsa_exception_int_div_zero 0
	.end_amdhsa_kernel
	.section	.text._ZL15flash_attn_tileILi64ELi64ELi1ELi8ELb0EEvPKcS1_S1_S1_S1_PKiPfP15HIP_vector_typeIfLj2EEffffjfiS5_IjLj3EEiiiiiiiiiiiliiliiiiil,"axG",@progbits,_ZL15flash_attn_tileILi64ELi64ELi1ELi8ELb0EEvPKcS1_S1_S1_S1_PKiPfP15HIP_vector_typeIfLj2EEffffjfiS5_IjLj3EEiiiiiiiiiiiliiliiiiil,comdat
.Lfunc_end13:
	.size	_ZL15flash_attn_tileILi64ELi64ELi1ELi8ELb0EEvPKcS1_S1_S1_S1_PKiPfP15HIP_vector_typeIfLj2EEffffjfiS5_IjLj3EEiiiiiiiiiiiliiliiiiil, .Lfunc_end13-_ZL15flash_attn_tileILi64ELi64ELi1ELi8ELb0EEvPKcS1_S1_S1_S1_PKiPfP15HIP_vector_typeIfLj2EEffffjfiS5_IjLj3EEiiiiiiiiiiiliiliiiiil
                                        ; -- End function
	.set _ZL15flash_attn_tileILi64ELi64ELi1ELi8ELb0EEvPKcS1_S1_S1_S1_PKiPfP15HIP_vector_typeIfLj2EEffffjfiS5_IjLj3EEiiiiiiiiiiiliiliiiiil.num_vgpr, 138
	.set _ZL15flash_attn_tileILi64ELi64ELi1ELi8ELb0EEvPKcS1_S1_S1_S1_PKiPfP15HIP_vector_typeIfLj2EEffffjfiS5_IjLj3EEiiiiiiiiiiiliiliiiiil.num_agpr, 0
	.set _ZL15flash_attn_tileILi64ELi64ELi1ELi8ELb0EEvPKcS1_S1_S1_S1_PKiPfP15HIP_vector_typeIfLj2EEffffjfiS5_IjLj3EEiiiiiiiiiiiliiliiiiil.numbered_sgpr, 40
	.set _ZL15flash_attn_tileILi64ELi64ELi1ELi8ELb0EEvPKcS1_S1_S1_S1_PKiPfP15HIP_vector_typeIfLj2EEffffjfiS5_IjLj3EEiiiiiiiiiiiliiliiiiil.num_named_barrier, 0
	.set _ZL15flash_attn_tileILi64ELi64ELi1ELi8ELb0EEvPKcS1_S1_S1_S1_PKiPfP15HIP_vector_typeIfLj2EEffffjfiS5_IjLj3EEiiiiiiiiiiiliiliiiiil.private_seg_size, 0
	.set _ZL15flash_attn_tileILi64ELi64ELi1ELi8ELb0EEvPKcS1_S1_S1_S1_PKiPfP15HIP_vector_typeIfLj2EEffffjfiS5_IjLj3EEiiiiiiiiiiiliiliiiiil.uses_vcc, 1
	.set _ZL15flash_attn_tileILi64ELi64ELi1ELi8ELb0EEvPKcS1_S1_S1_S1_PKiPfP15HIP_vector_typeIfLj2EEffffjfiS5_IjLj3EEiiiiiiiiiiiliiliiiiil.uses_flat_scratch, 0
	.set _ZL15flash_attn_tileILi64ELi64ELi1ELi8ELb0EEvPKcS1_S1_S1_S1_PKiPfP15HIP_vector_typeIfLj2EEffffjfiS5_IjLj3EEiiiiiiiiiiiliiliiiiil.has_dyn_sized_stack, 0
	.set _ZL15flash_attn_tileILi64ELi64ELi1ELi8ELb0EEvPKcS1_S1_S1_S1_PKiPfP15HIP_vector_typeIfLj2EEffffjfiS5_IjLj3EEiiiiiiiiiiiliiliiiiil.has_recursion, 0
	.set _ZL15flash_attn_tileILi64ELi64ELi1ELi8ELb0EEvPKcS1_S1_S1_S1_PKiPfP15HIP_vector_typeIfLj2EEffffjfiS5_IjLj3EEiiiiiiiiiiiliiliiiiil.has_indirect_call, 0
	.section	.AMDGPU.csdata,"",@progbits
; Kernel info:
; codeLenInByte = 6412
; TotalNumSgprs: 46
; NumVgprs: 138
; NumAgprs: 0
; TotalNumVgprs: 138
; ScratchSize: 0
; MemoryBound: 0
; FloatMode: 240
; IeeeMode: 1
; LDSByteSize: 6144 bytes/workgroup (compile time only)
; SGPRBlocks: 5
; VGPRBlocks: 17
; NumSGPRsForWavesPerEU: 46
; NumVGPRsForWavesPerEU: 138
; AccumOffset: 140
; Occupancy: 3
; WaveLimiterHint : 1
; COMPUTE_PGM_RSRC2:SCRATCH_EN: 0
; COMPUTE_PGM_RSRC2:USER_SGPR: 2
; COMPUTE_PGM_RSRC2:TRAP_HANDLER: 0
; COMPUTE_PGM_RSRC2:TGID_X_EN: 1
; COMPUTE_PGM_RSRC2:TGID_Y_EN: 1
; COMPUTE_PGM_RSRC2:TGID_Z_EN: 1
; COMPUTE_PGM_RSRC2:TIDIG_COMP_CNT: 1
; COMPUTE_PGM_RSRC3_GFX90A:ACCUM_OFFSET: 34
; COMPUTE_PGM_RSRC3_GFX90A:TG_SPLIT: 0
	.section	.text._ZL25flash_attn_mask_to_KV_maxILi1EEvPK7__half2Piiii,"axG",@progbits,_ZL25flash_attn_mask_to_KV_maxILi1EEvPK7__half2Piiii,comdat
	.globl	_ZL25flash_attn_mask_to_KV_maxILi1EEvPK7__half2Piiii ; -- Begin function _ZL25flash_attn_mask_to_KV_maxILi1EEvPK7__half2Piiii
	.p2align	8
	.type	_ZL25flash_attn_mask_to_KV_maxILi1EEvPK7__half2Piiii,@function
_ZL25flash_attn_mask_to_KV_maxILi1EEvPK7__half2Piiii: ; @_ZL25flash_attn_mask_to_KV_maxILi1EEvPK7__half2Piiii
; %bb.0:
	s_load_dwordx4 s[4:7], s[0:1], 0x0
	v_cmp_gt_u32_e32 vcc, 32, v0
	s_and_saveexec_b64 s[8:9], vcc
; %bb.1:
	v_lshlrev_b32_e32 v1, 2, v0
	v_mov_b32_e32 v2, 1
	ds_write_b32 v1, v2
; %bb.2:
	s_or_b64 exec, exec, s[8:9]
	s_load_dwordx4 s[16:19], s[0:1], 0x10
	s_load_dword s14, s[0:1], 0x20
	v_and_b32_e32 v2, 31, v0
	v_lshlrev_b32_e32 v4, 2, v2
	v_lshrrev_b32_e32 v1, 3, v0
	s_waitcnt lgkmcnt(0)
	s_mul_i32 s0, s18, s3
	s_mul_i32 s1, s17, s2
	s_add_i32 s0, s0, s1
	s_ashr_i32 s1, s0, 31
	s_lshl_b64 s[0:1], s[0:1], 2
	s_add_u32 s8, s4, s0
	s_addc_u32 s9, s5, s1
	v_cmp_eq_u32_e64 s[0:1], 0, v2
	v_mbcnt_lo_u32_b32 v2, -1, 0
	v_mbcnt_hi_u32_b32 v5, -1, v2
	v_and_b32_e32 v2, 0x60, v5
	s_lshl_b32 s15, s16, 8
	s_mov_b64 s[10:11], 0
	v_mov_b32_e32 v3, 0
	s_movk_i32 s16, 0x204
	v_add_u32_e32 v6, 32, v2
	v_xor_b32_e32 v7, 16, v5
	v_xor_b32_e32 v8, 8, v5
	;; [unrolled: 1-line block ×5, first 2 shown]
	s_barrier
                                        ; implicit-def: $sgpr4_sgpr5
	s_branch .LBB14_5
.LBB14_3:                               ;   in Loop: Header=BB14_5 Depth=1
	s_or_b64 exec, exec, s[12:13]
	s_waitcnt lgkmcnt(0)
	s_barrier
	ds_read_b32 v16, v4
	s_waitcnt lgkmcnt(0)
	s_barrier
	ds_bpermute_b32 v2, v2, v16
	v_cmp_ne_u32_e32 vcc, 0, v16
	s_waitcnt lgkmcnt(0)
	v_cmp_ne_u32_e64 s[4:5], 0, v2
	s_and_b64 s[4:5], vcc, s[4:5]
	s_nop 0
	v_cndmask_b32_e64 v2, 0, 1, s[4:5]
	ds_bpermute_b32 v2, v12, v2
	s_waitcnt lgkmcnt(0)
	v_cmp_ne_u32_e32 vcc, 0, v2
	s_and_b64 s[4:5], vcc, s[4:5]
	v_cndmask_b32_e64 v2, 0, 1, s[4:5]
	ds_bpermute_b32 v2, v13, v2
	s_waitcnt lgkmcnt(0)
	v_cmp_ne_u32_e32 vcc, 0, v2
	s_and_b64 s[4:5], vcc, s[4:5]
	;; [unrolled: 5-line block ×3, first 2 shown]
	v_cndmask_b32_e64 v2, 0, 1, s[4:5]
	ds_bpermute_b32 v2, v15, v2
	s_xor_b64 s[4:5], s[4:5], -1
	s_waitcnt lgkmcnt(0)
	v_cmp_eq_u32_e32 vcc, 0, v2
	s_or_b64 s[4:5], vcc, s[4:5]
.LBB14_4:                               ;   in Loop: Header=BB14_5 Depth=1
	s_and_b64 s[12:13], exec, s[4:5]
	s_or_b64 s[10:11], s[12:13], s[10:11]
	v_mov_b32_e32 v2, s15
	s_mov_b32 s15, s17
	s_andn2_b64 exec, exec, s[10:11]
	s_cbranch_execz .LBB14_10
.LBB14_5:                               ; =>This Inner Loop Header: Depth=1
	s_add_i32 s17, s15, 0xffffff00
	s_or_b64 s[4:5], s[4:5], exec
	s_cmp_lt_i32 s17, 0
	s_cbranch_scc1 .LBB14_4
; %bb.6:                                ;   in Loop: Header=BB14_5 Depth=1
	s_lshr_b32 s4, s17, 1
	v_add_u32_e32 v2, s4, v0
	v_lshl_add_u64 v[12:13], v[2:3], 2, s[8:9]
	global_load_dword v2, v[12:13], off
	v_mov_b32_e32 v12, 0
	s_waitcnt vmcnt(0)
	v_cmp_class_f16_e64 s[12:13], v2, s16
	s_and_saveexec_b64 s[4:5], s[12:13]
; %bb.7:                                ;   in Loop: Header=BB14_5 Depth=1
	v_cmp_class_f16_sdwa s[12:13], v2, s16 src0_sel:WORD_1 src1_sel:DWORD
	s_nop 1
	v_cndmask_b32_e64 v12, 0, 1, s[12:13]
; %bb.8:                                ;   in Loop: Header=BB14_5 Depth=1
	s_or_b64 exec, exec, s[4:5]
	v_cmp_lt_i32_e32 vcc, v7, v6
	s_nop 1
	v_cndmask_b32_e32 v2, v5, v7, vcc
	v_lshlrev_b32_e32 v2, 2, v2
	ds_bpermute_b32 v13, v2, v12
	v_cmp_ne_u32_e32 vcc, 0, v12
	s_waitcnt lgkmcnt(0)
	v_cmp_ne_u32_e64 s[4:5], 0, v13
	s_and_b64 s[4:5], vcc, s[4:5]
	v_cmp_lt_i32_e32 vcc, v8, v6
	v_cndmask_b32_e64 v13, 0, 1, s[4:5]
	s_nop 0
	v_cndmask_b32_e32 v12, v5, v8, vcc
	v_lshlrev_b32_e32 v12, 2, v12
	ds_bpermute_b32 v13, v12, v13
	s_waitcnt lgkmcnt(0)
	v_cmp_ne_u32_e32 vcc, 0, v13
	s_and_b64 s[4:5], vcc, s[4:5]
	v_cmp_lt_i32_e32 vcc, v9, v6
	v_cndmask_b32_e64 v14, 0, 1, s[4:5]
	s_nop 0
	v_cndmask_b32_e32 v13, v5, v9, vcc
	v_lshlrev_b32_e32 v13, 2, v13
	ds_bpermute_b32 v14, v13, v14
	s_waitcnt lgkmcnt(0)
	v_cmp_ne_u32_e32 vcc, 0, v14
	;; [unrolled: 9-line block ×3, first 2 shown]
	s_and_b64 s[4:5], vcc, s[4:5]
	v_cmp_lt_i32_e32 vcc, v11, v6
	v_cndmask_b32_e64 v16, 0, 1, s[4:5]
	s_nop 0
	v_cndmask_b32_e32 v15, v5, v11, vcc
	v_lshlrev_b32_e32 v15, 2, v15
	ds_bpermute_b32 v16, v15, v16
	s_and_saveexec_b64 s[12:13], s[0:1]
	s_cbranch_execz .LBB14_3
; %bb.9:                                ;   in Loop: Header=BB14_5 Depth=1
	s_waitcnt lgkmcnt(0)
	v_cmp_ne_u32_e32 vcc, 0, v16
	s_and_b64 s[4:5], vcc, s[4:5]
	v_cndmask_b32_e64 v16, 0, 1, s[4:5]
	ds_write_b32 v1, v16
	s_branch .LBB14_3
.LBB14_10:
	s_or_b64 exec, exec, s[10:11]
	v_cmp_eq_u32_e32 vcc, 0, v0
	s_and_saveexec_b64 s[0:1], vcc
	s_cbranch_execz .LBB14_12
; %bb.11:
	s_mul_i32 s0, s14, s3
	s_add_i32 s0, s0, s2
	s_ashr_i32 s1, s0, 31
	s_lshl_b64 s[0:1], s[0:1], 2
	s_add_u32 s0, s6, s0
	s_addc_u32 s1, s7, s1
	v_mov_b32_e32 v0, 0
	global_store_dword v0, v2, s[0:1]
.LBB14_12:
	s_endpgm
	.section	.rodata,"a",@progbits
	.p2align	6, 0x0
	.amdhsa_kernel _ZL25flash_attn_mask_to_KV_maxILi1EEvPK7__half2Piiii
		.amdhsa_group_segment_fixed_size 128
		.amdhsa_private_segment_fixed_size 0
		.amdhsa_kernarg_size 288
		.amdhsa_user_sgpr_count 2
		.amdhsa_user_sgpr_dispatch_ptr 0
		.amdhsa_user_sgpr_queue_ptr 0
		.amdhsa_user_sgpr_kernarg_segment_ptr 1
		.amdhsa_user_sgpr_dispatch_id 0
		.amdhsa_user_sgpr_kernarg_preload_length 0
		.amdhsa_user_sgpr_kernarg_preload_offset 0
		.amdhsa_user_sgpr_private_segment_size 0
		.amdhsa_uses_dynamic_stack 0
		.amdhsa_enable_private_segment 0
		.amdhsa_system_sgpr_workgroup_id_x 1
		.amdhsa_system_sgpr_workgroup_id_y 1
		.amdhsa_system_sgpr_workgroup_id_z 0
		.amdhsa_system_sgpr_workgroup_info 0
		.amdhsa_system_vgpr_workitem_id 0
		.amdhsa_next_free_vgpr 17
		.amdhsa_next_free_sgpr 20
		.amdhsa_accum_offset 20
		.amdhsa_reserve_vcc 1
		.amdhsa_float_round_mode_32 0
		.amdhsa_float_round_mode_16_64 0
		.amdhsa_float_denorm_mode_32 3
		.amdhsa_float_denorm_mode_16_64 3
		.amdhsa_dx10_clamp 1
		.amdhsa_ieee_mode 1
		.amdhsa_fp16_overflow 0
		.amdhsa_tg_split 0
		.amdhsa_exception_fp_ieee_invalid_op 0
		.amdhsa_exception_fp_denorm_src 0
		.amdhsa_exception_fp_ieee_div_zero 0
		.amdhsa_exception_fp_ieee_overflow 0
		.amdhsa_exception_fp_ieee_underflow 0
		.amdhsa_exception_fp_ieee_inexact 0
		.amdhsa_exception_int_div_zero 0
	.end_amdhsa_kernel
	.section	.text._ZL25flash_attn_mask_to_KV_maxILi1EEvPK7__half2Piiii,"axG",@progbits,_ZL25flash_attn_mask_to_KV_maxILi1EEvPK7__half2Piiii,comdat
.Lfunc_end14:
	.size	_ZL25flash_attn_mask_to_KV_maxILi1EEvPK7__half2Piiii, .Lfunc_end14-_ZL25flash_attn_mask_to_KV_maxILi1EEvPK7__half2Piiii
                                        ; -- End function
	.set _ZL25flash_attn_mask_to_KV_maxILi1EEvPK7__half2Piiii.num_vgpr, 17
	.set _ZL25flash_attn_mask_to_KV_maxILi1EEvPK7__half2Piiii.num_agpr, 0
	.set _ZL25flash_attn_mask_to_KV_maxILi1EEvPK7__half2Piiii.numbered_sgpr, 20
	.set _ZL25flash_attn_mask_to_KV_maxILi1EEvPK7__half2Piiii.num_named_barrier, 0
	.set _ZL25flash_attn_mask_to_KV_maxILi1EEvPK7__half2Piiii.private_seg_size, 0
	.set _ZL25flash_attn_mask_to_KV_maxILi1EEvPK7__half2Piiii.uses_vcc, 1
	.set _ZL25flash_attn_mask_to_KV_maxILi1EEvPK7__half2Piiii.uses_flat_scratch, 0
	.set _ZL25flash_attn_mask_to_KV_maxILi1EEvPK7__half2Piiii.has_dyn_sized_stack, 0
	.set _ZL25flash_attn_mask_to_KV_maxILi1EEvPK7__half2Piiii.has_recursion, 0
	.set _ZL25flash_attn_mask_to_KV_maxILi1EEvPK7__half2Piiii.has_indirect_call, 0
	.section	.AMDGPU.csdata,"",@progbits
; Kernel info:
; codeLenInByte = 768
; TotalNumSgprs: 26
; NumVgprs: 17
; NumAgprs: 0
; TotalNumVgprs: 17
; ScratchSize: 0
; MemoryBound: 0
; FloatMode: 240
; IeeeMode: 1
; LDSByteSize: 128 bytes/workgroup (compile time only)
; SGPRBlocks: 3
; VGPRBlocks: 2
; NumSGPRsForWavesPerEU: 26
; NumVGPRsForWavesPerEU: 17
; AccumOffset: 20
; Occupancy: 8
; WaveLimiterHint : 0
; COMPUTE_PGM_RSRC2:SCRATCH_EN: 0
; COMPUTE_PGM_RSRC2:USER_SGPR: 2
; COMPUTE_PGM_RSRC2:TRAP_HANDLER: 0
; COMPUTE_PGM_RSRC2:TGID_X_EN: 1
; COMPUTE_PGM_RSRC2:TGID_Y_EN: 1
; COMPUTE_PGM_RSRC2:TGID_Z_EN: 0
; COMPUTE_PGM_RSRC2:TIDIG_COMP_CNT: 0
; COMPUTE_PGM_RSRC3_GFX90A:ACCUM_OFFSET: 4
; COMPUTE_PGM_RSRC3_GFX90A:TG_SPLIT: 0
	.section	.text._ZL33flash_attn_stream_k_fixup_uniformILi64ELi1ELi8EEvPfPK15HIP_vector_typeIfLj2EEiiiiiiS1_IjLj3EES5_S5_,"axG",@progbits,_ZL33flash_attn_stream_k_fixup_uniformILi64ELi1ELi8EEvPfPK15HIP_vector_typeIfLj2EEiiiiiiS1_IjLj3EES5_S5_,comdat
	.globl	_ZL33flash_attn_stream_k_fixup_uniformILi64ELi1ELi8EEvPfPK15HIP_vector_typeIfLj2EEiiiiiiS1_IjLj3EES5_S5_ ; -- Begin function _ZL33flash_attn_stream_k_fixup_uniformILi64ELi1ELi8EEvPfPK15HIP_vector_typeIfLj2EEiiiiiiS1_IjLj3EES5_S5_
	.p2align	8
	.type	_ZL33flash_attn_stream_k_fixup_uniformILi64ELi1ELi8EEvPfPK15HIP_vector_typeIfLj2EEiiiiiiS1_IjLj3EES5_S5_,@function
_ZL33flash_attn_stream_k_fixup_uniformILi64ELi1ELi8EEvPfPK15HIP_vector_typeIfLj2EEiiiiiiS1_IjLj3EES5_S5_: ; @_ZL33flash_attn_stream_k_fixup_uniformILi64ELi1ELi8EEvPfPK15HIP_vector_typeIfLj2EEiiiiiiS1_IjLj3EES5_S5_
; %bb.0:
	s_load_dwordx8 s[8:15], s[0:1], 0x1c
	s_load_dwordx2 s[6:7], s[0:1], 0x10
	s_load_dwordx4 s[16:19], s[0:1], 0x3c
	s_waitcnt lgkmcnt(0)
	s_mul_hi_u32 s5, s11, s2
	s_add_i32 s5, s2, s5
	s_lshr_b32 s5, s5, s12
	s_mul_i32 s11, s5, s13
	s_sub_i32 s12, s2, s11
	s_mul_hi_u32 s11, s12, s14
	s_add_i32 s11, s12, s11
	s_lshr_b32 s11, s11, s15
	s_mul_i32 s13, s11, s16
	s_sub_i32 s12, s12, s13
	;; [unrolled: 5-line block ×3, first 2 shown]
	s_lshl_b32 s16, s13, 3
	s_add_i32 s17, s17, s3
	s_cmp_lt_i32 s17, s6
	s_cselect_b64 s[12:13], -1, 0
	s_add_i32 s16, s16, s4
	s_cmp_lt_i32 s16, s9
	s_cselect_b64 s[14:15], -1, 0
	s_and_b64 s[12:13], s[12:13], s[14:15]
	s_andn2_b64 vcc, exec, s[12:13]
	s_cbranch_vccnz .LBB15_6
; %bb.1:
	s_load_dwordx4 s[12:15], s[0:1], 0x0
	s_mul_i32 s5, s5, s6
	s_mul_i32 s11, s11, s9
	s_add_i32 s0, s17, s5
	s_mul_i32 s0, s0, s7
	s_add_i32 s1, s16, s11
	s_add_i32 s1, s1, s0
	v_lshl_or_b32 v4, s1, 6, v0
	s_waitcnt lgkmcnt(0)
	v_mov_b32_e32 v2, s12
	v_mov_b32_e32 v3, s13
	v_ashrrev_i32_e32 v5, 31, v4
	v_lshl_add_u64 v[2:3], v[4:5], 2, v[2:3]
	global_load_dword v5, v[2:3], off
	s_mul_i32 s9, s10, s2
	s_add_i32 s5, s9, s10
	s_add_i32 s0, s3, s5
	s_lshl_b32 s0, s0, 3
	s_add_i32 s0, s0, s4
	s_add_i32 s0, s0, -8
	s_ashr_i32 s1, s0, 31
	s_lshl_b64 s[0:1], s[0:1], 3
	s_add_u32 s0, s14, s0
	s_addc_u32 s1, s15, s1
	s_load_dword s12, s[0:1], 0x4
	s_add_i32 s6, s5, -2
	s_cmp_lt_i32 s6, s9
	s_cbranch_scc1 .LBB15_4
; %bb.2:
	s_lshl_b32 s6, s8, 5
	s_ashr_i32 s7, s6, 31
	s_lshl_b64 s[6:7], s[6:7], 2
	s_add_u32 s6, s14, s6
	s_addc_u32 s7, s15, s7
	s_load_dword s0, s[0:1], 0x0
	s_add_i32 s2, s2, 1
	s_lshl_b32 s1, s4, 6
	s_add_i32 s8, s3, s8
	s_mul_i32 s2, s10, s2
	s_lshl_b32 s3, s3, 9
	s_add_i32 s8, s8, s5
	s_lshl_b32 s2, s2, 9
	s_add_i32 s1, s1, s3
	s_add_i32 s11, s5, -1
	s_lshl_b32 s5, s8, 3
	s_add_i32 s1, s1, s2
	s_add_i32 s4, s4, s5
	v_or_b32_e32 v0, s1, v0
	s_add_i32 s4, s4, -16
	v_add_u32_e32 v0, 0xfffffc00, v0
	s_waitcnt lgkmcnt(0)
	v_mov_b32_e32 v7, s0
	v_mov_b32_e32 v4, s12
	s_mov_b32 s2, 0x3fb8aa3b
	s_mov_b32 s3, 0xc2ce8ed0
	;; [unrolled: 1-line block ×3, first 2 shown]
	v_mov_b32_e32 v6, 0x7f800000
	s_mov_b32 s10, 0xc1a00000
.LBB15_3:                               ; =>This Inner Loop Header: Depth=1
	v_ashrrev_i32_e32 v1, 31, v0
	v_lshl_add_u64 v[8:9], v[0:1], 2, s[6:7]
	global_load_dword v9, v[8:9], off
	s_ashr_i32 s5, s4, 31
	s_lshl_b64 s[0:1], s[4:5], 3
	s_add_u32 s0, s14, s0
	s_addc_u32 s1, s15, s1
	s_load_dwordx2 s[0:1], s[0:1], 0x0
	v_max_f32_e32 v1, v7, v7
	s_add_i32 s11, s11, -1
	s_add_i32 s4, s4, -8
	v_add_u32_e32 v0, 0xfffffe00, v0
	s_waitcnt lgkmcnt(0)
	v_max_f32_e64 v10, s0, s0
	v_max_f32_e32 v1, v1, v10
	v_sub_f32_e32 v11, s0, v1
	v_sub_f32_e32 v10, v7, v1
	v_mul_f32_e32 v12, 0x3fb8aa3b, v11
	v_mov_b32_e32 v7, v1
	v_mul_f32_e32 v1, 0x3fb8aa3b, v10
	v_fma_f32 v15, v11, s2, -v12
	v_rndne_f32_e32 v16, v12
	v_fma_f32 v13, v10, s2, -v1
	v_rndne_f32_e32 v14, v1
	v_fmac_f32_e32 v15, 0x32a5705f, v11
	v_sub_f32_e32 v12, v12, v16
	v_fmac_f32_e32 v13, 0x32a5705f, v10
	v_sub_f32_e32 v1, v1, v14
	v_add_f32_e32 v12, v12, v15
	v_cvt_i32_f32_e32 v16, v16
	v_add_f32_e32 v1, v1, v13
	v_exp_f32_e32 v12, v12
	v_cvt_i32_f32_e32 v14, v14
	v_exp_f32_e32 v1, v1
	v_cmp_ngt_f32_e32 vcc, s3, v11
	v_ldexp_f32 v12, v12, v16
	v_mov_b32_e32 v8, s1
	v_ldexp_f32 v1, v1, v14
	v_cmp_ngt_f32_e64 s[0:1], s3, v10
	v_cndmask_b32_e32 v12, 0, v12, vcc
	v_cmp_nlt_f32_e32 vcc, s8, v11
	v_cndmask_b32_e64 v1, 0, v1, s[0:1]
	v_cmp_nlt_f32_e64 s[0:1], s8, v10
	v_cndmask_b32_e32 v12, v6, v12, vcc
	v_cmp_le_f32_e32 vcc, s10, v11
	v_cndmask_b32_e64 v1, v6, v1, s[0:1]
	v_cmp_le_f32_e64 s[0:1], s10, v10
	v_cndmask_b32_e32 v12, 0, v12, vcc
	s_cmp_le_i32 s11, s9
	v_cndmask_b32_e64 v10, 0, v1, s[0:1]
	s_waitcnt vmcnt(0)
	v_pk_mul_f32 v[8:9], v[8:9], v[12:13] op_sel_hi:[1,0]
	s_nop 0
	v_pk_fma_f32 v[4:5], v[4:5], v[10:11], v[8:9] op_sel_hi:[1,0,1]
	s_cbranch_scc0 .LBB15_3
	s_branch .LBB15_5
.LBB15_4:
	s_waitcnt lgkmcnt(0)
	v_mov_b32_e32 v4, s12
.LBB15_5:
	s_waitcnt vmcnt(0)
	v_div_scale_f32 v0, s[0:1], v4, v4, v5
	v_rcp_f32_e32 v1, v0
	v_div_scale_f32 v6, vcc, v5, v4, v5
	v_fma_f32 v7, -v0, v1, 1.0
	v_fmac_f32_e32 v1, v7, v1
	v_mul_f32_e32 v7, v6, v1
	v_fma_f32 v8, -v0, v7, v6
	v_fmac_f32_e32 v7, v8, v1
	v_fma_f32 v0, -v0, v7, v6
	v_div_fmas_f32 v0, v0, v1, v7
	v_div_fixup_f32 v0, v0, v4, v5
	global_store_dword v[2:3], v0, off
.LBB15_6:
	s_endpgm
	.section	.rodata,"a",@progbits
	.p2align	6, 0x0
	.amdhsa_kernel _ZL33flash_attn_stream_k_fixup_uniformILi64ELi1ELi8EEvPfPK15HIP_vector_typeIfLj2EEiiiiiiS1_IjLj3EES5_S5_
		.amdhsa_group_segment_fixed_size 0
		.amdhsa_private_segment_fixed_size 0
		.amdhsa_kernarg_size 76
		.amdhsa_user_sgpr_count 2
		.amdhsa_user_sgpr_dispatch_ptr 0
		.amdhsa_user_sgpr_queue_ptr 0
		.amdhsa_user_sgpr_kernarg_segment_ptr 1
		.amdhsa_user_sgpr_dispatch_id 0
		.amdhsa_user_sgpr_kernarg_preload_length 0
		.amdhsa_user_sgpr_kernarg_preload_offset 0
		.amdhsa_user_sgpr_private_segment_size 0
		.amdhsa_uses_dynamic_stack 0
		.amdhsa_enable_private_segment 0
		.amdhsa_system_sgpr_workgroup_id_x 1
		.amdhsa_system_sgpr_workgroup_id_y 1
		.amdhsa_system_sgpr_workgroup_id_z 1
		.amdhsa_system_sgpr_workgroup_info 0
		.amdhsa_system_vgpr_workitem_id 0
		.amdhsa_next_free_vgpr 17
		.amdhsa_next_free_sgpr 20
		.amdhsa_accum_offset 20
		.amdhsa_reserve_vcc 1
		.amdhsa_float_round_mode_32 0
		.amdhsa_float_round_mode_16_64 0
		.amdhsa_float_denorm_mode_32 3
		.amdhsa_float_denorm_mode_16_64 3
		.amdhsa_dx10_clamp 1
		.amdhsa_ieee_mode 1
		.amdhsa_fp16_overflow 0
		.amdhsa_tg_split 0
		.amdhsa_exception_fp_ieee_invalid_op 0
		.amdhsa_exception_fp_denorm_src 0
		.amdhsa_exception_fp_ieee_div_zero 0
		.amdhsa_exception_fp_ieee_overflow 0
		.amdhsa_exception_fp_ieee_underflow 0
		.amdhsa_exception_fp_ieee_inexact 0
		.amdhsa_exception_int_div_zero 0
	.end_amdhsa_kernel
	.section	.text._ZL33flash_attn_stream_k_fixup_uniformILi64ELi1ELi8EEvPfPK15HIP_vector_typeIfLj2EEiiiiiiS1_IjLj3EES5_S5_,"axG",@progbits,_ZL33flash_attn_stream_k_fixup_uniformILi64ELi1ELi8EEvPfPK15HIP_vector_typeIfLj2EEiiiiiiS1_IjLj3EES5_S5_,comdat
.Lfunc_end15:
	.size	_ZL33flash_attn_stream_k_fixup_uniformILi64ELi1ELi8EEvPfPK15HIP_vector_typeIfLj2EEiiiiiiS1_IjLj3EES5_S5_, .Lfunc_end15-_ZL33flash_attn_stream_k_fixup_uniformILi64ELi1ELi8EEvPfPK15HIP_vector_typeIfLj2EEiiiiiiS1_IjLj3EES5_S5_
                                        ; -- End function
	.set _ZL33flash_attn_stream_k_fixup_uniformILi64ELi1ELi8EEvPfPK15HIP_vector_typeIfLj2EEiiiiiiS1_IjLj3EES5_S5_.num_vgpr, 17
	.set _ZL33flash_attn_stream_k_fixup_uniformILi64ELi1ELi8EEvPfPK15HIP_vector_typeIfLj2EEiiiiiiS1_IjLj3EES5_S5_.num_agpr, 0
	.set _ZL33flash_attn_stream_k_fixup_uniformILi64ELi1ELi8EEvPfPK15HIP_vector_typeIfLj2EEiiiiiiS1_IjLj3EES5_S5_.numbered_sgpr, 20
	.set _ZL33flash_attn_stream_k_fixup_uniformILi64ELi1ELi8EEvPfPK15HIP_vector_typeIfLj2EEiiiiiiS1_IjLj3EES5_S5_.num_named_barrier, 0
	.set _ZL33flash_attn_stream_k_fixup_uniformILi64ELi1ELi8EEvPfPK15HIP_vector_typeIfLj2EEiiiiiiS1_IjLj3EES5_S5_.private_seg_size, 0
	.set _ZL33flash_attn_stream_k_fixup_uniformILi64ELi1ELi8EEvPfPK15HIP_vector_typeIfLj2EEiiiiiiS1_IjLj3EES5_S5_.uses_vcc, 1
	.set _ZL33flash_attn_stream_k_fixup_uniformILi64ELi1ELi8EEvPfPK15HIP_vector_typeIfLj2EEiiiiiiS1_IjLj3EES5_S5_.uses_flat_scratch, 0
	.set _ZL33flash_attn_stream_k_fixup_uniformILi64ELi1ELi8EEvPfPK15HIP_vector_typeIfLj2EEiiiiiiS1_IjLj3EES5_S5_.has_dyn_sized_stack, 0
	.set _ZL33flash_attn_stream_k_fixup_uniformILi64ELi1ELi8EEvPfPK15HIP_vector_typeIfLj2EEiiiiiiS1_IjLj3EES5_S5_.has_recursion, 0
	.set _ZL33flash_attn_stream_k_fixup_uniformILi64ELi1ELi8EEvPfPK15HIP_vector_typeIfLj2EEiiiiiiS1_IjLj3EES5_S5_.has_indirect_call, 0
	.section	.AMDGPU.csdata,"",@progbits
; Kernel info:
; codeLenInByte = 808
; TotalNumSgprs: 26
; NumVgprs: 17
; NumAgprs: 0
; TotalNumVgprs: 17
; ScratchSize: 0
; MemoryBound: 0
; FloatMode: 240
; IeeeMode: 1
; LDSByteSize: 0 bytes/workgroup (compile time only)
; SGPRBlocks: 3
; VGPRBlocks: 2
; NumSGPRsForWavesPerEU: 26
; NumVGPRsForWavesPerEU: 17
; AccumOffset: 20
; Occupancy: 8
; WaveLimiterHint : 0
; COMPUTE_PGM_RSRC2:SCRATCH_EN: 0
; COMPUTE_PGM_RSRC2:USER_SGPR: 2
; COMPUTE_PGM_RSRC2:TRAP_HANDLER: 0
; COMPUTE_PGM_RSRC2:TGID_X_EN: 1
; COMPUTE_PGM_RSRC2:TGID_Y_EN: 1
; COMPUTE_PGM_RSRC2:TGID_Z_EN: 1
; COMPUTE_PGM_RSRC2:TIDIG_COMP_CNT: 0
; COMPUTE_PGM_RSRC3_GFX90A:ACCUM_OFFSET: 4
; COMPUTE_PGM_RSRC3_GFX90A:TG_SPLIT: 0
	.section	.text._ZL33flash_attn_stream_k_fixup_generalILi64ELi1ELi8EEvPfPK15HIP_vector_typeIfLj2EEiiiiS1_IjLj3EES5_S5_S5_,"axG",@progbits,_ZL33flash_attn_stream_k_fixup_generalILi64ELi1ELi8EEvPfPK15HIP_vector_typeIfLj2EEiiiiS1_IjLj3EES5_S5_S5_,comdat
	.globl	_ZL33flash_attn_stream_k_fixup_generalILi64ELi1ELi8EEvPfPK15HIP_vector_typeIfLj2EEiiiiS1_IjLj3EES5_S5_S5_ ; -- Begin function _ZL33flash_attn_stream_k_fixup_generalILi64ELi1ELi8EEvPfPK15HIP_vector_typeIfLj2EEiiiiS1_IjLj3EES5_S5_S5_
	.p2align	8
	.type	_ZL33flash_attn_stream_k_fixup_generalILi64ELi1ELi8EEvPfPK15HIP_vector_typeIfLj2EEiiiiS1_IjLj3EES5_S5_S5_,@function
_ZL33flash_attn_stream_k_fixup_generalILi64ELi1ELi8EEvPfPK15HIP_vector_typeIfLj2EEiiiiS1_IjLj3EES5_S5_S5_: ; @_ZL33flash_attn_stream_k_fixup_generalILi64ELi1ELi8EEvPfPK15HIP_vector_typeIfLj2EEiiiiS1_IjLj3EES5_S5_S5_
; %bb.0:
	s_load_dwordx4 s[8:11], s[0:1], 0x10
	s_load_dword s5, s[0:1], 0x50
	s_mov_b32 s12, 0
	s_waitcnt lgkmcnt(0)
	s_mul_hi_i32 s13, s11, s2
	s_cmp_lg_u64 s[12:13], 0
	s_mul_i32 s18, s11, s2
	s_cbranch_scc0 .LBB16_20
; %bb.1:
	s_add_u32 s6, s5, 0
	s_addc_u32 s7, 0, 0
	s_xor_b64 s[6:7], s[6:7], 0
	v_cvt_f32_u32_e32 v1, s6
	v_cvt_f32_u32_e32 v2, s7
	s_sub_u32 s12, 0, s6
	s_subb_u32 s19, 0, s7
	v_fmamk_f32 v1, v2, 0x4f800000, v1
	v_rcp_f32_e32 v1, v1
	s_nop 0
	v_mul_f32_e32 v1, 0x5f7ffffc, v1
	v_mul_f32_e32 v2, 0x2f800000, v1
	v_trunc_f32_e32 v2, v2
	v_fmamk_f32 v1, v2, 0xcf800000, v1
	v_cvt_u32_f32_e32 v2, v2
	v_cvt_u32_f32_e32 v1, v1
	v_readfirstlane_b32 s20, v2
	v_readfirstlane_b32 s14, v1
	s_mul_i32 s15, s12, s20
	s_mul_hi_u32 s22, s12, s14
	s_mul_i32 s21, s19, s14
	s_add_i32 s15, s22, s15
	s_add_i32 s15, s15, s21
	s_mul_i32 s23, s12, s14
	s_mul_i32 s22, s14, s15
	s_mul_hi_u32 s24, s14, s23
	s_mul_hi_u32 s21, s14, s15
	s_add_u32 s22, s24, s22
	s_addc_u32 s21, 0, s21
	s_mul_hi_u32 s25, s20, s23
	s_mul_i32 s23, s20, s23
	s_add_u32 s22, s22, s23
	s_mul_hi_u32 s24, s20, s15
	s_addc_u32 s21, s21, s25
	s_addc_u32 s22, s24, 0
	s_mul_i32 s15, s20, s15
	s_add_u32 s15, s21, s15
	s_addc_u32 s21, 0, s22
	s_add_u32 s22, s14, s15
	s_cselect_b64 s[14:15], -1, 0
	s_cmp_lg_u64 s[14:15], 0
	s_addc_u32 s20, s20, s21
	s_mul_i32 s14, s12, s20
	s_mul_hi_u32 s15, s12, s22
	s_add_i32 s14, s15, s14
	s_mul_i32 s19, s19, s22
	s_add_i32 s14, s14, s19
	s_mul_i32 s12, s12, s22
	s_mul_hi_u32 s19, s20, s12
	s_mul_i32 s21, s20, s12
	s_mul_i32 s24, s22, s14
	s_mul_hi_u32 s12, s22, s12
	s_mul_hi_u32 s23, s22, s14
	s_add_u32 s12, s12, s24
	s_addc_u32 s23, 0, s23
	s_add_u32 s12, s12, s21
	s_mul_hi_u32 s15, s20, s14
	s_addc_u32 s12, s23, s19
	s_addc_u32 s15, s15, 0
	s_mul_i32 s14, s20, s14
	s_add_u32 s12, s12, s14
	s_addc_u32 s19, 0, s15
	s_add_u32 s21, s22, s12
	s_cselect_b64 s[14:15], -1, 0
	s_cmp_lg_u64 s[14:15], 0
	s_addc_u32 s19, s20, s19
	s_ashr_i32 s14, s13, 31
	s_add_u32 s12, s18, s14
	s_mov_b32 s15, s14
	s_addc_u32 s13, s13, s14
	s_xor_b64 s[12:13], s[12:13], s[14:15]
	s_mul_i32 s22, s12, s19
	s_mul_hi_u32 s23, s12, s21
	s_mul_hi_u32 s20, s12, s19
	s_add_u32 s22, s23, s22
	s_addc_u32 s20, 0, s20
	s_mul_hi_u32 s24, s13, s21
	s_mul_i32 s21, s13, s21
	s_add_u32 s21, s22, s21
	s_mul_hi_u32 s23, s13, s19
	s_addc_u32 s20, s20, s24
	s_addc_u32 s21, s23, 0
	s_mul_i32 s19, s13, s19
	s_add_u32 s19, s20, s19
	s_addc_u32 s24, 0, s21
	s_mul_i32 s20, s6, s24
	s_mul_hi_u32 s21, s6, s19
	s_add_i32 s20, s21, s20
	s_mul_i32 s21, s7, s19
	s_add_i32 s25, s20, s21
	s_sub_i32 s22, s13, s25
	s_mul_i32 s20, s6, s19
	s_sub_u32 s12, s12, s20
	s_cselect_b64 s[20:21], -1, 0
	s_cmp_lg_u64 s[20:21], 0
	s_subb_u32 s26, s22, s7
	s_sub_u32 s27, s12, s6
	s_cselect_b64 s[22:23], -1, 0
	s_cmp_lg_u64 s[22:23], 0
	s_subb_u32 s22, s26, 0
	s_cmp_ge_u32 s22, s7
	s_cselect_b32 s23, -1, 0
	s_cmp_ge_u32 s27, s6
	s_cselect_b32 s26, -1, 0
	s_cmp_eq_u32 s22, s7
	s_cselect_b32 s22, s26, s23
	s_add_u32 s23, s19, 1
	s_addc_u32 s26, s24, 0
	s_add_u32 s27, s19, 2
	s_addc_u32 s28, s24, 0
	s_cmp_lg_u32 s22, 0
	s_cselect_b32 s22, s27, s23
	s_cselect_b32 s23, s28, s26
	s_cmp_lg_u64 s[20:21], 0
	s_subb_u32 s13, s13, s25
	s_cmp_ge_u32 s13, s7
	s_cselect_b32 s20, -1, 0
	s_cmp_ge_u32 s12, s6
	s_cselect_b32 s6, -1, 0
	s_cmp_eq_u32 s13, s7
	s_cselect_b32 s6, s6, s20
	s_cmp_lg_u32 s6, 0
	s_cselect_b32 s7, s23, s24
	s_cselect_b32 s6, s22, s19
	s_xor_b64 s[12:13], s[14:15], 0
	s_xor_b64 s[6:7], s[6:7], s[12:13]
	s_sub_u32 s6, s6, s12
	s_load_dwordx4 s[12:15], s[0:1], 0x44
	s_cbranch_execnz .LBB16_3
.LBB16_2:
	v_cvt_f32_u32_e32 v1, s5
	s_sub_i32 s6, 0, s5
	v_rcp_iflag_f32_e32 v1, v1
	s_nop 0
	v_mul_f32_e32 v1, 0x4f7ffffe, v1
	v_cvt_u32_f32_e32 v1, v1
	s_nop 0
	v_readfirstlane_b32 s7, v1
	s_mul_i32 s6, s6, s7
	s_mul_hi_u32 s6, s7, s6
	s_add_i32 s7, s7, s6
	s_mul_hi_u32 s6, s18, s7
	s_waitcnt lgkmcnt(0)
	s_mul_i32 s15, s6, s5
	s_sub_i32 s15, s18, s15
	s_add_i32 s7, s6, 1
	s_sub_i32 s16, s15, s5
	s_cmp_ge_u32 s15, s5
	s_cselect_b32 s6, s7, s6
	s_cselect_b32 s15, s16, s15
	s_add_i32 s7, s6, 1
	s_cmp_ge_u32 s15, s5
	s_cselect_b32 s6, s7, s6
.LBB16_3:
	s_add_i32 s7, s2, 1
	s_mul_hi_i32 s21, s11, s7
	s_mov_b32 s20, 0
	s_cmp_lg_u64 s[20:21], 0
	s_mul_i32 s7, s11, s7
	s_cbranch_scc0 .LBB16_21
; %bb.4:
	s_add_u32 s16, s5, 0
	s_addc_u32 s17, 0, 0
	s_xor_b64 s[18:19], s[16:17], 0
	v_cvt_f32_u32_e32 v1, s18
	v_cvt_f32_u32_e32 v2, s19
	s_waitcnt lgkmcnt(0)
	s_sub_u32 s15, 0, s18
	s_subb_u32 s20, 0, s19
	v_fmamk_f32 v1, v2, 0x4f800000, v1
	v_rcp_f32_e32 v1, v1
	s_nop 0
	v_mul_f32_e32 v1, 0x5f7ffffc, v1
	v_mul_f32_e32 v2, 0x2f800000, v1
	v_trunc_f32_e32 v2, v2
	v_fmamk_f32 v1, v2, 0xcf800000, v1
	v_cvt_u32_f32_e32 v2, v2
	v_cvt_u32_f32_e32 v1, v1
	v_readfirstlane_b32 s24, v2
	v_readfirstlane_b32 s22, v1
	s_mul_i32 s23, s15, s24
	s_mul_hi_u32 s26, s15, s22
	s_mul_i32 s25, s20, s22
	s_add_i32 s23, s26, s23
	s_add_i32 s23, s23, s25
	s_mul_i32 s27, s15, s22
	s_mul_i32 s26, s22, s23
	s_mul_hi_u32 s28, s22, s27
	s_mul_hi_u32 s25, s22, s23
	s_add_u32 s26, s28, s26
	s_addc_u32 s25, 0, s25
	s_mul_hi_u32 s29, s24, s27
	s_mul_i32 s27, s24, s27
	s_add_u32 s26, s26, s27
	s_mul_hi_u32 s28, s24, s23
	s_addc_u32 s25, s25, s29
	s_addc_u32 s26, s28, 0
	s_mul_i32 s23, s24, s23
	s_add_u32 s23, s25, s23
	s_addc_u32 s25, 0, s26
	s_add_u32 s26, s22, s23
	s_cselect_b64 s[22:23], -1, 0
	s_cmp_lg_u64 s[22:23], 0
	s_addc_u32 s24, s24, s25
	s_mul_i32 s22, s15, s24
	s_mul_hi_u32 s23, s15, s26
	s_add_i32 s22, s23, s22
	s_mul_i32 s20, s20, s26
	s_add_i32 s22, s22, s20
	s_mul_i32 s15, s15, s26
	s_mul_hi_u32 s23, s24, s15
	s_mul_i32 s25, s24, s15
	s_mul_i32 s28, s26, s22
	s_mul_hi_u32 s15, s26, s15
	s_mul_hi_u32 s27, s26, s22
	s_add_u32 s15, s15, s28
	s_addc_u32 s27, 0, s27
	s_add_u32 s15, s15, s25
	s_mul_hi_u32 s20, s24, s22
	s_addc_u32 s15, s27, s23
	s_addc_u32 s20, s20, 0
	s_mul_i32 s22, s24, s22
	s_add_u32 s15, s15, s22
	s_addc_u32 s20, 0, s20
	s_add_u32 s15, s26, s15
	s_cselect_b64 s[22:23], -1, 0
	s_cmp_lg_u64 s[22:23], 0
	s_addc_u32 s24, s24, s20
	s_ashr_i32 s22, s21, 31
	s_add_u32 s20, s7, s22
	s_mov_b32 s23, s22
	s_addc_u32 s21, s21, s22
	s_xor_b64 s[20:21], s[20:21], s[22:23]
	s_mul_i32 s26, s20, s24
	s_mul_hi_u32 s27, s20, s15
	s_mul_hi_u32 s25, s20, s24
	s_add_u32 s26, s27, s26
	s_addc_u32 s25, 0, s25
	s_mul_hi_u32 s28, s21, s15
	s_mul_i32 s15, s21, s15
	s_add_u32 s15, s26, s15
	s_mul_hi_u32 s27, s21, s24
	s_addc_u32 s15, s25, s28
	s_addc_u32 s25, s27, 0
	s_mul_i32 s24, s21, s24
	s_add_u32 s15, s15, s24
	s_addc_u32 s28, 0, s25
	s_mul_i32 s24, s18, s28
	s_mul_hi_u32 s25, s18, s15
	s_add_i32 s24, s25, s24
	s_mul_i32 s25, s19, s15
	s_add_i32 s29, s24, s25
	s_sub_i32 s26, s21, s29
	s_mul_i32 s24, s18, s15
	s_sub_u32 s20, s20, s24
	s_cselect_b64 s[24:25], -1, 0
	s_cmp_lg_u64 s[24:25], 0
	s_subb_u32 s30, s26, s19
	s_sub_u32 s31, s20, s18
	s_cselect_b64 s[26:27], -1, 0
	s_cmp_lg_u64 s[26:27], 0
	s_subb_u32 s26, s30, 0
	s_cmp_ge_u32 s26, s19
	s_cselect_b32 s27, -1, 0
	s_cmp_ge_u32 s31, s18
	s_cselect_b32 s30, -1, 0
	s_cmp_eq_u32 s26, s19
	s_cselect_b32 s26, s30, s27
	s_add_u32 s27, s15, 1
	s_addc_u32 s30, s28, 0
	s_add_u32 s31, s15, 2
	s_addc_u32 s33, s28, 0
	s_cmp_lg_u32 s26, 0
	s_cselect_b32 s26, s31, s27
	s_cselect_b32 s27, s33, s30
	s_cmp_lg_u64 s[24:25], 0
	s_subb_u32 s21, s21, s29
	s_cmp_ge_u32 s21, s19
	s_cselect_b32 s24, -1, 0
	s_cmp_ge_u32 s20, s18
	s_cselect_b32 s18, -1, 0
	s_cmp_eq_u32 s21, s19
	s_cselect_b32 s18, s18, s24
	s_cmp_lg_u32 s18, 0
	s_cselect_b32 s19, s27, s28
	s_cselect_b32 s18, s26, s15
	s_xor_b64 s[20:21], s[22:23], 0
	s_xor_b64 s[18:19], s[18:19], s[20:21]
	s_sub_u32 s18, s18, s20
	s_cbranch_execnz .LBB16_6
.LBB16_5:
	v_cvt_f32_u32_e32 v1, s5
	s_waitcnt lgkmcnt(0)
	s_sub_i32 s15, 0, s5
	v_rcp_iflag_f32_e32 v1, v1
	s_nop 0
	v_mul_f32_e32 v1, 0x4f7ffffe, v1
	v_cvt_u32_f32_e32 v1, v1
	s_nop 0
	v_readfirstlane_b32 s16, v1
	s_mul_i32 s15, s15, s16
	s_mul_hi_u32 s15, s16, s15
	s_add_i32 s16, s16, s15
	s_mul_hi_u32 s15, s7, s16
	s_mul_i32 s17, s15, s5
	s_sub_i32 s7, s7, s17
	s_add_i32 s16, s15, 1
	s_sub_i32 s17, s7, s5
	s_cmp_ge_u32 s7, s5
	s_cselect_b32 s15, s16, s15
	s_cselect_b32 s7, s17, s7
	s_add_i32 s16, s15, 1
	s_cmp_ge_u32 s7, s5
	s_cselect_b32 s18, s16, s15
.LBB16_6:
	s_cmp_eq_u32 s6, s18
	s_waitcnt lgkmcnt(0)
	s_mul_hi_u32 s7, s6, s12
	s_cselect_b64 s[16:17], -1, 0
	s_add_i32 s7, s7, s6
	s_lshr_b32 s7, s7, s13
	s_mul_i32 s15, s7, s14
	s_cmp_eq_u32 s15, s6
	s_mul_hi_u32 s15, s18, s12
	s_cselect_b64 s[20:21], -1, 0
	s_add_i32 s15, s15, s18
	s_lshr_b32 s15, s15, s13
	s_cmp_eq_u32 s7, s15
	s_mul_i32 s15, s15, s14
	s_cselect_b64 s[22:23], -1, 0
	s_cmp_lg_u32 s15, s18
	s_cselect_b64 s[18:19], -1, 0
	s_and_b64 s[18:19], s[22:23], s[18:19]
	s_or_b64 s[16:17], s[16:17], s[20:21]
	s_or_b64 s[16:17], s[16:17], s[18:19]
	s_and_b64 vcc, exec, s[16:17]
	s_cbranch_vccnz .LBB16_23
; %bb.7:
	s_load_dwordx8 s[16:23], s[0:1], 0x20
	s_load_dword s24, s[0:1], 0x40
	s_waitcnt lgkmcnt(0)
	s_mul_hi_u32 s15, s6, s16
	s_add_i32 s15, s15, s6
	s_lshr_b32 s15, s15, s17
	s_mul_i32 s16, s15, s18
	s_sub_i32 s16, s6, s16
	s_mul_hi_u32 s17, s16, s19
	s_add_i32 s17, s16, s17
	s_lshr_b32 s20, s17, s20
	s_mul_i32 s17, s20, s21
	s_sub_i32 s16, s16, s17
	;; [unrolled: 5-line block ×3, first 2 shown]
	s_lshl_b32 s22, s17, 3
	s_mul_hi_u32 s17, s16, s12
	s_add_i32 s16, s16, s17
	s_lshr_b32 s21, s16, s13
	s_add_i32 s21, s21, s3
	s_cmp_lt_i32 s21, s8
	s_cselect_b64 s[16:17], -1, 0
	s_add_i32 s22, s22, s4
	s_cmp_lt_i32 s22, s10
	s_cselect_b64 s[18:19], -1, 0
	s_and_b64 s[16:17], s[16:17], s[18:19]
	s_andn2_b64 vcc, exec, s[16:17]
	s_cbranch_vccnz .LBB16_23
; %bb.8:
	s_load_dwordx4 s[16:19], s[0:1], 0x0
	s_mov_b32 s0, 0
	s_lshl_b32 s24, s5, 5
	s_mov_b32 s25, s0
	s_mul_i32 s15, s15, s8
	s_waitcnt lgkmcnt(0)
	v_mov_b32_e32 v2, s16
	v_mov_b32_e32 v3, s17
	s_lshl_b64 s[16:17], s[24:25], 2
	s_add_u32 s16, s18, s16
	s_addc_u32 s17, s19, s17
	s_mul_i32 s20, s20, s10
	s_add_i32 s1, s21, s15
	s_mul_i32 s1, s1, s9
	s_add_i32 s8, s22, s20
	s_add_i32 s8, s8, s1
	v_lshl_or_b32 v4, s8, 6, v0
	v_ashrrev_i32_e32 v5, 31, v4
	v_lshl_add_u64 v[2:3], v[4:5], 2, v[2:3]
	global_load_dword v1, v[2:3], off
	s_add_i32 s1, s3, s2
	v_cvt_f32_u32_e32 v4, s5
	s_lshl_b32 s1, s1, 3
	s_add_i32 s8, s1, s4
	s_ashr_i32 s9, s8, 31
	s_lshl_b64 s[8:9], s[8:9], 3
	v_rcp_iflag_f32_e32 v4, v4
	s_add_u32 s8, s18, s8
	s_addc_u32 s9, s19, s9
	s_load_dwordx2 s[8:9], s[8:9], 0x0
	v_mul_f32_e32 v4, 0x4f7ffffe, v4
	v_cvt_u32_f32_e32 v7, v4
	s_add_i32 s25, s2, -1
	v_lshl_or_b32 v6, s4, 6, v0
	s_waitcnt lgkmcnt(0)
	v_mov_b32_e32 v0, s9
	v_mov_b32_e32 v9, s8
	s_mov_b32 s2, 0x3fb8aa3b
	s_mov_b32 s10, 0xc2ce8ed0
	;; [unrolled: 1-line block ×4, first 2 shown]
	v_mov_b32_e32 v8, 0x7f800000
	s_mul_hi_i32 s1, s25, s11
	s_cmp_lg_u64 s[0:1], 0
	s_mul_i32 s22, s25, s11
	s_cbranch_scc0 .LBB16_19
.LBB16_9:
	s_add_u32 s8, s5, 0
	s_addc_u32 s9, 0, 0
	s_xor_b64 s[8:9], s[8:9], 0
	v_cvt_f32_u32_e32 v4, s8
	v_cvt_f32_u32_e32 v5, s9
	s_sub_u32 s23, 0, s8
	s_subb_u32 s26, 0, s9
	v_fmac_f32_e32 v4, 0x4f800000, v5
	v_rcp_f32_e32 v4, v4
	s_nop 0
	v_mul_f32_e32 v4, 0x5f7ffffc, v4
	v_mul_f32_e32 v5, 0x2f800000, v4
	v_trunc_f32_e32 v5, v5
	v_fmac_f32_e32 v4, 0xcf800000, v5
	v_cvt_u32_f32_e32 v5, v5
	v_cvt_u32_f32_e32 v4, v4
	v_readfirstlane_b32 s27, v5
	v_readfirstlane_b32 s20, v4
	s_mul_i32 s21, s23, s27
	s_mul_hi_u32 s29, s23, s20
	s_mul_i32 s28, s26, s20
	s_add_i32 s21, s29, s21
	s_mul_i32 s30, s23, s20
	s_add_i32 s21, s21, s28
	s_mul_i32 s29, s20, s21
	s_mul_hi_u32 s31, s20, s30
	s_mul_hi_u32 s28, s20, s21
	s_add_u32 s29, s31, s29
	s_addc_u32 s28, 0, s28
	s_mul_hi_u32 s33, s27, s30
	s_mul_i32 s30, s27, s30
	s_add_u32 s29, s29, s30
	s_mul_hi_u32 s31, s27, s21
	s_addc_u32 s28, s28, s33
	s_addc_u32 s29, s31, 0
	s_mul_i32 s21, s27, s21
	s_add_u32 s21, s28, s21
	s_addc_u32 s28, 0, s29
	s_add_u32 s29, s20, s21
	s_cselect_b64 s[20:21], -1, 0
	s_cmp_lg_u64 s[20:21], 0
	s_addc_u32 s27, s27, s28
	s_mul_i32 s20, s23, s27
	s_mul_hi_u32 s21, s23, s29
	s_add_i32 s20, s21, s20
	s_mul_i32 s26, s26, s29
	s_add_i32 s20, s20, s26
	s_mul_i32 s23, s23, s29
	s_mul_hi_u32 s26, s27, s23
	s_mul_i32 s28, s27, s23
	s_mul_i32 s31, s29, s20
	s_mul_hi_u32 s23, s29, s23
	s_mul_hi_u32 s30, s29, s20
	s_add_u32 s23, s23, s31
	s_addc_u32 s30, 0, s30
	s_add_u32 s23, s23, s28
	s_mul_hi_u32 s21, s27, s20
	s_addc_u32 s23, s30, s26
	s_addc_u32 s21, s21, 0
	s_mul_i32 s20, s27, s20
	s_add_u32 s20, s23, s20
	s_addc_u32 s23, 0, s21
	s_add_u32 s28, s29, s20
	s_cselect_b64 s[20:21], -1, 0
	s_cmp_lg_u64 s[20:21], 0
	s_addc_u32 s23, s27, s23
	s_ashr_i32 s20, s1, 31
	s_add_u32 s26, s22, s20
	s_mov_b32 s21, s20
	s_addc_u32 s27, s1, s20
	s_xor_b64 s[26:27], s[26:27], s[20:21]
	s_mul_i32 s29, s26, s23
	s_mul_hi_u32 s30, s26, s28
	s_mul_hi_u32 s1, s26, s23
	s_add_u32 s29, s30, s29
	s_addc_u32 s1, 0, s1
	s_mul_hi_u32 s31, s27, s28
	s_mul_i32 s28, s27, s28
	s_add_u32 s28, s29, s28
	s_mul_hi_u32 s30, s27, s23
	s_addc_u32 s1, s1, s31
	s_addc_u32 s28, s30, 0
	s_mul_i32 s23, s27, s23
	s_add_u32 s1, s1, s23
	s_addc_u32 s23, 0, s28
	s_mul_i32 s28, s8, s23
	s_mul_hi_u32 s29, s8, s1
	s_add_i32 s28, s29, s28
	s_mul_i32 s29, s9, s1
	s_add_i32 s33, s28, s29
	s_sub_i32 s30, s27, s33
	s_mul_i32 s28, s8, s1
	s_sub_u32 s26, s26, s28
	s_cselect_b64 s[28:29], -1, 0
	s_cmp_lg_u64 s[28:29], 0
	s_subb_u32 s34, s30, s9
	s_sub_u32 s35, s26, s8
	s_cselect_b64 s[30:31], -1, 0
	s_cmp_lg_u64 s[30:31], 0
	s_subb_u32 s30, s34, 0
	s_cmp_ge_u32 s30, s9
	s_cselect_b32 s31, -1, 0
	s_cmp_ge_u32 s35, s8
	s_cselect_b32 s34, -1, 0
	s_cmp_eq_u32 s30, s9
	s_cselect_b32 s30, s34, s31
	s_add_u32 s31, s1, 1
	s_addc_u32 s34, s23, 0
	s_add_u32 s35, s1, 2
	s_addc_u32 s36, s23, 0
	s_cmp_lg_u32 s30, 0
	s_cselect_b32 s30, s35, s31
	s_cselect_b32 s31, s36, s34
	s_cmp_lg_u64 s[28:29], 0
	s_subb_u32 s27, s27, s33
	s_cmp_ge_u32 s27, s9
	s_cselect_b32 s28, -1, 0
	s_cmp_ge_u32 s26, s8
	s_cselect_b32 s8, -1, 0
	s_cmp_eq_u32 s27, s9
	s_cselect_b32 s8, s8, s28
	s_cmp_lg_u32 s8, 0
	s_cselect_b32 s9, s31, s23
	s_cselect_b32 s8, s30, s1
	s_xor_b64 s[20:21], s[20:21], 0
	s_xor_b64 s[8:9], s[8:9], s[20:21]
	s_sub_u32 s20, s8, s20
	s_cbranch_execnz .LBB16_11
.LBB16_10:
	s_sub_i32 s1, 0, s5
	v_readfirstlane_b32 s8, v7
	s_mul_i32 s1, s1, s8
	s_mul_hi_u32 s1, s8, s1
	s_add_i32 s8, s8, s1
	s_mul_hi_u32 s1, s22, s8
	s_mul_i32 s9, s1, s5
	s_sub_i32 s9, s22, s9
	s_add_i32 s8, s1, 1
	s_sub_i32 s20, s9, s5
	s_cmp_ge_u32 s9, s5
	s_cselect_b32 s1, s8, s1
	s_cselect_b32 s9, s20, s9
	s_add_i32 s8, s1, 1
	s_cmp_ge_u32 s9, s5
	s_cselect_b32 s20, s8, s1
.LBB16_11:
	s_cmp_lg_u32 s6, s20
	s_cbranch_scc0 .LBB16_15
; %bb.12:
	s_add_i32 s21, s25, s3
	s_add_i32 s1, s21, s5
	s_lshl_b32 s1, s1, 3
	s_add_i32 s8, s1, s4
	s_mov_b32 s9, s0
	s_lshl_b64 s[8:9], s[8:9], 3
	s_add_u32 s22, s18, s8
	s_mul_hi_u32 s1, s20, s12
	s_addc_u32 s23, s19, s9
	s_add_i32 s1, s1, s20
	s_lshr_b32 s1, s1, s13
	s_mul_i32 s8, s1, s14
	s_cmp_eq_u32 s8, s20
	s_cselect_b64 s[8:9], -1, 0
	s_cmp_lt_u32 s1, s7
	s_cselect_b64 s[26:27], -1, 0
	s_or_b64 s[26:27], s[26:27], s[8:9]
	s_mov_b64 s[8:9], -1
	s_and_b64 vcc, exec, s[26:27]
	s_mov_b32 s1, s25
	s_mov_b32 s26, s6
	s_cbranch_vccnz .LBB16_14
; %bb.13:
	s_add_i32 s1, s25, -1
	s_mov_b64 s[8:9], 0
	s_mov_b32 s26, s20
.LBB16_14:
	v_lshl_add_u32 v4, s21, 9, v6
	v_ashrrev_i32_e32 v5, 31, v4
	v_lshl_add_u64 v[4:5], v[4:5], 2, s[16:17]
	global_load_dword v5, v[4:5], off
	s_load_dwordx2 s[20:21], s[22:23], 0x0
	v_max_f32_e32 v4, v9, v9
	s_waitcnt lgkmcnt(0)
	v_max_f32_e64 v10, s20, s20
	v_max_f32_e32 v10, v4, v10
	v_sub_f32_e32 v11, v9, v10
	v_sub_f32_e32 v13, s20, v10
	v_mul_f32_e32 v4, 0x3fb8aa3b, v11
	v_mul_f32_e32 v12, 0x3fb8aa3b, v13
	v_fma_f32 v14, v11, s2, -v4
	v_rndne_f32_e32 v15, v4
	v_fma_f32 v16, v13, s2, -v12
	v_rndne_f32_e32 v17, v12
	v_fmac_f32_e32 v14, 0x32a5705f, v11
	v_sub_f32_e32 v4, v4, v15
	v_fmac_f32_e32 v16, 0x32a5705f, v13
	v_sub_f32_e32 v12, v12, v17
	v_add_f32_e32 v4, v4, v14
	v_cvt_i32_f32_e32 v15, v15
	v_add_f32_e32 v12, v12, v16
	v_exp_f32_e32 v14, v4
	v_cvt_i32_f32_e32 v17, v17
	v_exp_f32_e32 v12, v12
	v_cmp_ngt_f32_e32 vcc, s10, v11
	v_ldexp_f32 v14, v14, v15
	v_mov_b32_e32 v4, s21
	v_ldexp_f32 v12, v12, v17
	v_cndmask_b32_e32 v14, 0, v14, vcc
	v_cmp_ngt_f32_e32 vcc, s10, v13
	s_nop 1
	v_cndmask_b32_e32 v12, 0, v12, vcc
	v_cmp_nlt_f32_e32 vcc, s15, v11
	s_nop 1
	v_cndmask_b32_e32 v14, v8, v14, vcc
	v_cmp_nlt_f32_e32 vcc, s15, v13
	s_nop 1
	v_cndmask_b32_e32 v15, v8, v12, vcc
	v_cmp_le_f32_e32 vcc, s24, v11
	s_nop 1
	v_cndmask_b32_e32 v12, 0, v14, vcc
	v_cmp_le_f32_e32 vcc, s24, v13
	s_nop 1
	v_cndmask_b32_e32 v14, 0, v15, vcc
	s_waitcnt vmcnt(0)
	v_pk_mul_f32 v[4:5], v[4:5], v[14:15] op_sel_hi:[1,0]
	s_nop 0
	v_pk_fma_f32 v[4:5], v[0:1], v[12:13], v[4:5] op_sel_hi:[1,0,1]
	s_cbranch_execz .LBB16_16
	s_branch .LBB16_17
.LBB16_15:
                                        ; implicit-def: $vgpr4_vgpr5
                                        ; implicit-def: $sgpr8_sgpr9
                                        ; implicit-def: $vgpr10
                                        ; implicit-def: $sgpr1
                                        ; implicit-def: $sgpr26
.LBB16_16:
	s_add_i32 s1, s25, -1
	s_mov_b64 s[8:9], 0
	s_mov_b32 s26, s6
	v_mov_b32_e32 v10, v9
	s_waitcnt vmcnt(0)
	v_mov_b64_e32 v[4:5], v[0:1]
.LBB16_17:
	s_andn2_b64 vcc, exec, s[8:9]
	s_cbranch_vccz .LBB16_22
; %bb.18:
	s_mov_b32 s6, s26
	s_mov_b32 s25, s1
	v_mov_b32_e32 v9, v10
	s_waitcnt vmcnt(0)
	v_mov_b64_e32 v[0:1], v[4:5]
	s_mul_hi_i32 s1, s25, s11
	s_cmp_lg_u64 s[0:1], 0
	s_mul_i32 s22, s25, s11
	s_cbranch_scc1 .LBB16_9
.LBB16_19:
                                        ; implicit-def: $sgpr20_sgpr21
	s_branch .LBB16_10
.LBB16_20:
                                        ; implicit-def: $sgpr6_sgpr7
	s_load_dwordx4 s[12:15], s[0:1], 0x44
	s_branch .LBB16_2
.LBB16_21:
                                        ; implicit-def: $sgpr18_sgpr19
	s_branch .LBB16_5
.LBB16_22:
	v_div_scale_f32 v0, s[0:1], v4, v4, v5
	s_waitcnt vmcnt(0)
	v_rcp_f32_e32 v1, v0
	v_div_scale_f32 v6, vcc, v5, v4, v5
	v_fma_f32 v7, -v0, v1, 1.0
	v_fmac_f32_e32 v1, v7, v1
	v_mul_f32_e32 v7, v6, v1
	v_fma_f32 v8, -v0, v7, v6
	v_fmac_f32_e32 v7, v8, v1
	v_fma_f32 v0, -v0, v7, v6
	v_div_fmas_f32 v0, v0, v1, v7
	v_div_fixup_f32 v0, v0, v4, v5
	global_store_dword v[2:3], v0, off
.LBB16_23:
	s_endpgm
	.section	.rodata,"a",@progbits
	.p2align	6, 0x0
	.amdhsa_kernel _ZL33flash_attn_stream_k_fixup_generalILi64ELi1ELi8EEvPfPK15HIP_vector_typeIfLj2EEiiiiS1_IjLj3EES5_S5_S5_
		.amdhsa_group_segment_fixed_size 0
		.amdhsa_private_segment_fixed_size 0
		.amdhsa_kernarg_size 336
		.amdhsa_user_sgpr_count 2
		.amdhsa_user_sgpr_dispatch_ptr 0
		.amdhsa_user_sgpr_queue_ptr 0
		.amdhsa_user_sgpr_kernarg_segment_ptr 1
		.amdhsa_user_sgpr_dispatch_id 0
		.amdhsa_user_sgpr_kernarg_preload_length 0
		.amdhsa_user_sgpr_kernarg_preload_offset 0
		.amdhsa_user_sgpr_private_segment_size 0
		.amdhsa_uses_dynamic_stack 0
		.amdhsa_enable_private_segment 0
		.amdhsa_system_sgpr_workgroup_id_x 1
		.amdhsa_system_sgpr_workgroup_id_y 1
		.amdhsa_system_sgpr_workgroup_id_z 1
		.amdhsa_system_sgpr_workgroup_info 0
		.amdhsa_system_vgpr_workitem_id 0
		.amdhsa_next_free_vgpr 18
		.amdhsa_next_free_sgpr 37
		.amdhsa_accum_offset 20
		.amdhsa_reserve_vcc 1
		.amdhsa_float_round_mode_32 0
		.amdhsa_float_round_mode_16_64 0
		.amdhsa_float_denorm_mode_32 3
		.amdhsa_float_denorm_mode_16_64 3
		.amdhsa_dx10_clamp 1
		.amdhsa_ieee_mode 1
		.amdhsa_fp16_overflow 0
		.amdhsa_tg_split 0
		.amdhsa_exception_fp_ieee_invalid_op 0
		.amdhsa_exception_fp_denorm_src 0
		.amdhsa_exception_fp_ieee_div_zero 0
		.amdhsa_exception_fp_ieee_overflow 0
		.amdhsa_exception_fp_ieee_underflow 0
		.amdhsa_exception_fp_ieee_inexact 0
		.amdhsa_exception_int_div_zero 0
	.end_amdhsa_kernel
	.section	.text._ZL33flash_attn_stream_k_fixup_generalILi64ELi1ELi8EEvPfPK15HIP_vector_typeIfLj2EEiiiiS1_IjLj3EES5_S5_S5_,"axG",@progbits,_ZL33flash_attn_stream_k_fixup_generalILi64ELi1ELi8EEvPfPK15HIP_vector_typeIfLj2EEiiiiS1_IjLj3EES5_S5_S5_,comdat
.Lfunc_end16:
	.size	_ZL33flash_attn_stream_k_fixup_generalILi64ELi1ELi8EEvPfPK15HIP_vector_typeIfLj2EEiiiiS1_IjLj3EES5_S5_S5_, .Lfunc_end16-_ZL33flash_attn_stream_k_fixup_generalILi64ELi1ELi8EEvPfPK15HIP_vector_typeIfLj2EEiiiiS1_IjLj3EES5_S5_S5_
                                        ; -- End function
	.set _ZL33flash_attn_stream_k_fixup_generalILi64ELi1ELi8EEvPfPK15HIP_vector_typeIfLj2EEiiiiS1_IjLj3EES5_S5_S5_.num_vgpr, 18
	.set _ZL33flash_attn_stream_k_fixup_generalILi64ELi1ELi8EEvPfPK15HIP_vector_typeIfLj2EEiiiiS1_IjLj3EES5_S5_S5_.num_agpr, 0
	.set _ZL33flash_attn_stream_k_fixup_generalILi64ELi1ELi8EEvPfPK15HIP_vector_typeIfLj2EEiiiiS1_IjLj3EES5_S5_S5_.numbered_sgpr, 37
	.set _ZL33flash_attn_stream_k_fixup_generalILi64ELi1ELi8EEvPfPK15HIP_vector_typeIfLj2EEiiiiS1_IjLj3EES5_S5_S5_.num_named_barrier, 0
	.set _ZL33flash_attn_stream_k_fixup_generalILi64ELi1ELi8EEvPfPK15HIP_vector_typeIfLj2EEiiiiS1_IjLj3EES5_S5_S5_.private_seg_size, 0
	.set _ZL33flash_attn_stream_k_fixup_generalILi64ELi1ELi8EEvPfPK15HIP_vector_typeIfLj2EEiiiiS1_IjLj3EES5_S5_S5_.uses_vcc, 1
	.set _ZL33flash_attn_stream_k_fixup_generalILi64ELi1ELi8EEvPfPK15HIP_vector_typeIfLj2EEiiiiS1_IjLj3EES5_S5_S5_.uses_flat_scratch, 0
	.set _ZL33flash_attn_stream_k_fixup_generalILi64ELi1ELi8EEvPfPK15HIP_vector_typeIfLj2EEiiiiS1_IjLj3EES5_S5_S5_.has_dyn_sized_stack, 0
	.set _ZL33flash_attn_stream_k_fixup_generalILi64ELi1ELi8EEvPfPK15HIP_vector_typeIfLj2EEiiiiS1_IjLj3EES5_S5_S5_.has_recursion, 0
	.set _ZL33flash_attn_stream_k_fixup_generalILi64ELi1ELi8EEvPfPK15HIP_vector_typeIfLj2EEiiiiS1_IjLj3EES5_S5_S5_.has_indirect_call, 0
	.section	.AMDGPU.csdata,"",@progbits
; Kernel info:
; codeLenInByte = 2924
; TotalNumSgprs: 43
; NumVgprs: 18
; NumAgprs: 0
; TotalNumVgprs: 18
; ScratchSize: 0
; MemoryBound: 0
; FloatMode: 240
; IeeeMode: 1
; LDSByteSize: 0 bytes/workgroup (compile time only)
; SGPRBlocks: 5
; VGPRBlocks: 2
; NumSGPRsForWavesPerEU: 43
; NumVGPRsForWavesPerEU: 18
; AccumOffset: 20
; Occupancy: 8
; WaveLimiterHint : 0
; COMPUTE_PGM_RSRC2:SCRATCH_EN: 0
; COMPUTE_PGM_RSRC2:USER_SGPR: 2
; COMPUTE_PGM_RSRC2:TRAP_HANDLER: 0
; COMPUTE_PGM_RSRC2:TGID_X_EN: 1
; COMPUTE_PGM_RSRC2:TGID_Y_EN: 1
; COMPUTE_PGM_RSRC2:TGID_Z_EN: 1
; COMPUTE_PGM_RSRC2:TIDIG_COMP_CNT: 0
; COMPUTE_PGM_RSRC3_GFX90A:ACCUM_OFFSET: 4
; COMPUTE_PGM_RSRC3_GFX90A:TG_SPLIT: 0
	.section	.text._ZL15flash_attn_tileILi64ELi64ELi16ELi4ELb0EEvPKcS1_S1_S1_S1_PKiPfP15HIP_vector_typeIfLj2EEffffjfiS5_IjLj3EEiiiiiiiiiiiliiliiiiil,"axG",@progbits,_ZL15flash_attn_tileILi64ELi64ELi16ELi4ELb0EEvPKcS1_S1_S1_S1_PKiPfP15HIP_vector_typeIfLj2EEffffjfiS5_IjLj3EEiiiiiiiiiiiliiliiiiil,comdat
	.globl	_ZL15flash_attn_tileILi64ELi64ELi16ELi4ELb0EEvPKcS1_S1_S1_S1_PKiPfP15HIP_vector_typeIfLj2EEffffjfiS5_IjLj3EEiiiiiiiiiiiliiliiiiil ; -- Begin function _ZL15flash_attn_tileILi64ELi64ELi16ELi4ELb0EEvPKcS1_S1_S1_S1_PKiPfP15HIP_vector_typeIfLj2EEffffjfiS5_IjLj3EEiiiiiiiiiiiliiliiiiil
	.p2align	8
	.type	_ZL15flash_attn_tileILi64ELi64ELi16ELi4ELb0EEvPKcS1_S1_S1_S1_PKiPfP15HIP_vector_typeIfLj2EEffffjfiS5_IjLj3EEiiiiiiiiiiiliiliiiiil,@function
_ZL15flash_attn_tileILi64ELi64ELi16ELi4ELb0EEvPKcS1_S1_S1_S1_PKiPfP15HIP_vector_typeIfLj2EEffffjfiS5_IjLj3EEiiiiiiiiiiiliiliiiiil: ; @_ZL15flash_attn_tileILi64ELi64ELi16ELi4ELb0EEvPKcS1_S1_S1_S1_PKiPfP15HIP_vector_typeIfLj2EEffffjfiS5_IjLj3EEiiiiiiiiiiiliiliiiiil
; %bb.0:
	s_load_dwordx4 s[20:23], s[0:1], 0x5c
	s_load_dwordx2 s[30:31], s[0:1], 0x80
	s_load_dwordx2 s[36:37], s[0:1], 0xb8
	s_mov_b64 s[34:35], 0
	s_waitcnt lgkmcnt(0)
	s_ashr_i32 s5, s23, 31
	s_lshr_b32 s5, s5, 30
	s_add_i32 s5, s23, s5
	s_ashr_i32 s5, s5, 2
	v_cvt_f32_u32_e32 v1, s5
	s_sub_i32 s6, 0, s5
	v_rcp_iflag_f32_e32 v1, v1
	s_nop 0
	v_mul_f32_e32 v1, 0x4f7ffffe, v1
	v_cvt_u32_f32_e32 v1, v1
	s_nop 0
	v_readfirstlane_b32 s7, v1
	s_mul_i32 s6, s6, s7
	s_mul_hi_u32 s6, s7, s6
	s_add_i32 s7, s7, s6
	s_mul_hi_u32 s6, s4, s7
	s_mul_i32 s7, s6, s5
	s_sub_i32 s7, s4, s7
	s_add_i32 s8, s6, 1
	s_sub_i32 s9, s7, s5
	s_cmp_ge_u32 s7, s5
	s_cselect_b32 s6, s8, s6
	s_cselect_b32 s7, s9, s7
	s_add_i32 s8, s6, 1
	s_cmp_ge_u32 s7, s5
	s_cselect_b32 s33, s8, s6
	s_abs_i32 s5, s31
	v_cvt_f32_u32_e32 v1, s5
	s_lshl_b32 s4, s4, 2
	s_mul_i32 s8, s33, s23
	s_sub_i32 s9, 0, s5
	v_rcp_iflag_f32_e32 v1, v1
	s_sub_i32 s28, s4, s8
	s_abs_i32 s7, s23
	s_xor_b32 s6, s23, s31
	v_mul_f32_e32 v1, 0x4f7ffffe, v1
	v_cvt_u32_f32_e32 v1, v1
	s_ashr_i32 s6, s6, 31
	v_readfirstlane_b32 s4, v1
	s_mul_i32 s9, s9, s4
	s_mul_hi_u32 s8, s4, s9
	s_add_i32 s4, s4, s8
	s_mul_hi_u32 s4, s7, s4
	s_mul_i32 s8, s4, s5
	s_sub_i32 s7, s7, s8
	s_add_i32 s9, s4, 1
	s_sub_i32 s8, s7, s5
	s_cmp_ge_u32 s7, s5
	s_cselect_b32 s4, s9, s4
	s_cselect_b32 s7, s8, s7
	s_add_i32 s8, s4, 1
	s_cmp_ge_u32 s7, s5
	s_cselect_b32 s4, s8, s4
	s_xor_b32 s4, s4, s6
	s_sub_i32 s38, s4, s6
	s_abs_i32 s29, s38
	v_cvt_f32_u32_e32 v1, s29
	s_load_dwordx16 s[4:19], s[0:1], 0x0
	v_rcp_iflag_f32_e32 v1, v1
	s_waitcnt lgkmcnt(0)
	s_cmp_eq_u64 s[10:11], 0
	v_mul_f32_e32 v1, 0x4f7ffffe, v1
	v_cvt_u32_f32_e32 v1, v1
	s_nop 0
	v_readfirstlane_b32 s39, v1
	s_cbranch_scc1 .LBB17_2
; %bb.1:
	s_abs_i32 s26, s36
	v_cvt_f32_u32_e32 v1, s26
	s_sub_i32 s34, 0, s26
	s_abs_i32 s31, s33
	s_ashr_i32 s27, s33, 31
	v_rcp_iflag_f32_e32 v1, v1
	s_load_dwordx2 s[24:25], s[0:1], 0xc8
	v_mul_f32_e32 v1, 0x4f7ffffe, v1
	v_cvt_u32_f32_e32 v1, v1
	s_nop 0
	v_readfirstlane_b32 s35, v1
	s_mul_i32 s34, s34, s35
	s_mul_hi_u32 s34, s35, s34
	s_add_i32 s35, s35, s34
	s_mul_hi_u32 s34, s31, s35
	s_mul_i32 s34, s34, s26
	s_sub_i32 s31, s31, s34
	s_sub_i32 s34, s31, s26
	s_cmp_ge_u32 s31, s26
	s_cselect_b32 s31, s34, s31
	s_sub_i32 s34, s31, s26
	s_cmp_ge_u32 s31, s26
	s_cselect_b32 s26, s34, s31
	s_xor_b32 s26, s26, s27
	s_sub_i32 s26, s26, s27
	s_ashr_i32 s27, s26, 31
	s_waitcnt lgkmcnt(0)
	s_mul_hi_u32 s31, s24, s26
	s_mul_i32 s27, s24, s27
	s_mul_i32 s25, s25, s26
	s_add_i32 s27, s31, s27
	s_add_i32 s27, s27, s25
	s_mul_i32 s24, s24, s26
	s_add_u32 s34, s10, s24
	s_addc_u32 s35, s11, s27
.LBB17_2:
	s_load_dwordx4 s[24:27], s[0:1], 0x70
	v_bfe_u32 v1, v0, 10, 10
	s_lshl_b32 s31, s2, 4
	v_lshlrev_b32_e32 v66, 1, v1
	v_add_u32_e32 v68, s31, v66
	s_waitcnt lgkmcnt(0)
	s_mul_i32 s10, s33, s26
	s_ashr_i32 s26, s10, 31
	s_mul_i32 s11, s28, s25
	s_add_u32 s4, s4, s10
	v_and_b32_e32 v67, 0x3ff, v0
	v_mul_hi_u32 v0, v68, s20
	s_addc_u32 s5, s5, s26
	s_ashr_i32 s10, s11, 31
	v_add_u32_e32 v0, v68, v0
	s_add_u32 s26, s4, s11
	v_lshrrev_b32_e32 v0, s21, v0
	s_addc_u32 s27, s5, s10
	s_ashr_i32 s43, s24, 31
	s_mov_b32 s42, s24
	v_mul_lo_u32 v0, v0, s22
	s_lshr_b64 s[4:5], s[42:43], 2
	v_sub_u32_e32 v0, v68, v0
	s_ashr_i32 s11, s25, 31
	s_mov_b32 s10, s25
	v_mad_u64_u32 v[2:3], s[44:45], s4, v0, 0
	s_lshr_b64 s[40:41], s[10:11], 2
	v_mov_b32_e32 v4, v3
	s_lshr_b32 s36, s43, 2
	s_and_b32 s5, s25, -4
	v_mad_u64_u32 v[4:5], s[42:43], s36, v0, v[4:5]
	s_add_u32 s24, s26, s5
	s_addc_u32 s25, s27, s11
	s_lshl_b64 s[42:43], s[40:41], 3
	s_add_u32 s42, s26, s42
	s_mul_i32 s5, s11, 12
	s_mul_hi_u32 s10, s40, 12
	s_addc_u32 s43, s27, s43
	s_add_i32 s5, s10, s5
	s_mul_i32 s10, s40, 12
	v_lshlrev_b32_e32 v24, 3, v1
	v_mov_b32_e32 v3, v4
	s_add_u32 s10, s26, s10
	v_lshlrev_b64 v[2:3], 2, v[2:3]
	s_addc_u32 s11, s27, s5
	v_or_b32_e32 v25, 4, v24
	v_lshl_add_u64 v[4:5], s[26:27], 0, v[2:3]
	v_lshlrev_b32_e32 v6, 3, v67
	v_mov_b32_e32 v7, 0
	v_lshl_add_u64 v[8:9], s[24:25], 0, v[2:3]
	v_lshl_add_u64 v[10:11], s[42:43], 0, v[2:3]
	;; [unrolled: 1-line block ×3, first 2 shown]
	v_lshrrev_b32_e32 v64, 2, v25
	v_lshl_add_u64 v[4:5], v[4:5], 0, v[6:7]
	v_lshl_add_u64 v[2:3], v[2:3], 0, v[6:7]
	v_add_u32_e32 v65, s31, v64
	v_lshl_add_u64 v[8:9], v[8:9], 0, v[6:7]
	v_lshl_add_u64 v[10:11], v[10:11], 0, v[6:7]
	global_load_dwordx2 v[12:13], v[4:5], off
	global_load_dwordx2 v[14:15], v[8:9], off
	;; [unrolled: 1-line block ×4, first 2 shown]
	v_mul_hi_u32 v2, v65, s20
	v_add_u32_e32 v2, v65, v2
	v_lshrrev_b32_e32 v2, s21, v2
	v_mul_lo_u32 v2, v2, s22
	v_sub_u32_e32 v5, v65, v2
	v_mad_u64_u32 v[2:3], s[40:41], s4, v5, 0
	v_or_b32_e32 v26, 5, v24
	v_mov_b32_e32 v4, v3
	v_lshrrev_b32_e32 v62, 2, v26
	v_mad_u64_u32 v[4:5], s[40:41], s36, v5, v[4:5]
	v_add_u32_e32 v63, s31, v62
	v_mov_b32_e32 v3, v4
	v_mul_hi_u32 v4, v63, s20
	v_add_u32_e32 v4, v63, v4
	v_lshrrev_b32_e32 v4, s21, v4
	v_mul_lo_u32 v4, v4, s22
	v_sub_u32_e32 v9, v63, v4
	v_lshl_add_u64 v[2:3], v[2:3], 2, s[26:27]
	v_mad_u64_u32 v[4:5], s[26:27], s4, v9, 0
	v_or_b32_e32 v27, 6, v24
	v_mov_b32_e32 v8, v5
	v_lshrrev_b32_e32 v60, 2, v27
	v_mad_u64_u32 v[8:9], s[26:27], s36, v9, v[8:9]
	v_add_u32_e32 v61, s31, v60
	v_mov_b32_e32 v5, v8
	v_mul_hi_u32 v8, v61, s20
	v_add_u32_e32 v8, v61, v8
	v_lshrrev_b32_e32 v8, s21, v8
	v_mul_lo_u32 v8, v8, s22
	v_sub_u32_e32 v11, v61, v8
	v_lshl_add_u64 v[4:5], v[4:5], 2, s[24:25]
	v_mad_u64_u32 v[8:9], s[24:25], s4, v11, 0
	v_mov_b32_e32 v10, v9
	v_mad_u64_u32 v[10:11], s[24:25], s36, v11, v[10:11]
	v_mov_b32_e32 v9, v10
	v_lshl_add_u64 v[8:9], v[8:9], 2, s[42:43]
	v_lshl_add_u64 v[2:3], v[2:3], 0, v[6:7]
	;; [unrolled: 1-line block ×4, first 2 shown]
	global_load_dwordx2 v[10:11], v[2:3], off
	global_load_dwordx2 v[20:21], v[4:5], off
	;; [unrolled: 1-line block ×3, first 2 shown]
	v_or_b32_e32 v8, 7, v24
	v_lshrrev_b32_e32 v58, 2, v8
	v_add_u32_e32 v59, s31, v58
	v_mul_hi_u32 v2, v59, s20
	v_add_u32_e32 v2, v59, v2
	v_lshrrev_b32_e32 v2, s21, v2
	v_mul_lo_u32 v2, v2, s22
	v_sub_u32_e32 v5, v59, v2
	v_mad_u64_u32 v[2:3], s[4:5], s4, v5, 0
	v_mov_b32_e32 v4, v3
	v_mad_u64_u32 v[4:5], s[4:5], s36, v5, v[4:5]
	v_mov_b32_e32 v3, v4
	v_lshl_add_u64 v[2:3], v[2:3], 2, s[10:11]
	v_lshl_add_u64 v[2:3], v[2:3], 0, v[6:7]
	global_load_dwordx2 v[4:5], v[2:3], off
	s_load_dword s4, s[0:1], 0x40
	v_mov_b32_e32 v2, 0x4400
	v_lshl_add_u32 v3, v67, 2, v2
	v_lshlrev_b32_e32 v2, 10, v1
	v_add_u32_e32 v6, v3, v2
	s_cmp_eq_u64 s[14:15], 0
	s_waitcnt vmcnt(7) lgkmcnt(0)
	v_fma_mixlo_f16 v9, s4, v13, 0
	v_fma_mixlo_f16 v7, s4, v12, 0
	v_lshlrev_b32_e32 v9, 16, v9
	s_waitcnt vmcnt(6)
	v_fma_mixlo_f16 v12, s4, v15, 0
	v_or_b32_sdwa v7, v9, v7 dst_sel:DWORD dst_unused:UNUSED_PAD src0_sel:DWORD src1_sel:WORD_0
	v_fma_mixlo_f16 v9, s4, v14, 0
	v_lshlrev_b32_e32 v12, 16, v12
	v_or_b32_sdwa v9, v12, v9 dst_sel:DWORD dst_unused:UNUSED_PAD src0_sel:DWORD src1_sel:WORD_0
	ds_write2_b32 v6, v7, v9 offset1:32
	s_waitcnt vmcnt(5)
	v_fma_mixlo_f16 v9, s4, v17, 0
	v_fma_mixlo_f16 v7, s4, v16, 0
	v_lshlrev_b32_e32 v9, 16, v9
	s_waitcnt vmcnt(4)
	v_fma_mixlo_f16 v12, s4, v19, 0
	v_or_b32_sdwa v7, v9, v7 dst_sel:DWORD dst_unused:UNUSED_PAD src0_sel:DWORD src1_sel:WORD_0
	v_fma_mixlo_f16 v9, s4, v18, 0
	v_lshlrev_b32_e32 v12, 16, v12
	v_or_b32_sdwa v9, v12, v9 dst_sel:DWORD dst_unused:UNUSED_PAD src0_sel:DWORD src1_sel:WORD_0
	ds_write2_b32 v6, v7, v9 offset0:64 offset1:96
	v_lshl_add_u32 v6, v25, 7, v3
	s_waitcnt vmcnt(3)
	v_fma_mixlo_f16 v9, s4, v11, 0
	v_fma_mixlo_f16 v7, s4, v10, 0
	v_lshlrev_b32_e32 v9, 16, v9
	v_or_b32_sdwa v7, v9, v7 dst_sel:DWORD dst_unused:UNUSED_PAD src0_sel:DWORD src1_sel:WORD_0
	s_waitcnt vmcnt(2)
	v_fma_mixlo_f16 v9, s4, v21, 0
	ds_write_b32 v6, v7
	v_fma_mixlo_f16 v7, s4, v20, 0
	v_lshlrev_b32_e32 v9, 16, v9
	v_lshl_add_u32 v6, v26, 7, v3
	v_or_b32_sdwa v7, v9, v7 dst_sel:DWORD dst_unused:UNUSED_PAD src0_sel:DWORD src1_sel:WORD_0
	s_waitcnt vmcnt(1)
	v_fma_mixlo_f16 v9, s4, v23, 0
	ds_write_b32 v6, v7
	v_fma_mixlo_f16 v7, s4, v22, 0
	v_lshlrev_b32_e32 v9, 16, v9
	v_lshl_add_u32 v6, v27, 7, v3
	v_or_b32_sdwa v7, v9, v7 dst_sel:DWORD dst_unused:UNUSED_PAD src0_sel:DWORD src1_sel:WORD_0
	v_lshl_add_u32 v3, v8, 7, v3
	ds_write_b32 v6, v7
	s_waitcnt vmcnt(0)
	v_fma_mixlo_f16 v5, s4, v5, 0
	v_fma_mixlo_f16 v4, s4, v4, 0
	v_lshlrev_b32_e32 v5, 16, v5
	v_or_b32_sdwa v4, v5, v4 dst_sel:DWORD dst_unused:UNUSED_PAD src0_sel:DWORD src1_sel:WORD_0
	ds_write_b32 v3, v4
	s_waitcnt lgkmcnt(0)
	s_barrier
	s_cbranch_scc1 .LBB17_4
; %bb.3:
	s_load_dword s4, s[0:1], 0xd0
	s_mov_b32 s5, 0
	s_waitcnt lgkmcnt(0)
	s_mul_i32 s4, s4, s33
	s_add_i32 s4, s4, s2
	s_lshl_b64 s[4:5], s[4:5], 2
	s_add_u32 s4, s14, s4
	s_addc_u32 s5, s15, s5
	s_load_dword s30, s[4:5], 0x0
.LBB17_4:
	s_lshl_b32 s2, s3, 6
	s_waitcnt lgkmcnt(0)
	s_cmp_lt_i32 s2, s30
	v_mbcnt_lo_u32_b32 v3, -1, 0
	s_cbranch_scc1 .LBB17_7
; %bb.5:
	v_mbcnt_hi_u32_b32 v69, -1, v3
	v_and_b32_e32 v4, 0x60, v69
	v_add_u32_e32 v70, 32, v4
	v_xor_b32_e32 v74, 16, v69
	v_xor_b32_e32 v75, 8, v69
	v_xor_b32_e32 v73, 4, v69
	v_xor_b32_e32 v72, 2, v69
	v_xor_b32_e32 v71, 1, v69
	s_cbranch_execz .LBB17_8
; %bb.6:
	v_mov_b32_e32 v41, 0
	v_mov_b32_e32 v102, 0
	;; [unrolled: 1-line block ×24, first 2 shown]
	s_branch .LBB17_10
.LBB17_7:
                                        ; implicit-def: $vgpr69
                                        ; implicit-def: $vgpr70
                                        ; implicit-def: $vgpr74
                                        ; implicit-def: $vgpr75
                                        ; implicit-def: $vgpr73
                                        ; implicit-def: $vgpr72
                                        ; implicit-def: $vgpr71
.LBB17_8:
	s_sub_i32 s4, 0, s29
	s_mul_i32 s4, s4, s39
	s_mul_hi_u32 s4, s39, s4
	s_add_i32 s39, s39, s4
	s_load_dwordx2 s[4:5], s[0:1], 0x8c
	s_load_dwordx4 s[24:27], s[0:1], 0x98
	s_abs_i32 s14, s28
	s_mul_hi_u32 s15, s14, s39
	s_ashr_i32 s36, s28, 31
	s_waitcnt lgkmcnt(0)
	s_ashr_i32 s11, s4, 2
	s_ashr_i32 s4, s33, 31
	;; [unrolled: 1-line block ×4, first 2 shown]
	s_mul_hi_u32 s37, s24, s33
	s_mul_i32 s41, s24, s4
	s_add_i32 s37, s37, s41
	s_mul_i32 s25, s25, s33
	s_ashr_i32 s40, s38, 31
	s_add_i32 s37, s37, s25
	s_mul_i32 s24, s24, s33
	s_add_u32 s6, s6, s24
	s_mul_i32 s25, s15, s29
	s_addc_u32 s7, s7, s37
	s_sub_i32 s14, s14, s25
	s_xor_b32 s24, s36, s40
	s_add_i32 s25, s15, 1
	s_sub_i32 s36, s14, s29
	s_cmp_ge_u32 s14, s29
	s_cselect_b32 s15, s25, s15
	s_cselect_b32 s14, s36, s14
	s_add_i32 s25, s15, 1
	s_cmp_ge_u32 s14, s29
	s_load_dwordx2 s[38:39], s[0:1], 0xa8
	s_cselect_b32 s14, s25, s15
	s_xor_b32 s14, s14, s24
	s_sub_i32 s24, s14, s24
	s_mul_i32 s5, s24, s5
	s_ashr_i32 s15, s5, 31
	s_add_u32 s14, s6, s5
	s_waitcnt lgkmcnt(0)
	s_mul_hi_u32 s5, s38, s33
	s_mul_i32 s4, s38, s4
	s_addc_u32 s15, s7, s15
	s_add_i32 s4, s5, s4
	s_mul_i32 s5, s39, s33
	s_add_i32 s4, s4, s5
	s_mul_i32 s5, s38, s33
	v_mul_lo_u32 v81, v0, s26
	v_add3_u32 v0, s31, v66, 1
	s_add_u32 s5, s8, s5
	s_mul_i32 s24, s24, s27
	v_mul_hi_u32 v6, s20, v0
	s_addc_u32 s4, s9, s4
	s_ashr_i32 s6, s24, 31
	v_lshrrev_b32_e32 v4, 3, v67
	v_lshlrev_b32_e32 v76, 2, v67
	v_add_u32_e32 v6, v0, v6
	s_add_u32 s8, s5, s24
	v_lshl_add_u32 v1, v1, 2, v4
	v_and_b32_e32 v4, 28, v76
	v_lshrrev_b32_e32 v6, s21, v6
	s_addc_u32 s9, s4, s6
	v_lshlrev_b32_e32 v5, 2, v4
	s_movk_i32 s4, 0x90
	v_mul_lo_u32 v50, s11, v1
	v_mul_lo_u32 v6, v6, s22
	;; [unrolled: 1-line block ×3, first 2 shown]
	v_mbcnt_hi_u32_b32 v69, -1, v3
	v_mov_b32_e32 v49, 0
	v_mad_u32_u24 v77, v1, s4, v5
	v_lshl_add_u32 v52, s11, 5, v50
	v_add_u32_e32 v79, 0x4400, v2
	v_sub_u32_e32 v0, v0, v6
	v_add_u32_e32 v83, 0x2400, v2
	v_lshlrev_b32_e32 v2, 4, v67
	v_lshl_or_b32 v84, v1, 7, v5
	v_lshl_add_u32 v56, s10, 5, v54
	s_add_u32 s4, s0, 0xd0
	v_and_b32_e32 v1, 0x60, v69
	v_ashrrev_i32_e32 v51, 31, v50
	v_add_u32_e32 v78, 0x1200, v77
	v_ashrrev_i32_e32 v53, 31, v52
	v_mul_u32_u24_e32 v80, 0x90, v67
	v_mul_lo_u32 v82, v0, s26
	v_ashrrev_i32_e32 v55, 31, v54
	v_add_u32_e32 v85, 0x1000, v84
	v_ashrrev_i32_e32 v57, 31, v56
	s_addc_u32 s5, s1, 0
	v_mov_b32_e32 v0, 0xfeffffff
	v_lshlrev_b32_e32 v48, 2, v4
	v_add_u32_e32 v70, 32, v1
	v_xor_b32_e32 v74, 16, v69
	v_xor_b32_e32 v75, 8, v69
	;; [unrolled: 1-line block ×5, first 2 shown]
	s_mov_b32 s20, 0x3fb8aa3b
	s_mov_b32 s21, 0xc2ce8ed0
	;; [unrolled: 1-line block ×3, first 2 shown]
	v_mov_b32_e32 v86, 0x7f800000
	s_mov_b32 s25, 0x10001
	v_add_u32_e32 v87, v83, v2
	v_add_u32_e32 v88, 0x400, v76
	;; [unrolled: 1-line block ×8, first 2 shown]
	v_mov_b32_e32 v95, v49
	v_mov_b32_e32 v96, v49
	v_mov_b32_e32 v97, v49
	v_mov_b32_e32 v98, v49
	v_mov_b32_e32 v99, v49
	v_mov_b32_e32 v100, v49
	v_mov_b32_e32 v101, v49
	v_mov_b32_e32 v102, v49
	v_mov_b32_e32 v1, 0xfeffffff
	v_mov_b32_e32 v2, 0xfeffffff
	v_mov_b32_e32 v3, 0xfeffffff
	v_mov_b32_e32 v4, 0xfeffffff
	v_mov_b32_e32 v5, 0xfeffffff
	v_mov_b32_e32 v6, 0xfeffffff
	v_mov_b32_e32 v7, 0xfeffffff
	v_mov_b32_e32 v46, v49
	v_mov_b32_e32 v47, v49
	v_mov_b32_e32 v44, v49
	v_mov_b32_e32 v45, v49
	v_mov_b32_e32 v42, v49
	v_mov_b32_e32 v43, v49
	v_mov_b32_e32 v40, v49
	v_mov_b32_e32 v41, v49
.LBB17_9:                               ; =>This Inner Loop Header: Depth=1
	s_mul_hi_i32 s7, s2, s11
	s_mul_i32 s6, s2, s11
	s_lshl_b64 s[6:7], s[6:7], 2
	s_add_u32 s6, s14, s6
	s_addc_u32 s7, s15, s7
	v_mov_b32_e32 v109, v1
	v_mov_b32_e32 v110, v0
	v_lshl_add_u64 v[0:1], v[50:51], 2, s[6:7]
	v_lshl_add_u64 v[0:1], v[0:1], 0, v[48:49]
	v_mov_b32_e32 v107, v3
	v_mov_b32_e32 v108, v2
	global_load_dwordx4 v[0:3], v[0:1], off
	v_mov_b32_e32 v111, 0
	v_mov_b32_e32 v103, v7
	;; [unrolled: 1-line block ×12, first 2 shown]
	v_cmp_lt_i32_e32 vcc, v74, v70
	s_waitcnt vmcnt(0)
	ds_write_b128 v77, v[0:3]
	v_lshl_add_u64 v[0:1], v[52:53], 2, s[6:7]
	v_lshl_add_u64 v[0:1], v[0:1], 0, v[48:49]
	global_load_dwordx4 v[0:3], v[0:1], off
	s_mul_hi_i32 s7, s2, s10
	s_mul_i32 s6, s2, s10
	s_lshl_b64 s[6:7], s[6:7], 2
	s_add_u32 s6, s8, s6
	s_addc_u32 s7, s9, s7
	s_waitcnt vmcnt(0)
	ds_write_b128 v78, v[0:3]
	s_waitcnt lgkmcnt(0)
	s_barrier
	ds_read_b128 v[36:39], v80
	ds_read_b128 v[0:3], v80 offset:4608
	ds_read_b128 v[32:35], v79
	ds_read_b128 v[28:31], v79 offset:128
	ds_read_b128 v[24:27], v79 offset:256
	;; [unrolled: 1-line block ×7, first 2 shown]
	s_waitcnt lgkmcnt(7)
	;;#ASMSTART
	v_dot2_f32_f16 v111, v36, v32, v111
	;;#ASMEND
	s_nop 0
	;;#ASMSTART
	v_dot2_f32_f16 v111, v37, v33, v111
	;;#ASMEND
	s_nop 0
	;;#ASMSTART
	v_dot2_f32_f16 v111, v38, v34, v111
	;;#ASMEND
	s_nop 0
	;;#ASMSTART
	v_dot2_f32_f16 v111, v39, v35, v111
	;;#ASMEND
	s_waitcnt lgkmcnt(6)
	;;#ASMSTART
	v_dot2_f32_f16 v116, v36, v28, v116
	;;#ASMEND
	s_nop 0
	;;#ASMSTART
	v_dot2_f32_f16 v116, v37, v29, v116
	;;#ASMEND
	s_nop 0
	;;#ASMSTART
	v_dot2_f32_f16 v116, v38, v30, v116
	;;#ASMEND
	s_nop 0
	;;#ASMSTART
	v_dot2_f32_f16 v116, v39, v31, v116
	;;#ASMEND
	;; [unrolled: 16-line block ×7, first 2 shown]
	s_waitcnt lgkmcnt(0)
	;;#ASMSTART
	v_dot2_f32_f16 v112, v36, v4, v112
	;;#ASMEND
	v_mov_b32_e32 v36, 0
	;;#ASMSTART
	v_dot2_f32_f16 v112, v37, v5, v112
	;;#ASMEND
	s_nop 0
	;;#ASMSTART
	v_dot2_f32_f16 v112, v38, v6, v112
	;;#ASMEND
	s_nop 0
	;;#ASMSTART
	v_dot2_f32_f16 v112, v39, v7, v112
	;;#ASMEND
	;;#ASMSTART
	v_dot2_f32_f16 v36, v0, v32, v36
	;;#ASMEND
	v_mov_b32_e32 v32, 0
	;;#ASMSTART
	v_dot2_f32_f16 v36, v1, v33, v36
	;;#ASMEND
	s_nop 0
	;;#ASMSTART
	v_dot2_f32_f16 v36, v2, v34, v36
	;;#ASMEND
	s_nop 0
	;;#ASMSTART
	v_dot2_f32_f16 v36, v3, v35, v36
	;;#ASMEND
	;; [unrolled: 15-line block ×8, first 2 shown]
	;;#ASMSTART
	v_dot2_f32_f16 v8, v0, v4, v8
	;;#ASMEND
	s_nop 0
	;;#ASMSTART
	v_dot2_f32_f16 v8, v1, v5, v8
	;;#ASMEND
	s_nop 0
	;;#ASMSTART
	v_dot2_f32_f16 v8, v2, v6, v8
	;;#ASMEND
	s_nop 0
	;;#ASMSTART
	v_dot2_f32_f16 v8, v3, v7, v8
	;;#ASMEND
	ds_read_b128 v[0:3], v80 offset:16
	ds_read_b128 v[4:7], v80 offset:4624
	;; [unrolled: 1-line block ×10, first 2 shown]
	s_waitcnt lgkmcnt(7)
	;;#ASMSTART
	v_dot2_f32_f16 v111, v0, v120, v111
	;;#ASMEND
	s_nop 0
	;;#ASMSTART
	v_dot2_f32_f16 v111, v1, v121, v111
	;;#ASMEND
	s_nop 0
	;;#ASMSTART
	v_dot2_f32_f16 v111, v2, v122, v111
	;;#ASMEND
	s_nop 0
	;;#ASMSTART
	v_dot2_f32_f16 v111, v3, v123, v111
	;;#ASMEND
	s_waitcnt lgkmcnt(6)
	;;#ASMSTART
	v_dot2_f32_f16 v116, v0, v124, v116
	;;#ASMEND
	s_nop 0
	;;#ASMSTART
	v_dot2_f32_f16 v116, v1, v125, v116
	;;#ASMEND
	s_nop 0
	;;#ASMSTART
	v_dot2_f32_f16 v116, v2, v126, v116
	;;#ASMEND
	s_nop 0
	;;#ASMSTART
	v_dot2_f32_f16 v116, v3, v127, v116
	;;#ASMEND
	;; [unrolled: 16-line block ×8, first 2 shown]
	;;#ASMSTART
	v_dot2_f32_f16 v36, v4, v120, v36
	;;#ASMEND
	s_nop 0
	;;#ASMSTART
	v_dot2_f32_f16 v36, v5, v121, v36
	;;#ASMEND
	s_nop 0
	;;#ASMSTART
	v_dot2_f32_f16 v36, v6, v122, v36
	;;#ASMEND
	s_nop 0
	;;#ASMSTART
	v_dot2_f32_f16 v36, v7, v123, v36
	;;#ASMEND
	;;#ASMSTART
	v_dot2_f32_f16 v32, v4, v124, v32
	;;#ASMEND
	s_nop 0
	;;#ASMSTART
	v_dot2_f32_f16 v32, v5, v125, v32
	;;#ASMEND
	s_nop 0
	;;#ASMSTART
	v_dot2_f32_f16 v32, v6, v126, v32
	;;#ASMEND
	s_nop 0
	;;#ASMSTART
	v_dot2_f32_f16 v32, v7, v127, v32
	;;#ASMEND
	;; [unrolled: 15-line block ×8, first 2 shown]
	ds_read_b128 v[0:3], v80 offset:32
	ds_read_b128 v[4:7], v80 offset:4640
	;; [unrolled: 1-line block ×10, first 2 shown]
	s_waitcnt lgkmcnt(7)
	;;#ASMSTART
	v_dot2_f32_f16 v111, v0, v120, v111
	;;#ASMEND
	s_nop 0
	;;#ASMSTART
	v_dot2_f32_f16 v111, v1, v121, v111
	;;#ASMEND
	s_nop 0
	;;#ASMSTART
	v_dot2_f32_f16 v111, v2, v122, v111
	;;#ASMEND
	s_nop 0
	;;#ASMSTART
	v_dot2_f32_f16 v111, v3, v123, v111
	;;#ASMEND
	s_waitcnt lgkmcnt(6)
	;;#ASMSTART
	v_dot2_f32_f16 v116, v0, v124, v116
	;;#ASMEND
	s_nop 0
	;;#ASMSTART
	v_dot2_f32_f16 v116, v1, v125, v116
	;;#ASMEND
	s_nop 0
	;;#ASMSTART
	v_dot2_f32_f16 v116, v2, v126, v116
	;;#ASMEND
	s_nop 0
	;;#ASMSTART
	v_dot2_f32_f16 v116, v3, v127, v116
	;;#ASMEND
	;; [unrolled: 16-line block ×8, first 2 shown]
	;;#ASMSTART
	v_dot2_f32_f16 v36, v4, v120, v36
	;;#ASMEND
	s_nop 0
	;;#ASMSTART
	v_dot2_f32_f16 v36, v5, v121, v36
	;;#ASMEND
	s_nop 0
	;;#ASMSTART
	v_dot2_f32_f16 v36, v6, v122, v36
	;;#ASMEND
	s_nop 0
	;;#ASMSTART
	v_dot2_f32_f16 v36, v7, v123, v36
	;;#ASMEND
	;;#ASMSTART
	v_dot2_f32_f16 v32, v4, v124, v32
	;;#ASMEND
	s_nop 0
	;;#ASMSTART
	v_dot2_f32_f16 v32, v5, v125, v32
	;;#ASMEND
	s_nop 0
	;;#ASMSTART
	v_dot2_f32_f16 v32, v6, v126, v32
	;;#ASMEND
	s_nop 0
	;;#ASMSTART
	v_dot2_f32_f16 v32, v7, v127, v32
	;;#ASMEND
	;; [unrolled: 15-line block ×8, first 2 shown]
	ds_read_b128 v[0:3], v80 offset:48
	ds_read_b128 v[4:7], v80 offset:4656
	;; [unrolled: 1-line block ×10, first 2 shown]
	s_waitcnt lgkmcnt(7)
	;;#ASMSTART
	v_dot2_f32_f16 v111, v0, v120, v111
	;;#ASMEND
	s_nop 0
	;;#ASMSTART
	v_dot2_f32_f16 v111, v1, v121, v111
	;;#ASMEND
	s_nop 0
	;;#ASMSTART
	v_dot2_f32_f16 v111, v2, v122, v111
	;;#ASMEND
	s_nop 0
	;;#ASMSTART
	v_dot2_f32_f16 v111, v3, v123, v111
	;;#ASMEND
	s_waitcnt lgkmcnt(6)
	;;#ASMSTART
	v_dot2_f32_f16 v116, v0, v124, v116
	;;#ASMEND
	s_nop 0
	;;#ASMSTART
	v_dot2_f32_f16 v116, v1, v125, v116
	;;#ASMEND
	s_nop 0
	;;#ASMSTART
	v_dot2_f32_f16 v116, v2, v126, v116
	;;#ASMEND
	s_nop 0
	;;#ASMSTART
	v_dot2_f32_f16 v116, v3, v127, v116
	;;#ASMEND
	;; [unrolled: 16-line block ×8, first 2 shown]
	;;#ASMSTART
	v_dot2_f32_f16 v36, v4, v120, v36
	;;#ASMEND
	s_nop 0
	;;#ASMSTART
	v_dot2_f32_f16 v36, v5, v121, v36
	;;#ASMEND
	s_nop 0
	;;#ASMSTART
	v_dot2_f32_f16 v36, v6, v122, v36
	;;#ASMEND
	s_nop 0
	;;#ASMSTART
	v_dot2_f32_f16 v36, v7, v123, v36
	;;#ASMEND
	;;#ASMSTART
	v_dot2_f32_f16 v32, v4, v124, v32
	;;#ASMEND
	s_nop 0
	;;#ASMSTART
	v_dot2_f32_f16 v32, v5, v125, v32
	;;#ASMEND
	s_nop 0
	;;#ASMSTART
	v_dot2_f32_f16 v32, v6, v126, v32
	;;#ASMEND
	s_nop 0
	;;#ASMSTART
	v_dot2_f32_f16 v32, v7, v127, v32
	;;#ASMEND
	;; [unrolled: 15-line block ×8, first 2 shown]
	ds_read_b128 v[0:3], v80 offset:64
	ds_read_b128 v[4:7], v80 offset:4672
	;; [unrolled: 1-line block ×10, first 2 shown]
	s_waitcnt lgkmcnt(7)
	;;#ASMSTART
	v_dot2_f32_f16 v111, v0, v120, v111
	;;#ASMEND
	s_nop 0
	;;#ASMSTART
	v_dot2_f32_f16 v111, v1, v121, v111
	;;#ASMEND
	s_nop 0
	;;#ASMSTART
	v_dot2_f32_f16 v111, v2, v122, v111
	;;#ASMEND
	s_nop 0
	;;#ASMSTART
	v_dot2_f32_f16 v111, v3, v123, v111
	;;#ASMEND
	s_waitcnt lgkmcnt(6)
	;;#ASMSTART
	v_dot2_f32_f16 v116, v0, v124, v116
	;;#ASMEND
	s_nop 0
	;;#ASMSTART
	v_dot2_f32_f16 v116, v1, v125, v116
	;;#ASMEND
	s_nop 0
	;;#ASMSTART
	v_dot2_f32_f16 v116, v2, v126, v116
	;;#ASMEND
	s_nop 0
	;;#ASMSTART
	v_dot2_f32_f16 v116, v3, v127, v116
	;;#ASMEND
	;; [unrolled: 16-line block ×8, first 2 shown]
	;;#ASMSTART
	v_dot2_f32_f16 v36, v4, v120, v36
	;;#ASMEND
	s_nop 0
	;;#ASMSTART
	v_dot2_f32_f16 v36, v5, v121, v36
	;;#ASMEND
	s_nop 0
	;;#ASMSTART
	v_dot2_f32_f16 v36, v6, v122, v36
	;;#ASMEND
	s_nop 0
	;;#ASMSTART
	v_dot2_f32_f16 v36, v7, v123, v36
	;;#ASMEND
	;;#ASMSTART
	v_dot2_f32_f16 v32, v4, v124, v32
	;;#ASMEND
	s_nop 0
	;;#ASMSTART
	v_dot2_f32_f16 v32, v5, v125, v32
	;;#ASMEND
	s_nop 0
	;;#ASMSTART
	v_dot2_f32_f16 v32, v6, v126, v32
	;;#ASMEND
	s_nop 0
	;;#ASMSTART
	v_dot2_f32_f16 v32, v7, v127, v32
	;;#ASMEND
	;; [unrolled: 15-line block ×8, first 2 shown]
	ds_read_b128 v[0:3], v80 offset:80
	ds_read_b128 v[4:7], v80 offset:4688
	ds_read_b128 v[120:123], v79 offset:80
	ds_read_b128 v[124:127], v79 offset:208
	ds_read_b128 v[128:131], v79 offset:336
	ds_read_b128 v[132:135], v79 offset:464
	ds_read_b128 v[136:139], v79 offset:592
	ds_read_b128 v[140:143], v79 offset:720
	ds_read_b128 v[144:147], v79 offset:848
	ds_read_b128 v[148:151], v79 offset:976
	s_waitcnt lgkmcnt(7)
	;;#ASMSTART
	v_dot2_f32_f16 v111, v0, v120, v111
	;;#ASMEND
	s_nop 0
	;;#ASMSTART
	v_dot2_f32_f16 v111, v1, v121, v111
	;;#ASMEND
	s_nop 0
	;;#ASMSTART
	v_dot2_f32_f16 v111, v2, v122, v111
	;;#ASMEND
	s_nop 0
	;;#ASMSTART
	v_dot2_f32_f16 v111, v3, v123, v111
	;;#ASMEND
	s_waitcnt lgkmcnt(6)
	;;#ASMSTART
	v_dot2_f32_f16 v116, v0, v124, v116
	;;#ASMEND
	s_nop 0
	;;#ASMSTART
	v_dot2_f32_f16 v116, v1, v125, v116
	;;#ASMEND
	s_nop 0
	;;#ASMSTART
	v_dot2_f32_f16 v116, v2, v126, v116
	;;#ASMEND
	s_nop 0
	;;#ASMSTART
	v_dot2_f32_f16 v116, v3, v127, v116
	;;#ASMEND
	;; [unrolled: 16-line block ×8, first 2 shown]
	;;#ASMSTART
	v_dot2_f32_f16 v36, v4, v120, v36
	;;#ASMEND
	s_nop 0
	;;#ASMSTART
	v_dot2_f32_f16 v36, v5, v121, v36
	;;#ASMEND
	s_nop 0
	;;#ASMSTART
	v_dot2_f32_f16 v36, v6, v122, v36
	;;#ASMEND
	s_nop 0
	;;#ASMSTART
	v_dot2_f32_f16 v36, v7, v123, v36
	;;#ASMEND
	;;#ASMSTART
	v_dot2_f32_f16 v32, v4, v124, v32
	;;#ASMEND
	s_nop 0
	;;#ASMSTART
	v_dot2_f32_f16 v32, v5, v125, v32
	;;#ASMEND
	s_nop 0
	;;#ASMSTART
	v_dot2_f32_f16 v32, v6, v126, v32
	;;#ASMEND
	s_nop 0
	;;#ASMSTART
	v_dot2_f32_f16 v32, v7, v127, v32
	;;#ASMEND
	;; [unrolled: 15-line block ×8, first 2 shown]
	ds_read_b128 v[0:3], v80 offset:96
	ds_read_b128 v[4:7], v80 offset:4704
	;; [unrolled: 1-line block ×10, first 2 shown]
	s_waitcnt lgkmcnt(7)
	;;#ASMSTART
	v_dot2_f32_f16 v111, v0, v120, v111
	;;#ASMEND
	s_nop 0
	;;#ASMSTART
	v_dot2_f32_f16 v111, v1, v121, v111
	;;#ASMEND
	s_nop 0
	;;#ASMSTART
	v_dot2_f32_f16 v111, v2, v122, v111
	;;#ASMEND
	s_nop 0
	;;#ASMSTART
	v_dot2_f32_f16 v111, v3, v123, v111
	;;#ASMEND
	s_waitcnt lgkmcnt(6)
	;;#ASMSTART
	v_dot2_f32_f16 v116, v0, v124, v116
	;;#ASMEND
	s_nop 0
	;;#ASMSTART
	v_dot2_f32_f16 v116, v1, v125, v116
	;;#ASMEND
	s_nop 0
	;;#ASMSTART
	v_dot2_f32_f16 v116, v2, v126, v116
	;;#ASMEND
	s_nop 0
	;;#ASMSTART
	v_dot2_f32_f16 v116, v3, v127, v116
	;;#ASMEND
	s_waitcnt lgkmcnt(5)
	;;#ASMSTART
	v_dot2_f32_f16 v117, v0, v128, v117
	;;#ASMEND
	s_nop 0
	;;#ASMSTART
	v_dot2_f32_f16 v117, v1, v129, v117
	;;#ASMEND
	s_nop 0
	;;#ASMSTART
	v_dot2_f32_f16 v117, v2, v130, v117
	;;#ASMEND
	s_nop 0
	;;#ASMSTART
	v_dot2_f32_f16 v117, v3, v131, v117
	;;#ASMEND
	s_waitcnt lgkmcnt(4)
	;;#ASMSTART
	v_dot2_f32_f16 v118, v0, v132, v118
	;;#ASMEND
	s_nop 0
	;;#ASMSTART
	v_dot2_f32_f16 v118, v1, v133, v118
	;;#ASMEND
	s_nop 0
	;;#ASMSTART
	v_dot2_f32_f16 v118, v2, v134, v118
	;;#ASMEND
	s_nop 0
	;;#ASMSTART
	v_dot2_f32_f16 v118, v3, v135, v118
	;;#ASMEND
	s_waitcnt lgkmcnt(3)
	;;#ASMSTART
	v_dot2_f32_f16 v115, v0, v136, v115
	;;#ASMEND
	s_nop 0
	;;#ASMSTART
	v_dot2_f32_f16 v115, v1, v137, v115
	;;#ASMEND
	s_nop 0
	;;#ASMSTART
	v_dot2_f32_f16 v115, v2, v138, v115
	;;#ASMEND
	s_nop 0
	;;#ASMSTART
	v_dot2_f32_f16 v115, v3, v139, v115
	;;#ASMEND
	s_waitcnt lgkmcnt(2)
	;;#ASMSTART
	v_dot2_f32_f16 v113, v0, v140, v113
	;;#ASMEND
	s_nop 0
	;;#ASMSTART
	v_dot2_f32_f16 v113, v1, v141, v113
	;;#ASMEND
	s_nop 0
	;;#ASMSTART
	v_dot2_f32_f16 v113, v2, v142, v113
	;;#ASMEND
	s_nop 0
	;;#ASMSTART
	v_dot2_f32_f16 v113, v3, v143, v113
	;;#ASMEND
	s_waitcnt lgkmcnt(1)
	;;#ASMSTART
	v_dot2_f32_f16 v114, v0, v144, v114
	;;#ASMEND
	s_nop 0
	;;#ASMSTART
	v_dot2_f32_f16 v114, v1, v145, v114
	;;#ASMEND
	s_nop 0
	;;#ASMSTART
	v_dot2_f32_f16 v114, v2, v146, v114
	;;#ASMEND
	s_nop 0
	;;#ASMSTART
	v_dot2_f32_f16 v114, v3, v147, v114
	;;#ASMEND
	s_waitcnt lgkmcnt(0)
	;;#ASMSTART
	v_dot2_f32_f16 v112, v0, v148, v112
	;;#ASMEND
	s_nop 0
	;;#ASMSTART
	v_dot2_f32_f16 v112, v1, v149, v112
	;;#ASMEND
	s_nop 0
	;;#ASMSTART
	v_dot2_f32_f16 v112, v2, v150, v112
	;;#ASMEND
	s_nop 0
	;;#ASMSTART
	v_dot2_f32_f16 v112, v3, v151, v112
	;;#ASMEND
	;;#ASMSTART
	v_dot2_f32_f16 v36, v4, v120, v36
	;;#ASMEND
	s_nop 0
	;;#ASMSTART
	v_dot2_f32_f16 v36, v5, v121, v36
	;;#ASMEND
	s_nop 0
	;;#ASMSTART
	v_dot2_f32_f16 v36, v6, v122, v36
	;;#ASMEND
	s_nop 0
	;;#ASMSTART
	v_dot2_f32_f16 v36, v7, v123, v36
	;;#ASMEND
	;;#ASMSTART
	v_dot2_f32_f16 v32, v4, v124, v32
	;;#ASMEND
	s_nop 0
	;;#ASMSTART
	v_dot2_f32_f16 v32, v5, v125, v32
	;;#ASMEND
	s_nop 0
	;;#ASMSTART
	v_dot2_f32_f16 v32, v6, v126, v32
	;;#ASMEND
	s_nop 0
	;;#ASMSTART
	v_dot2_f32_f16 v32, v7, v127, v32
	;;#ASMEND
	;; [unrolled: 15-line block ×8, first 2 shown]
	ds_read_b128 v[0:3], v80 offset:112
	ds_read_b128 v[4:7], v80 offset:4720
	;; [unrolled: 1-line block ×10, first 2 shown]
	s_waitcnt lgkmcnt(7)
	;;#ASMSTART
	v_dot2_f32_f16 v111, v0, v120, v111
	;;#ASMEND
	s_nop 0
	;;#ASMSTART
	v_dot2_f32_f16 v111, v1, v121, v111
	;;#ASMEND
	s_nop 0
	;;#ASMSTART
	v_dot2_f32_f16 v111, v2, v122, v111
	;;#ASMEND
	s_nop 0
	;;#ASMSTART
	v_dot2_f32_f16 v111, v3, v123, v111
	;;#ASMEND
	s_waitcnt lgkmcnt(6)
	;;#ASMSTART
	v_dot2_f32_f16 v116, v0, v124, v116
	;;#ASMEND
	s_nop 0
	;;#ASMSTART
	v_dot2_f32_f16 v116, v1, v125, v116
	;;#ASMEND
	s_nop 0
	;;#ASMSTART
	v_dot2_f32_f16 v116, v2, v126, v116
	;;#ASMEND
	s_nop 0
	;;#ASMSTART
	v_dot2_f32_f16 v116, v3, v127, v116
	;;#ASMEND
	;; [unrolled: 16-line block ×7, first 2 shown]
	s_waitcnt lgkmcnt(0)
	;;#ASMSTART
	v_dot2_f32_f16 v112, v0, v148, v112
	;;#ASMEND
	v_cndmask_b32_e32 v0, v69, v74, vcc
	;;#ASMSTART
	v_dot2_f32_f16 v112, v1, v149, v112
	;;#ASMEND
	v_cmp_lt_i32_e32 vcc, v75, v70
	;;#ASMSTART
	v_dot2_f32_f16 v112, v2, v150, v112
	;;#ASMEND
	s_nop 0
	;;#ASMSTART
	v_dot2_f32_f16 v112, v3, v151, v112
	;;#ASMEND
	;;#ASMSTART
	v_dot2_f32_f16 v36, v4, v120, v36
	;;#ASMEND
	s_nop 0
	;;#ASMSTART
	v_dot2_f32_f16 v36, v5, v121, v36
	;;#ASMEND
	s_nop 0
	;;#ASMSTART
	v_dot2_f32_f16 v36, v6, v122, v36
	;;#ASMEND
	s_nop 0
	;;#ASMSTART
	v_dot2_f32_f16 v36, v7, v123, v36
	;;#ASMEND
	;;#ASMSTART
	v_dot2_f32_f16 v32, v4, v124, v32
	;;#ASMEND
	s_nop 0
	;;#ASMSTART
	v_dot2_f32_f16 v32, v5, v125, v32
	;;#ASMEND
	s_nop 0
	;; [unrolled: 15-line block ×7, first 2 shown]
	;;#ASMSTART
	v_dot2_f32_f16 v12, v6, v146, v12
	;;#ASMEND
	s_nop 0
	;;#ASMSTART
	v_dot2_f32_f16 v12, v7, v147, v12
	;;#ASMEND
	;;#ASMSTART
	v_dot2_f32_f16 v8, v4, v148, v8
	;;#ASMEND
	v_add_u32_e32 v4, s2, v67
	;;#ASMSTART
	v_dot2_f32_f16 v8, v5, v149, v8
	;;#ASMEND
	s_nop 0
	;;#ASMSTART
	v_dot2_f32_f16 v8, v6, v150, v8
	;;#ASMEND
	s_nop 0
	;;#ASMSTART
	v_dot2_f32_f16 v8, v7, v151, v8
	;;#ASMEND
	v_lshlrev_b32_e32 v7, 2, v0
	v_cndmask_b32_e32 v0, v69, v75, vcc
	v_cmp_lt_i32_e32 vcc, v73, v70
	v_lshlrev_b32_e32 v9, 2, v0
	s_nop 0
	v_cndmask_b32_e32 v0, v69, v73, vcc
	v_cmp_lt_i32_e32 vcc, v72, v70
	v_lshlrev_b32_e32 v10, 2, v0
	s_nop 0
	;; [unrolled: 4-line block ×3, first 2 shown]
	v_cndmask_b32_e32 v0, v69, v71, vcc
	v_lshlrev_b32_e32 v13, 2, v0
	v_add_u32_e32 v0, v4, v81
	v_ashrrev_i32_e32 v1, 31, v0
	v_lshl_add_u64 v[0:1], v[0:1], 1, s[34:35]
	global_load_ushort v2, v[0:1], off
	v_add_u32_e32 v4, v4, v82
	global_load_ushort v0, v[0:1], off offset:64
	s_waitcnt vmcnt(1)
	v_cvt_f32_f16_e32 v3, v2
	s_waitcnt vmcnt(0)
	v_cvt_f32_f16_e32 v5, v0
	v_add_f32_e32 v14, v111, v3
	v_add_f32_e32 v2, 0x40051340, v14
	;; [unrolled: 1-line block ×4, first 2 shown]
	v_max3_f32 v0, v110, v2, v0
	ds_bpermute_b32 v1, v7, v0
	v_add_f32_e32 v17, v116, v3
	v_add_f32_e32 v19, v32, v5
	;; [unrolled: 1-line block ×4, first 2 shown]
	s_waitcnt lgkmcnt(0)
	v_max_f32_e32 v1, v1, v1
	v_max_f32_e32 v0, v0, v1
	ds_bpermute_b32 v1, v9, v0
	v_add_f32_e32 v24, v24, v5
	v_add_f32_e32 v21, v117, v3
	;; [unrolled: 1-line block ×4, first 2 shown]
	s_waitcnt lgkmcnt(0)
	v_max_f32_e32 v1, v1, v1
	v_max_f32_e32 v0, v0, v1
	ds_bpermute_b32 v1, v10, v0
	v_add_f32_e32 v5, 0x40051340, v24
	v_max3_f32 v3, v107, v3, v5
	v_add_f32_e32 v6, 0x40051340, v22
	ds_bpermute_b32 v5, v7, v3
	s_waitcnt lgkmcnt(1)
	v_max_f32_e32 v1, v1, v1
	v_max_f32_e32 v0, v0, v1
	ds_bpermute_b32 v1, v11, v0
	s_waitcnt lgkmcnt(1)
	v_max_f32_e32 v5, v5, v5
	v_max_f32_e32 v3, v3, v5
	;; [unrolled: 4-line block ×5, first 2 shown]
	v_add_f32_e32 v1, 0x40051340, v17
	v_max3_f32 v1, v109, v1, v2
	ds_bpermute_b32 v2, v7, v1
	s_waitcnt lgkmcnt(1)
	v_max_f32_e32 v5, v5, v5
	v_max_f32_e32 v3, v3, v5
	ds_bpermute_b32 v5, v11, v3
	s_waitcnt lgkmcnt(1)
	v_max_f32_e32 v2, v2, v2
	v_max_f32_e32 v1, v1, v2
	;; [unrolled: 4-line block ×5, first 2 shown]
	v_ashrrev_i32_e32 v5, 31, v4
	v_lshl_add_u64 v[4:5], v[4:5], 1, s[34:35]
	s_waitcnt lgkmcnt(0)
	v_max_f32_e32 v2, v2, v2
	v_max_f32_e32 v1, v1, v2
	ds_bpermute_b32 v2, v11, v1
	s_waitcnt lgkmcnt(0)
	v_max_f32_e32 v2, v2, v2
	v_max_f32_e32 v1, v1, v2
	ds_bpermute_b32 v2, v13, v1
	s_waitcnt lgkmcnt(0)
	v_max_f32_e32 v2, v2, v2
	v_max_f32_e32 v1, v1, v2
	v_add_f32_e32 v2, 0x40051340, v21
	v_max3_f32 v2, v108, v2, v6
	ds_bpermute_b32 v6, v7, v2
	s_waitcnt lgkmcnt(0)
	v_max_f32_e32 v6, v6, v6
	v_max_f32_e32 v2, v2, v6
	ds_bpermute_b32 v6, v9, v2
	s_waitcnt lgkmcnt(0)
	v_max_f32_e32 v6, v6, v6
	v_max_f32_e32 v2, v2, v6
	;; [unrolled: 4-line block ×5, first 2 shown]
	global_load_ushort v6, v[4:5], off
	s_waitcnt vmcnt(0)
	v_cvt_f32_f16_e32 v18, v6
	global_load_ushort v4, v[4:5], off offset:64
	s_barrier
	v_add_f32_e32 v25, v115, v18
	v_add_f32_e32 v6, 0x40051340, v25
	;; [unrolled: 1-line block ×5, first 2 shown]
	s_waitcnt vmcnt(0)
	v_cvt_f32_f16_e32 v26, v4
	v_add_f32_e32 v28, v20, v26
	v_add_f32_e32 v4, 0x40051340, v28
	v_max3_f32 v4, v106, v6, v4
	ds_bpermute_b32 v5, v7, v4
	v_add_f32_e32 v33, v16, v26
	v_add_f32_e32 v6, 0x40051340, v33
	;; [unrolled: 1-line block ×4, first 2 shown]
	s_waitcnt lgkmcnt(0)
	v_max_f32_e32 v5, v5, v5
	v_max_f32_e32 v4, v4, v5
	ds_bpermute_b32 v5, v9, v4
	v_add_f32_e32 v39, v8, v26
	v_add_f32_e32 v8, 0x40051340, v39
	s_waitcnt lgkmcnt(0)
	v_max_f32_e32 v5, v5, v5
	v_max_f32_e32 v4, v4, v5
	ds_bpermute_b32 v5, v10, v4
	s_waitcnt lgkmcnt(0)
	v_max_f32_e32 v5, v5, v5
	v_max_f32_e32 v4, v4, v5
	ds_bpermute_b32 v5, v11, v4
	s_waitcnt lgkmcnt(0)
	v_max_f32_e32 v5, v5, v5
	v_max_f32_e32 v4, v4, v5
	ds_bpermute_b32 v5, v13, v4
	s_waitcnt lgkmcnt(0)
	v_max_f32_e32 v5, v5, v5
	v_max_f32_e32 v4, v4, v5
	v_add_f32_e32 v5, 0x40051340, v29
	v_max3_f32 v5, v105, v5, v6
	ds_bpermute_b32 v6, v7, v5
	s_waitcnt lgkmcnt(0)
	v_max_f32_e32 v6, v6, v6
	v_max_f32_e32 v5, v5, v6
	ds_bpermute_b32 v6, v9, v5
	s_waitcnt lgkmcnt(0)
	v_max_f32_e32 v6, v6, v6
	v_max_f32_e32 v5, v5, v6
	ds_bpermute_b32 v6, v10, v5
	s_waitcnt lgkmcnt(0)
	v_max_f32_e32 v6, v6, v6
	v_max_f32_e32 v5, v5, v6
	ds_bpermute_b32 v6, v11, v5
	s_waitcnt lgkmcnt(0)
	v_max_f32_e32 v6, v6, v6
	v_max_f32_e32 v5, v5, v6
	ds_bpermute_b32 v6, v13, v5
	s_waitcnt lgkmcnt(0)
	v_max_f32_e32 v6, v6, v6
	v_max_f32_e32 v5, v5, v6
	v_add_f32_e32 v6, 0x40051340, v34
	v_max3_f32 v6, v104, v6, v12
	ds_bpermute_b32 v12, v7, v6
	s_waitcnt lgkmcnt(0)
	v_max_f32_e32 v12, v12, v12
	v_max_f32_e32 v6, v6, v12
	ds_bpermute_b32 v12, v9, v6
	;; [unrolled: 22-line block ×3, first 2 shown]
	v_sub_f32_e32 v9, v110, v0
	s_waitcnt lgkmcnt(0)
	v_max_f32_e32 v8, v8, v8
	v_max_f32_e32 v7, v7, v8
	ds_bpermute_b32 v8, v10, v7
	s_waitcnt lgkmcnt(0)
	v_max_f32_e32 v8, v8, v8
	v_max_f32_e32 v7, v7, v8
	ds_bpermute_b32 v8, v11, v7
	;; [unrolled: 4-line block ×3, first 2 shown]
	s_waitcnt lgkmcnt(0)
	v_max_f32_e32 v8, v8, v8
	v_max_f32_e32 v7, v7, v8
	v_sub_f32_e32 v8, v14, v0
	v_mul_f32_e32 v10, 0x3fb8aa3b, v8
	v_fma_f32 v11, v8, s20, -v10
	v_rndne_f32_e32 v12, v10
	v_fmac_f32_e32 v11, 0x32a5705f, v8
	v_sub_f32_e32 v10, v10, v12
	v_add_f32_e32 v10, v10, v11
	v_exp_f32_e32 v10, v10
	v_cvt_i32_f32_e32 v11, v12
	v_cmp_ngt_f32_e32 vcc, s21, v8
	v_ldexp_f32 v10, v10, v11
	s_nop 0
	v_cndmask_b32_e32 v10, 0, v10, vcc
	v_cmp_nlt_f32_e32 vcc, s24, v8
	s_nop 1
	v_cndmask_b32_e32 v8, v86, v10, vcc
	v_sub_f32_e32 v10, v15, v0
	v_mul_f32_e32 v11, 0x3fb8aa3b, v10
	v_fma_f32 v12, v10, s20, -v11
	v_rndne_f32_e32 v13, v11
	v_fmac_f32_e32 v12, 0x32a5705f, v10
	v_sub_f32_e32 v11, v11, v13
	v_add_f32_e32 v11, v11, v12
	v_exp_f32_e32 v11, v11
	v_cvt_i32_f32_e32 v12, v13
	v_cmp_ngt_f32_e32 vcc, s21, v10
	v_ldexp_f32 v11, v11, v12
	s_nop 0
	v_cndmask_b32_e32 v11, 0, v11, vcc
	v_cmp_nlt_f32_e32 vcc, s24, v10
	s_nop 1
	v_cndmask_b32_e32 v10, v86, v11, vcc
	v_mul_f32_e32 v11, 0x3fb8aa3b, v9
	v_fma_f32 v12, v9, s20, -v11
	v_rndne_f32_e32 v13, v11
	v_fmac_f32_e32 v12, 0x32a5705f, v9
	v_sub_f32_e32 v11, v11, v13
	v_add_f32_e32 v11, v11, v12
	v_exp_f32_e32 v11, v11
	v_cvt_i32_f32_e32 v12, v13
	v_cmp_ngt_f32_e32 vcc, s21, v9
	v_sub_f32_e32 v13, v109, v1
	v_ldexp_f32 v11, v11, v12
	v_cndmask_b32_e32 v11, 0, v11, vcc
	v_cmp_nlt_f32_e32 vcc, s24, v9
	s_nop 1
	v_cndmask_b32_e32 v12, v86, v11, vcc
	v_cvt_f16_f32_e32 v9, v12
	v_mul_u32_u24_e32 v9, 0x10001, v9
	v_pk_mul_f16 v18, v102, v9
	v_sub_f32_e32 v9, v17, v1
	v_mul_f32_e32 v11, 0x3fb8aa3b, v9
	v_fma_f32 v14, v9, s20, -v11
	v_rndne_f32_e32 v15, v11
	v_fmac_f32_e32 v14, 0x32a5705f, v9
	v_sub_f32_e32 v11, v11, v15
	v_add_f32_e32 v11, v11, v14
	v_exp_f32_e32 v11, v11
	v_cvt_i32_f32_e32 v14, v15
	v_cmp_ngt_f32_e32 vcc, s21, v9
	v_ldexp_f32 v11, v11, v14
	s_nop 0
	v_cndmask_b32_e32 v11, 0, v11, vcc
	v_cmp_nlt_f32_e32 vcc, s24, v9
	s_nop 1
	v_cndmask_b32_e32 v9, v86, v11, vcc
	v_sub_f32_e32 v11, v19, v1
	v_mul_f32_e32 v14, 0x3fb8aa3b, v11
	v_fma_f32 v15, v11, s20, -v14
	v_rndne_f32_e32 v16, v14
	v_fmac_f32_e32 v15, 0x32a5705f, v11
	v_sub_f32_e32 v14, v14, v16
	v_add_f32_e32 v14, v14, v15
	v_exp_f32_e32 v14, v14
	v_cvt_i32_f32_e32 v15, v16
	v_cmp_ngt_f32_e32 vcc, s21, v11
	v_ldexp_f32 v14, v14, v15
	s_nop 0
	v_cndmask_b32_e32 v14, 0, v14, vcc
	v_cmp_nlt_f32_e32 vcc, s24, v11
	s_nop 1
	v_cndmask_b32_e32 v11, v86, v14, vcc
	v_mul_f32_e32 v14, 0x3fb8aa3b, v13
	v_fma_f32 v15, v13, s20, -v14
	v_rndne_f32_e32 v16, v14
	v_fmac_f32_e32 v15, 0x32a5705f, v13
	v_sub_f32_e32 v14, v14, v16
	v_add_f32_e32 v14, v14, v15
	v_exp_f32_e32 v14, v14
	v_cvt_i32_f32_e32 v15, v16
	v_cmp_ngt_f32_e32 vcc, s21, v13
	v_ldexp_f32 v14, v14, v15
	s_nop 0
	v_cndmask_b32_e32 v14, 0, v14, vcc
	v_cmp_nlt_f32_e32 vcc, s24, v13
	v_sub_f32_e32 v15, v108, v2
	s_nop 0
	v_cndmask_b32_e32 v13, v86, v14, vcc
	v_cvt_f16_f32_e32 v14, v13
	v_mul_u32_u24_e32 v14, 0x10001, v14
	v_pk_mul_f16 v19, v101, v14
	v_sub_f32_e32 v14, v21, v2
	v_mul_f32_e32 v16, 0x3fb8aa3b, v14
	v_fma_f32 v17, v14, s20, -v16
	v_rndne_f32_e32 v20, v16
	v_fmac_f32_e32 v17, 0x32a5705f, v14
	v_sub_f32_e32 v16, v16, v20
	v_add_f32_e32 v16, v16, v17
	v_exp_f32_e32 v16, v16
	v_cvt_i32_f32_e32 v17, v20
	v_cmp_ngt_f32_e32 vcc, s21, v14
	v_ldexp_f32 v16, v16, v17
	s_nop 0
	v_cndmask_b32_e32 v16, 0, v16, vcc
	v_cmp_nlt_f32_e32 vcc, s24, v14
	s_nop 1
	v_cndmask_b32_e32 v14, v86, v16, vcc
	v_sub_f32_e32 v16, v22, v2
	v_mul_f32_e32 v17, 0x3fb8aa3b, v16
	v_fma_f32 v20, v16, s20, -v17
	v_rndne_f32_e32 v21, v17
	v_fmac_f32_e32 v20, 0x32a5705f, v16
	v_sub_f32_e32 v17, v17, v21
	v_add_f32_e32 v17, v17, v20
	v_exp_f32_e32 v17, v17
	v_cvt_i32_f32_e32 v20, v21
	v_cmp_ngt_f32_e32 vcc, s21, v16
	v_ldexp_f32 v17, v17, v20
	s_nop 0
	v_cndmask_b32_e32 v17, 0, v17, vcc
	v_cmp_nlt_f32_e32 vcc, s24, v16
	s_nop 1
	v_cndmask_b32_e32 v16, v86, v17, vcc
	v_mul_f32_e32 v17, 0x3fb8aa3b, v15
	v_fma_f32 v20, v15, s20, -v17
	v_rndne_f32_e32 v21, v17
	v_fmac_f32_e32 v20, 0x32a5705f, v15
	v_sub_f32_e32 v17, v17, v21
	v_add_f32_e32 v17, v17, v20
	v_exp_f32_e32 v17, v17
	v_cvt_i32_f32_e32 v20, v21
	v_cmp_ngt_f32_e32 vcc, s21, v15
	v_sub_f32_e32 v21, v107, v3
	v_ldexp_f32 v17, v17, v20
	v_cndmask_b32_e32 v17, 0, v17, vcc
	v_cmp_nlt_f32_e32 vcc, s24, v15
	s_nop 1
	v_cndmask_b32_e32 v26, v86, v17, vcc
	v_cvt_f16_f32_e32 v15, v26
	v_mul_u32_u24_e32 v15, 0x10001, v15
	v_pk_mul_f16 v20, v100, v15
	v_sub_f32_e32 v15, v23, v3
	v_mul_f32_e32 v17, 0x3fb8aa3b, v15
	v_fma_f32 v22, v15, s20, -v17
	v_rndne_f32_e32 v23, v17
	v_fmac_f32_e32 v22, 0x32a5705f, v15
	v_sub_f32_e32 v17, v17, v23
	v_add_f32_e32 v17, v17, v22
	v_exp_f32_e32 v17, v17
	v_cvt_i32_f32_e32 v22, v23
	v_cmp_ngt_f32_e32 vcc, s21, v15
	v_ldexp_f32 v17, v17, v22
	s_nop 0
	v_cndmask_b32_e32 v17, 0, v17, vcc
	v_cmp_nlt_f32_e32 vcc, s24, v15
	s_nop 1
	v_cndmask_b32_e32 v15, v86, v17, vcc
	v_sub_f32_e32 v17, v24, v3
	v_mul_f32_e32 v22, 0x3fb8aa3b, v17
	v_fma_f32 v23, v17, s20, -v22
	v_rndne_f32_e32 v24, v22
	v_fmac_f32_e32 v23, 0x32a5705f, v17
	v_sub_f32_e32 v22, v22, v24
	v_add_f32_e32 v22, v22, v23
	v_exp_f32_e32 v22, v22
	v_cvt_i32_f32_e32 v23, v24
	v_cmp_ngt_f32_e32 vcc, s21, v17
	v_ldexp_f32 v22, v22, v23
	s_nop 0
	v_cndmask_b32_e32 v22, 0, v22, vcc
	v_cmp_nlt_f32_e32 vcc, s24, v17
	s_nop 1
	v_cndmask_b32_e32 v17, v86, v22, vcc
	v_mul_f32_e32 v22, 0x3fb8aa3b, v21
	v_fma_f32 v23, v21, s20, -v22
	v_rndne_f32_e32 v24, v22
	v_fmac_f32_e32 v23, 0x32a5705f, v21
	v_sub_f32_e32 v22, v22, v24
	v_add_f32_e32 v22, v22, v23
	v_exp_f32_e32 v22, v22
	v_cvt_i32_f32_e32 v23, v24
	v_cmp_ngt_f32_e32 vcc, s21, v21
	v_ldexp_f32 v22, v22, v23
	v_sub_f32_e32 v23, v25, v4
	v_mul_f32_e32 v24, 0x3fb8aa3b, v23
	v_fma_f32 v25, v23, s20, -v24
	v_rndne_f32_e32 v30, v24
	v_fmac_f32_e32 v25, 0x32a5705f, v23
	v_sub_f32_e32 v24, v24, v30
	v_add_f32_e32 v24, v24, v25
	v_exp_f32_e32 v24, v24
	v_cvt_i32_f32_e32 v25, v30
	v_cndmask_b32_e32 v22, 0, v22, vcc
	v_cmp_nlt_f32_e32 vcc, s24, v21
	v_ldexp_f32 v24, v24, v25
	s_nop 0
	v_cndmask_b32_e32 v27, v86, v22, vcc
	v_cmp_ngt_f32_e32 vcc, s21, v23
	v_sub_f32_e32 v22, v106, v4
	v_cvt_f16_f32_e32 v21, v27
	v_cndmask_b32_e32 v24, 0, v24, vcc
	v_cmp_nlt_f32_e32 vcc, s24, v23
	v_sub_f32_e32 v23, v28, v4
	v_mul_u32_u24_e32 v21, 0x10001, v21
	v_cndmask_b32_e32 v30, v86, v24, vcc
	v_mul_f32_e32 v24, 0x3fb8aa3b, v23
	v_fma_f32 v25, v23, s20, -v24
	v_rndne_f32_e32 v28, v24
	v_fmac_f32_e32 v25, 0x32a5705f, v23
	v_sub_f32_e32 v24, v24, v28
	v_add_f32_e32 v24, v24, v25
	v_exp_f32_e32 v24, v24
	v_cvt_i32_f32_e32 v25, v28
	v_cmp_ngt_f32_e32 vcc, s21, v23
	v_pk_mul_f16 v21, v99, v21
	v_ldexp_f32 v24, v24, v25
	v_cndmask_b32_e32 v24, 0, v24, vcc
	v_cmp_nlt_f32_e32 vcc, s24, v23
	v_mul_f32_e32 v23, 0x3fb8aa3b, v22
	v_rndne_f32_e32 v25, v23
	v_cndmask_b32_e32 v32, v86, v24, vcc
	v_fma_f32 v24, v22, s20, -v23
	v_fmac_f32_e32 v24, 0x32a5705f, v22
	v_sub_f32_e32 v23, v23, v25
	v_add_f32_e32 v23, v23, v24
	v_exp_f32_e32 v23, v23
	v_cvt_i32_f32_e32 v24, v25
	v_cmp_ngt_f32_e32 vcc, s21, v22
	v_ldexp_f32 v23, v23, v24
	v_sub_f32_e32 v24, v29, v5
	v_mul_f32_e32 v25, 0x3fb8aa3b, v24
	v_fma_f32 v29, v24, s20, -v25
	v_rndne_f32_e32 v31, v25
	v_fmac_f32_e32 v29, 0x32a5705f, v24
	v_sub_f32_e32 v25, v25, v31
	v_add_f32_e32 v25, v25, v29
	v_exp_f32_e32 v25, v25
	v_cvt_i32_f32_e32 v29, v31
	v_cndmask_b32_e32 v23, 0, v23, vcc
	v_cmp_nlt_f32_e32 vcc, s24, v22
	v_ldexp_f32 v25, v25, v29
	s_nop 0
	v_cndmask_b32_e32 v28, v86, v23, vcc
	v_cmp_ngt_f32_e32 vcc, s21, v24
	v_sub_f32_e32 v23, v105, v5
	v_cvt_f16_f32_e32 v22, v28
	v_cndmask_b32_e32 v25, 0, v25, vcc
	v_cmp_nlt_f32_e32 vcc, s24, v24
	v_sub_f32_e32 v24, v33, v5
	v_mul_u32_u24_e32 v22, 0x10001, v22
	v_cndmask_b32_e32 v31, v86, v25, vcc
	v_mul_f32_e32 v25, 0x3fb8aa3b, v24
	v_fma_f32 v29, v24, s20, -v25
	v_rndne_f32_e32 v33, v25
	v_fmac_f32_e32 v29, 0x32a5705f, v24
	v_sub_f32_e32 v25, v25, v33
	v_add_f32_e32 v25, v25, v29
	v_exp_f32_e32 v25, v25
	v_cvt_i32_f32_e32 v29, v33
	v_cmp_ngt_f32_e32 vcc, s21, v24
	v_pk_mul_f16 v22, v98, v22
	v_pk_add_f32 v[98:99], v[14:15], v[16:17]
	v_ldexp_f32 v25, v25, v29
	v_cndmask_b32_e32 v25, 0, v25, vcc
	v_cmp_nlt_f32_e32 vcc, s24, v24
	v_mul_f32_e32 v24, 0x3fb8aa3b, v23
	v_rndne_f32_e32 v29, v24
	v_cndmask_b32_e32 v33, v86, v25, vcc
	v_fma_f32 v25, v23, s20, -v24
	v_fmac_f32_e32 v25, 0x32a5705f, v23
	v_sub_f32_e32 v24, v24, v29
	v_add_f32_e32 v24, v24, v25
	v_exp_f32_e32 v24, v24
	v_cvt_i32_f32_e32 v25, v29
	v_cmp_ngt_f32_e32 vcc, s21, v23
	v_pk_add_f32 v[100:101], v[30:31], v[32:33]
	v_pk_fma_f32 v[44:45], v[44:45], v[26:27], v[98:99]
	v_ldexp_f32 v24, v24, v25
	v_sub_f32_e32 v25, v34, v6
	v_mul_f32_e32 v34, 0x3fb8aa3b, v25
	v_fma_f32 v36, v25, s20, -v34
	v_rndne_f32_e32 v38, v34
	v_fmac_f32_e32 v36, 0x32a5705f, v25
	v_sub_f32_e32 v34, v34, v38
	v_add_f32_e32 v34, v34, v36
	v_exp_f32_e32 v34, v34
	v_cvt_i32_f32_e32 v36, v38
	v_cndmask_b32_e32 v24, 0, v24, vcc
	v_cmp_nlt_f32_e32 vcc, s24, v23
	v_cvt_pk_f16_f32 v27, v14, v15
	v_ldexp_f32 v34, v34, v36
	v_cndmask_b32_e32 v29, v86, v24, vcc
	v_cmp_ngt_f32_e32 vcc, s21, v25
	v_sub_f32_e32 v24, v104, v6
	v_cvt_f16_f32_e32 v23, v29
	v_cndmask_b32_e32 v34, 0, v34, vcc
	v_cmp_nlt_f32_e32 vcc, s24, v25
	v_sub_f32_e32 v25, v35, v6
	v_mul_f32_e32 v35, 0x3fb8aa3b, v25
	v_fma_f32 v36, v25, s20, -v35
	v_rndne_f32_e32 v38, v35
	v_fmac_f32_e32 v36, 0x32a5705f, v25
	v_sub_f32_e32 v35, v35, v38
	v_add_f32_e32 v35, v35, v36
	v_exp_f32_e32 v35, v35
	v_cvt_i32_f32_e32 v36, v38
	v_cndmask_b32_e32 v34, v86, v34, vcc
	v_cmp_ngt_f32_e32 vcc, s21, v25
	v_mul_u32_u24_e32 v23, 0x10001, v23
	v_ldexp_f32 v35, v35, v36
	v_cndmask_b32_e32 v35, 0, v35, vcc
	v_cmp_nlt_f32_e32 vcc, s24, v25
	v_mul_f32_e32 v25, 0x3fb8aa3b, v24
	v_rndne_f32_e32 v38, v25
	v_cndmask_b32_e32 v36, v86, v35, vcc
	v_fma_f32 v35, v24, s20, -v25
	v_fmac_f32_e32 v35, 0x32a5705f, v24
	v_sub_f32_e32 v25, v25, v38
	v_add_f32_e32 v25, v25, v35
	v_exp_f32_e32 v25, v25
	v_cvt_i32_f32_e32 v35, v38
	v_cmp_ngt_f32_e32 vcc, s21, v24
	v_pk_mul_f16 v23, v97, v23
	v_pk_fma_f32 v[42:43], v[42:43], v[28:29], v[100:101]
	v_ldexp_f32 v25, v25, v35
	v_cndmask_b32_e32 v25, 0, v25, vcc
	v_cmp_nlt_f32_e32 vcc, s24, v24
	v_sub_f32_e32 v35, v37, v7
	v_mul_f32_e32 v37, 0x3fb8aa3b, v35
	v_cndmask_b32_e32 v38, v86, v25, vcc
	v_cvt_f16_f32_e32 v24, v38
	v_rndne_f32_e32 v97, v37
	v_cmp_ngt_f32_e32 vcc, s21, v35
	v_sub_f32_e32 v25, v103, v7
	v_mul_u32_u24_e32 v24, 0x10001, v24
	v_pk_mul_f16 v24, v96, v24
	v_fma_f32 v96, v35, s20, -v37
	v_fmac_f32_e32 v96, 0x32a5705f, v35
	v_sub_f32_e32 v37, v37, v97
	v_add_f32_e32 v37, v37, v96
	v_exp_f32_e32 v37, v37
	v_cvt_i32_f32_e32 v96, v97
	v_cvt_pk_f16_f32 v28, v30, v31
	v_cvt_pk_f16_f32 v26, v8, v9
	v_ldexp_f32 v37, v37, v96
	v_cndmask_b32_e32 v37, 0, v37, vcc
	v_cmp_nlt_f32_e32 vcc, s24, v35
	s_nop 1
	v_cndmask_b32_e32 v35, v86, v37, vcc
	v_sub_f32_e32 v37, v39, v7
	v_mul_f32_e32 v39, 0x3fb8aa3b, v37
	v_fma_f32 v96, v37, s20, -v39
	v_rndne_f32_e32 v97, v39
	v_fmac_f32_e32 v96, 0x32a5705f, v37
	v_sub_f32_e32 v39, v39, v97
	v_add_f32_e32 v39, v39, v96
	v_exp_f32_e32 v39, v39
	v_cvt_i32_f32_e32 v96, v97
	v_cmp_ngt_f32_e32 vcc, s21, v37
	v_cvt_pk_f16_f32 v29, v34, v35
	ds_write_b128 v87, v[26:29]
	v_ldexp_f32 v39, v39, v96
	v_cndmask_b32_e32 v39, 0, v39, vcc
	v_cmp_nlt_f32_e32 vcc, s24, v37
	v_cvt_pk_f16_f32 v26, v10, v11
	v_cvt_pk_f16_f32 v27, v16, v17
	v_cndmask_b32_e32 v37, v86, v39, vcc
	v_mul_f32_e32 v39, 0x3fb8aa3b, v25
	v_fma_f32 v96, v25, s20, -v39
	v_rndne_f32_e32 v97, v39
	v_fmac_f32_e32 v96, 0x32a5705f, v25
	v_sub_f32_e32 v39, v39, v97
	v_add_f32_e32 v39, v39, v96
	v_exp_f32_e32 v39, v39
	v_cvt_i32_f32_e32 v96, v97
	v_cmp_ngt_f32_e32 vcc, s21, v25
	v_cvt_pk_f16_f32 v29, v36, v37
	v_cvt_pk_f16_f32 v28, v32, v33
	v_ldexp_f32 v39, v39, v96
	v_pk_add_f32 v[96:97], v[8:9], v[10:11]
	v_lshl_add_u64 v[8:9], v[54:55], 2, s[6:7]
	v_lshl_add_u64 v[10:11], v[8:9], 0, v[48:49]
	;; [unrolled: 1-line block ×4, first 2 shown]
	global_load_dwordx4 v[14:17], v[10:11], off
	v_cndmask_b32_e32 v39, 0, v39, vcc
	global_load_dwordx4 v[8:11], v[8:9], off
	v_cmp_nlt_f32_e32 vcc, s24, v25
	v_pk_fma_f32 v[46:47], v[46:47], v[12:13], v[96:97]
	v_pk_add_f32 v[102:103], v[34:35], v[36:37]
	v_cndmask_b32_e32 v39, v86, v39, vcc
	v_cvt_f16_f32_e32 v12, v39
	ds_write_b128 v87, v[26:29] offset:512
	v_pk_fma_f32 v[40:41], v[40:41], v[38:39], v[102:103]
	v_mul_u32_u24_e32 v12, 0x10001, v12
	v_pk_mul_f16 v12, v95, v12
	s_waitcnt vmcnt(1)
	ds_write_b128 v84, v[14:17]
	s_waitcnt vmcnt(0)
	ds_write_b128 v85, v[8:11]
	s_waitcnt lgkmcnt(0)
	s_barrier
	ds_read2_b32 v[34:35], v76 offset1:32
	ds_read_b128 v[8:11], v83
	ds_read_b128 v[14:17], v83 offset:16
	ds_read_b128 v[26:29], v83 offset:32
	ds_read_b128 v[30:33], v83 offset:48
	s_waitcnt lgkmcnt(3)
	v_mul_u32_u24_sdwa v13, v8, s25 dst_sel:DWORD dst_unused:UNUSED_PAD src0_sel:WORD_0 src1_sel:DWORD
	v_mul_u32_u24_sdwa v8, v8, s25 dst_sel:DWORD dst_unused:UNUSED_PAD src0_sel:WORD_1 src1_sel:DWORD
	v_mul_u32_u24_sdwa v25, v9, s25 dst_sel:DWORD dst_unused:UNUSED_PAD src0_sel:WORD_0 src1_sel:DWORD
	v_mul_u32_u24_sdwa v9, v9, s25 dst_sel:DWORD dst_unused:UNUSED_PAD src0_sel:WORD_1 src1_sel:DWORD
	;; [unrolled: 2-line block ×3, first 2 shown]
	v_pk_fma_f16 v13, v34, v13, v18
	v_pk_fma_f16 v8, v34, v8, v19
	;; [unrolled: 1-line block ×4, first 2 shown]
	s_waitcnt lgkmcnt(2)
	v_mul_u32_u24_sdwa v12, v14, s25 dst_sel:DWORD dst_unused:UNUSED_PAD src0_sel:WORD_0 src1_sel:DWORD
	v_mul_u32_u24_sdwa v14, v14, s25 dst_sel:DWORD dst_unused:UNUSED_PAD src0_sel:WORD_1 src1_sel:DWORD
	v_mul_u32_u24_sdwa v21, v15, s25 dst_sel:DWORD dst_unused:UNUSED_PAD src0_sel:WORD_0 src1_sel:DWORD
	v_mul_u32_u24_sdwa v15, v15, s25 dst_sel:DWORD dst_unused:UNUSED_PAD src0_sel:WORD_1 src1_sel:DWORD
	v_pk_fma_f16 v12, v35, v12, v13
	v_pk_fma_f16 v13, v35, v14, v8
	;; [unrolled: 1-line block ×3, first 2 shown]
	ds_read2_b32 v[8:9], v76 offset0:64 offset1:96
	v_mul_u32_u24_sdwa v36, v10, s25 dst_sel:DWORD dst_unused:UNUSED_PAD src0_sel:WORD_0 src1_sel:DWORD
	v_mul_u32_u24_sdwa v10, v10, s25 dst_sel:DWORD dst_unused:UNUSED_PAD src0_sel:WORD_1 src1_sel:DWORD
	v_pk_fma_f16 v18, v34, v25, v20
	v_pk_fma_f16 v19, v34, v36, v22
	;; [unrolled: 1-line block ×4, first 2 shown]
	v_mul_u32_u24_sdwa v22, v16, s25 dst_sel:DWORD dst_unused:UNUSED_PAD src0_sel:WORD_0 src1_sel:DWORD
	v_mul_u32_u24_sdwa v16, v16, s25 dst_sel:DWORD dst_unused:UNUSED_PAD src0_sel:WORD_1 src1_sel:DWORD
	v_mul_u32_u24_sdwa v23, v17, s25 dst_sel:DWORD dst_unused:UNUSED_PAD src0_sel:WORD_0 src1_sel:DWORD
	v_mul_u32_u24_sdwa v17, v17, s25 dst_sel:DWORD dst_unused:UNUSED_PAD src0_sel:WORD_1 src1_sel:DWORD
	v_pk_fma_f16 v14, v35, v21, v18
	v_pk_fma_f16 v18, v35, v22, v19
	;; [unrolled: 1-line block ×5, first 2 shown]
	s_waitcnt lgkmcnt(2)
	v_mul_u32_u24_sdwa v17, v26, s25 dst_sel:DWORD dst_unused:UNUSED_PAD src0_sel:WORD_0 src1_sel:DWORD
	v_mul_u32_u24_sdwa v19, v26, s25 dst_sel:DWORD dst_unused:UNUSED_PAD src0_sel:WORD_1 src1_sel:DWORD
	v_mul_u32_u24_sdwa v20, v27, s25 dst_sel:DWORD dst_unused:UNUSED_PAD src0_sel:WORD_0 src1_sel:DWORD
	v_mul_u32_u24_sdwa v21, v27, s25 dst_sel:DWORD dst_unused:UNUSED_PAD src0_sel:WORD_1 src1_sel:DWORD
	;; [unrolled: 2-line block ×4, first 2 shown]
	s_waitcnt lgkmcnt(0)
	v_pk_fma_f16 v12, v8, v17, v12
	v_pk_fma_f16 v13, v8, v19, v13
	;; [unrolled: 1-line block ×8, first 2 shown]
	v_mul_u32_u24_sdwa v11, v30, s25 dst_sel:DWORD dst_unused:UNUSED_PAD src0_sel:WORD_0 src1_sel:DWORD
	v_mul_u32_u24_sdwa v18, v30, s25 dst_sel:DWORD dst_unused:UNUSED_PAD src0_sel:WORD_1 src1_sel:DWORD
	v_mul_u32_u24_sdwa v19, v31, s25 dst_sel:DWORD dst_unused:UNUSED_PAD src0_sel:WORD_0 src1_sel:DWORD
	v_mul_u32_u24_sdwa v20, v31, s25 dst_sel:DWORD dst_unused:UNUSED_PAD src0_sel:WORD_1 src1_sel:DWORD
	;; [unrolled: 2-line block ×4, first 2 shown]
	v_pk_fma_f16 v25, v9, v11, v12
	v_pk_fma_f16 v18, v9, v18, v13
	;; [unrolled: 1-line block ×8, first 2 shown]
	ds_read2_b32 v[8:9], v76 offset0:128 offset1:160
	ds_read_b128 v[10:13], v83 offset:64
	s_waitcnt lgkmcnt(0)
	v_mul_u32_u24_sdwa v21, v10, s25 dst_sel:DWORD dst_unused:UNUSED_PAD src0_sel:WORD_0 src1_sel:DWORD
	v_mul_u32_u24_sdwa v10, v10, s25 dst_sel:DWORD dst_unused:UNUSED_PAD src0_sel:WORD_1 src1_sel:DWORD
	v_mul_u32_u24_sdwa v22, v11, s25 dst_sel:DWORD dst_unused:UNUSED_PAD src0_sel:WORD_0 src1_sel:DWORD
	v_mul_u32_u24_sdwa v11, v11, s25 dst_sel:DWORD dst_unused:UNUSED_PAD src0_sel:WORD_1 src1_sel:DWORD
	;; [unrolled: 2-line block ×4, first 2 shown]
	v_pk_fma_f16 v21, v8, v21, v25
	v_pk_fma_f16 v18, v8, v10, v18
	;; [unrolled: 1-line block ×8, first 2 shown]
	ds_read_b128 v[10:13], v83 offset:80
	s_waitcnt lgkmcnt(0)
	v_mul_u32_u24_sdwa v20, v10, s25 dst_sel:DWORD dst_unused:UNUSED_PAD src0_sel:WORD_0 src1_sel:DWORD
	v_mul_u32_u24_sdwa v10, v10, s25 dst_sel:DWORD dst_unused:UNUSED_PAD src0_sel:WORD_1 src1_sel:DWORD
	v_mul_u32_u24_sdwa v22, v11, s25 dst_sel:DWORD dst_unused:UNUSED_PAD src0_sel:WORD_0 src1_sel:DWORD
	v_mul_u32_u24_sdwa v11, v11, s25 dst_sel:DWORD dst_unused:UNUSED_PAD src0_sel:WORD_1 src1_sel:DWORD
	;; [unrolled: 2-line block ×4, first 2 shown]
	v_pk_fma_f16 v20, v9, v20, v21
	v_pk_fma_f16 v18, v9, v10, v18
	;; [unrolled: 1-line block ×8, first 2 shown]
	ds_read2_b32 v[12:13], v76 offset0:192 offset1:224
	ds_read_b128 v[8:11], v83 offset:96
	s_waitcnt lgkmcnt(0)
	v_mul_u32_u24_sdwa v22, v8, s25 dst_sel:DWORD dst_unused:UNUSED_PAD src0_sel:WORD_0 src1_sel:DWORD
	v_mul_u32_u24_sdwa v8, v8, s25 dst_sel:DWORD dst_unused:UNUSED_PAD src0_sel:WORD_1 src1_sel:DWORD
	v_mul_u32_u24_sdwa v23, v9, s25 dst_sel:DWORD dst_unused:UNUSED_PAD src0_sel:WORD_0 src1_sel:DWORD
	v_mul_u32_u24_sdwa v9, v9, s25 dst_sel:DWORD dst_unused:UNUSED_PAD src0_sel:WORD_1 src1_sel:DWORD
	;; [unrolled: 2-line block ×4, first 2 shown]
	v_pk_fma_f16 v20, v12, v22, v20
	v_pk_fma_f16 v18, v12, v8, v18
	;; [unrolled: 1-line block ×8, first 2 shown]
	ds_read_b128 v[8:11], v83 offset:112
	s_waitcnt lgkmcnt(0)
	v_mul_u32_u24_sdwa v21, v8, s25 dst_sel:DWORD dst_unused:UNUSED_PAD src0_sel:WORD_0 src1_sel:DWORD
	v_mul_u32_u24_sdwa v8, v8, s25 dst_sel:DWORD dst_unused:UNUSED_PAD src0_sel:WORD_1 src1_sel:DWORD
	v_mul_u32_u24_sdwa v22, v9, s25 dst_sel:DWORD dst_unused:UNUSED_PAD src0_sel:WORD_0 src1_sel:DWORD
	v_mul_u32_u24_sdwa v9, v9, s25 dst_sel:DWORD dst_unused:UNUSED_PAD src0_sel:WORD_1 src1_sel:DWORD
	;; [unrolled: 2-line block ×4, first 2 shown]
	v_pk_fma_f16 v20, v13, v21, v20
	v_pk_fma_f16 v18, v13, v8, v18
	;; [unrolled: 1-line block ×8, first 2 shown]
	ds_read2_b32 v[12:13], v88 offset1:32
	ds_read_b128 v[8:11], v83 offset:128
	s_waitcnt lgkmcnt(0)
	v_mul_u32_u24_sdwa v22, v8, s25 dst_sel:DWORD dst_unused:UNUSED_PAD src0_sel:WORD_0 src1_sel:DWORD
	v_mul_u32_u24_sdwa v8, v8, s25 dst_sel:DWORD dst_unused:UNUSED_PAD src0_sel:WORD_1 src1_sel:DWORD
	v_mul_u32_u24_sdwa v23, v9, s25 dst_sel:DWORD dst_unused:UNUSED_PAD src0_sel:WORD_0 src1_sel:DWORD
	v_mul_u32_u24_sdwa v9, v9, s25 dst_sel:DWORD dst_unused:UNUSED_PAD src0_sel:WORD_1 src1_sel:DWORD
	v_mul_u32_u24_sdwa v24, v10, s25 dst_sel:DWORD dst_unused:UNUSED_PAD src0_sel:WORD_0 src1_sel:DWORD
	v_mul_u32_u24_sdwa v10, v10, s25 dst_sel:DWORD dst_unused:UNUSED_PAD src0_sel:WORD_1 src1_sel:DWORD
	v_mul_u32_u24_sdwa v25, v11, s25 dst_sel:DWORD dst_unused:UNUSED_PAD src0_sel:WORD_0 src1_sel:DWORD
	v_mul_u32_u24_sdwa v11, v11, s25 dst_sel:DWORD dst_unused:UNUSED_PAD src0_sel:WORD_1 src1_sel:DWORD
	v_pk_fma_f16 v20, v12, v22, v20
	v_pk_fma_f16 v18, v12, v8, v18
	v_pk_fma_f16 v14, v12, v23, v14
	v_pk_fma_f16 v15, v12, v9, v15
	v_pk_fma_f16 v17, v12, v24, v17
	v_pk_fma_f16 v19, v12, v10, v19
	v_pk_fma_f16 v16, v12, v25, v16
	v_pk_fma_f16 v12, v12, v11, v21
	ds_read_b128 v[8:11], v83 offset:144
	s_waitcnt lgkmcnt(0)
	v_mul_u32_u24_sdwa v21, v8, s25 dst_sel:DWORD dst_unused:UNUSED_PAD src0_sel:WORD_0 src1_sel:DWORD
	v_mul_u32_u24_sdwa v8, v8, s25 dst_sel:DWORD dst_unused:UNUSED_PAD src0_sel:WORD_1 src1_sel:DWORD
	v_mul_u32_u24_sdwa v22, v9, s25 dst_sel:DWORD dst_unused:UNUSED_PAD src0_sel:WORD_0 src1_sel:DWORD
	v_mul_u32_u24_sdwa v9, v9, s25 dst_sel:DWORD dst_unused:UNUSED_PAD src0_sel:WORD_1 src1_sel:DWORD
	v_mul_u32_u24_sdwa v23, v10, s25 dst_sel:DWORD dst_unused:UNUSED_PAD src0_sel:WORD_0 src1_sel:DWORD
	v_mul_u32_u24_sdwa v10, v10, s25 dst_sel:DWORD dst_unused:UNUSED_PAD src0_sel:WORD_1 src1_sel:DWORD
	v_mul_u32_u24_sdwa v24, v11, s25 dst_sel:DWORD dst_unused:UNUSED_PAD src0_sel:WORD_0 src1_sel:DWORD
	v_mul_u32_u24_sdwa v11, v11, s25 dst_sel:DWORD dst_unused:UNUSED_PAD src0_sel:WORD_1 src1_sel:DWORD
	v_pk_fma_f16 v20, v13, v21, v20
	v_pk_fma_f16 v18, v13, v8, v18
	v_pk_fma_f16 v14, v13, v22, v14
	v_pk_fma_f16 v15, v13, v9, v15
	v_pk_fma_f16 v17, v13, v23, v17
	v_pk_fma_f16 v19, v13, v10, v19
	v_pk_fma_f16 v16, v13, v24, v16
	v_pk_fma_f16 v21, v13, v11, v12
	ds_read2_b32 v[12:13], v88 offset0:64 offset1:96
	ds_read_b128 v[8:11], v83 offset:160
	s_waitcnt lgkmcnt(0)
	v_mul_u32_u24_sdwa v22, v8, s25 dst_sel:DWORD dst_unused:UNUSED_PAD src0_sel:WORD_0 src1_sel:DWORD
	v_mul_u32_u24_sdwa v8, v8, s25 dst_sel:DWORD dst_unused:UNUSED_PAD src0_sel:WORD_1 src1_sel:DWORD
	v_mul_u32_u24_sdwa v23, v9, s25 dst_sel:DWORD dst_unused:UNUSED_PAD src0_sel:WORD_0 src1_sel:DWORD
	v_mul_u32_u24_sdwa v9, v9, s25 dst_sel:DWORD dst_unused:UNUSED_PAD src0_sel:WORD_1 src1_sel:DWORD
	v_mul_u32_u24_sdwa v24, v10, s25 dst_sel:DWORD dst_unused:UNUSED_PAD src0_sel:WORD_0 src1_sel:DWORD
	v_mul_u32_u24_sdwa v10, v10, s25 dst_sel:DWORD dst_unused:UNUSED_PAD src0_sel:WORD_1 src1_sel:DWORD
	v_mul_u32_u24_sdwa v25, v11, s25 dst_sel:DWORD dst_unused:UNUSED_PAD src0_sel:WORD_0 src1_sel:DWORD
	v_mul_u32_u24_sdwa v11, v11, s25 dst_sel:DWORD dst_unused:UNUSED_PAD src0_sel:WORD_1 src1_sel:DWORD
	v_pk_fma_f16 v20, v12, v22, v20
	v_pk_fma_f16 v18, v12, v8, v18
	v_pk_fma_f16 v14, v12, v23, v14
	v_pk_fma_f16 v15, v12, v9, v15
	v_pk_fma_f16 v17, v12, v24, v17
	v_pk_fma_f16 v19, v12, v10, v19
	v_pk_fma_f16 v16, v12, v25, v16
	v_pk_fma_f16 v12, v12, v11, v21
	ds_read_b128 v[8:11], v83 offset:176
	s_waitcnt lgkmcnt(0)
	v_mul_u32_u24_sdwa v21, v8, s25 dst_sel:DWORD dst_unused:UNUSED_PAD src0_sel:WORD_0 src1_sel:DWORD
	v_mul_u32_u24_sdwa v8, v8, s25 dst_sel:DWORD dst_unused:UNUSED_PAD src0_sel:WORD_1 src1_sel:DWORD
	v_mul_u32_u24_sdwa v22, v9, s25 dst_sel:DWORD dst_unused:UNUSED_PAD src0_sel:WORD_0 src1_sel:DWORD
	v_mul_u32_u24_sdwa v9, v9, s25 dst_sel:DWORD dst_unused:UNUSED_PAD src0_sel:WORD_1 src1_sel:DWORD
	v_mul_u32_u24_sdwa v23, v10, s25 dst_sel:DWORD dst_unused:UNUSED_PAD src0_sel:WORD_0 src1_sel:DWORD
	v_mul_u32_u24_sdwa v10, v10, s25 dst_sel:DWORD dst_unused:UNUSED_PAD src0_sel:WORD_1 src1_sel:DWORD
	v_mul_u32_u24_sdwa v24, v11, s25 dst_sel:DWORD dst_unused:UNUSED_PAD src0_sel:WORD_0 src1_sel:DWORD
	v_mul_u32_u24_sdwa v11, v11, s25 dst_sel:DWORD dst_unused:UNUSED_PAD src0_sel:WORD_1 src1_sel:DWORD
	v_pk_fma_f16 v20, v13, v21, v20
	v_pk_fma_f16 v18, v13, v8, v18
	v_pk_fma_f16 v14, v13, v22, v14
	v_pk_fma_f16 v15, v13, v9, v15
	v_pk_fma_f16 v17, v13, v23, v17
	v_pk_fma_f16 v19, v13, v10, v19
	v_pk_fma_f16 v16, v13, v24, v16
	v_pk_fma_f16 v21, v13, v11, v12
	ds_read2_b32 v[12:13], v88 offset0:128 offset1:160
	;; [unrolled: 37-line block ×3, first 2 shown]
	ds_read_b128 v[8:11], v83 offset:224
	s_waitcnt lgkmcnt(0)
	v_mul_u32_u24_sdwa v22, v8, s25 dst_sel:DWORD dst_unused:UNUSED_PAD src0_sel:WORD_0 src1_sel:DWORD
	v_mul_u32_u24_sdwa v8, v8, s25 dst_sel:DWORD dst_unused:UNUSED_PAD src0_sel:WORD_1 src1_sel:DWORD
	v_mul_u32_u24_sdwa v23, v9, s25 dst_sel:DWORD dst_unused:UNUSED_PAD src0_sel:WORD_0 src1_sel:DWORD
	v_mul_u32_u24_sdwa v9, v9, s25 dst_sel:DWORD dst_unused:UNUSED_PAD src0_sel:WORD_1 src1_sel:DWORD
	;; [unrolled: 2-line block ×4, first 2 shown]
	v_pk_fma_f16 v20, v12, v22, v20
	v_pk_fma_f16 v18, v12, v8, v18
	;; [unrolled: 1-line block ×8, first 2 shown]
	ds_read_b128 v[8:11], v83 offset:240
	s_waitcnt lgkmcnt(0)
	v_mul_u32_u24_sdwa v21, v8, s25 dst_sel:DWORD dst_unused:UNUSED_PAD src0_sel:WORD_0 src1_sel:DWORD
	v_mul_u32_u24_sdwa v8, v8, s25 dst_sel:DWORD dst_unused:UNUSED_PAD src0_sel:WORD_1 src1_sel:DWORD
	v_mul_u32_u24_sdwa v22, v9, s25 dst_sel:DWORD dst_unused:UNUSED_PAD src0_sel:WORD_0 src1_sel:DWORD
	v_mul_u32_u24_sdwa v9, v9, s25 dst_sel:DWORD dst_unused:UNUSED_PAD src0_sel:WORD_1 src1_sel:DWORD
	;; [unrolled: 2-line block ×4, first 2 shown]
	v_pk_fma_f16 v20, v13, v21, v20
	v_pk_fma_f16 v18, v13, v8, v18
	;; [unrolled: 1-line block ×8, first 2 shown]
	ds_read2_b32 v[12:13], v89 offset1:32
	ds_read_b128 v[8:11], v83 offset:256
	s_waitcnt lgkmcnt(0)
	v_mul_u32_u24_sdwa v22, v8, s25 dst_sel:DWORD dst_unused:UNUSED_PAD src0_sel:WORD_0 src1_sel:DWORD
	v_mul_u32_u24_sdwa v8, v8, s25 dst_sel:DWORD dst_unused:UNUSED_PAD src0_sel:WORD_1 src1_sel:DWORD
	v_mul_u32_u24_sdwa v23, v9, s25 dst_sel:DWORD dst_unused:UNUSED_PAD src0_sel:WORD_0 src1_sel:DWORD
	v_mul_u32_u24_sdwa v9, v9, s25 dst_sel:DWORD dst_unused:UNUSED_PAD src0_sel:WORD_1 src1_sel:DWORD
	v_mul_u32_u24_sdwa v24, v10, s25 dst_sel:DWORD dst_unused:UNUSED_PAD src0_sel:WORD_0 src1_sel:DWORD
	v_mul_u32_u24_sdwa v10, v10, s25 dst_sel:DWORD dst_unused:UNUSED_PAD src0_sel:WORD_1 src1_sel:DWORD
	v_mul_u32_u24_sdwa v25, v11, s25 dst_sel:DWORD dst_unused:UNUSED_PAD src0_sel:WORD_0 src1_sel:DWORD
	v_mul_u32_u24_sdwa v11, v11, s25 dst_sel:DWORD dst_unused:UNUSED_PAD src0_sel:WORD_1 src1_sel:DWORD
	v_pk_fma_f16 v20, v12, v22, v20
	v_pk_fma_f16 v18, v12, v8, v18
	v_pk_fma_f16 v14, v12, v23, v14
	v_pk_fma_f16 v15, v12, v9, v15
	v_pk_fma_f16 v17, v12, v24, v17
	v_pk_fma_f16 v19, v12, v10, v19
	v_pk_fma_f16 v16, v12, v25, v16
	v_pk_fma_f16 v12, v12, v11, v21
	ds_read_b128 v[8:11], v83 offset:272
	s_waitcnt lgkmcnt(0)
	v_mul_u32_u24_sdwa v21, v8, s25 dst_sel:DWORD dst_unused:UNUSED_PAD src0_sel:WORD_0 src1_sel:DWORD
	v_mul_u32_u24_sdwa v8, v8, s25 dst_sel:DWORD dst_unused:UNUSED_PAD src0_sel:WORD_1 src1_sel:DWORD
	v_mul_u32_u24_sdwa v22, v9, s25 dst_sel:DWORD dst_unused:UNUSED_PAD src0_sel:WORD_0 src1_sel:DWORD
	v_mul_u32_u24_sdwa v9, v9, s25 dst_sel:DWORD dst_unused:UNUSED_PAD src0_sel:WORD_1 src1_sel:DWORD
	v_mul_u32_u24_sdwa v23, v10, s25 dst_sel:DWORD dst_unused:UNUSED_PAD src0_sel:WORD_0 src1_sel:DWORD
	v_mul_u32_u24_sdwa v10, v10, s25 dst_sel:DWORD dst_unused:UNUSED_PAD src0_sel:WORD_1 src1_sel:DWORD
	v_mul_u32_u24_sdwa v24, v11, s25 dst_sel:DWORD dst_unused:UNUSED_PAD src0_sel:WORD_0 src1_sel:DWORD
	v_mul_u32_u24_sdwa v11, v11, s25 dst_sel:DWORD dst_unused:UNUSED_PAD src0_sel:WORD_1 src1_sel:DWORD
	v_pk_fma_f16 v20, v13, v21, v20
	v_pk_fma_f16 v18, v13, v8, v18
	v_pk_fma_f16 v14, v13, v22, v14
	v_pk_fma_f16 v15, v13, v9, v15
	v_pk_fma_f16 v17, v13, v23, v17
	v_pk_fma_f16 v19, v13, v10, v19
	v_pk_fma_f16 v16, v13, v24, v16
	v_pk_fma_f16 v21, v13, v11, v12
	ds_read2_b32 v[12:13], v89 offset0:64 offset1:96
	ds_read_b128 v[8:11], v83 offset:288
	s_waitcnt lgkmcnt(0)
	v_mul_u32_u24_sdwa v22, v8, s25 dst_sel:DWORD dst_unused:UNUSED_PAD src0_sel:WORD_0 src1_sel:DWORD
	v_mul_u32_u24_sdwa v8, v8, s25 dst_sel:DWORD dst_unused:UNUSED_PAD src0_sel:WORD_1 src1_sel:DWORD
	v_mul_u32_u24_sdwa v23, v9, s25 dst_sel:DWORD dst_unused:UNUSED_PAD src0_sel:WORD_0 src1_sel:DWORD
	v_mul_u32_u24_sdwa v9, v9, s25 dst_sel:DWORD dst_unused:UNUSED_PAD src0_sel:WORD_1 src1_sel:DWORD
	v_mul_u32_u24_sdwa v24, v10, s25 dst_sel:DWORD dst_unused:UNUSED_PAD src0_sel:WORD_0 src1_sel:DWORD
	v_mul_u32_u24_sdwa v10, v10, s25 dst_sel:DWORD dst_unused:UNUSED_PAD src0_sel:WORD_1 src1_sel:DWORD
	v_mul_u32_u24_sdwa v25, v11, s25 dst_sel:DWORD dst_unused:UNUSED_PAD src0_sel:WORD_0 src1_sel:DWORD
	v_mul_u32_u24_sdwa v11, v11, s25 dst_sel:DWORD dst_unused:UNUSED_PAD src0_sel:WORD_1 src1_sel:DWORD
	v_pk_fma_f16 v20, v12, v22, v20
	v_pk_fma_f16 v18, v12, v8, v18
	v_pk_fma_f16 v14, v12, v23, v14
	v_pk_fma_f16 v15, v12, v9, v15
	v_pk_fma_f16 v17, v12, v24, v17
	v_pk_fma_f16 v19, v12, v10, v19
	v_pk_fma_f16 v16, v12, v25, v16
	v_pk_fma_f16 v12, v12, v11, v21
	ds_read_b128 v[8:11], v83 offset:304
	s_waitcnt lgkmcnt(0)
	v_mul_u32_u24_sdwa v21, v8, s25 dst_sel:DWORD dst_unused:UNUSED_PAD src0_sel:WORD_0 src1_sel:DWORD
	v_mul_u32_u24_sdwa v8, v8, s25 dst_sel:DWORD dst_unused:UNUSED_PAD src0_sel:WORD_1 src1_sel:DWORD
	v_mul_u32_u24_sdwa v22, v9, s25 dst_sel:DWORD dst_unused:UNUSED_PAD src0_sel:WORD_0 src1_sel:DWORD
	v_mul_u32_u24_sdwa v9, v9, s25 dst_sel:DWORD dst_unused:UNUSED_PAD src0_sel:WORD_1 src1_sel:DWORD
	v_mul_u32_u24_sdwa v23, v10, s25 dst_sel:DWORD dst_unused:UNUSED_PAD src0_sel:WORD_0 src1_sel:DWORD
	v_mul_u32_u24_sdwa v10, v10, s25 dst_sel:DWORD dst_unused:UNUSED_PAD src0_sel:WORD_1 src1_sel:DWORD
	v_mul_u32_u24_sdwa v24, v11, s25 dst_sel:DWORD dst_unused:UNUSED_PAD src0_sel:WORD_0 src1_sel:DWORD
	v_mul_u32_u24_sdwa v11, v11, s25 dst_sel:DWORD dst_unused:UNUSED_PAD src0_sel:WORD_1 src1_sel:DWORD
	v_pk_fma_f16 v20, v13, v21, v20
	v_pk_fma_f16 v18, v13, v8, v18
	v_pk_fma_f16 v14, v13, v22, v14
	v_pk_fma_f16 v15, v13, v9, v15
	v_pk_fma_f16 v17, v13, v23, v17
	v_pk_fma_f16 v19, v13, v10, v19
	v_pk_fma_f16 v16, v13, v24, v16
	v_pk_fma_f16 v21, v13, v11, v12
	ds_read2_b32 v[12:13], v89 offset0:128 offset1:160
	;; [unrolled: 37-line block ×3, first 2 shown]
	ds_read_b128 v[8:11], v83 offset:352
	s_waitcnt lgkmcnt(0)
	v_mul_u32_u24_sdwa v22, v8, s25 dst_sel:DWORD dst_unused:UNUSED_PAD src0_sel:WORD_0 src1_sel:DWORD
	v_mul_u32_u24_sdwa v8, v8, s25 dst_sel:DWORD dst_unused:UNUSED_PAD src0_sel:WORD_1 src1_sel:DWORD
	v_mul_u32_u24_sdwa v23, v9, s25 dst_sel:DWORD dst_unused:UNUSED_PAD src0_sel:WORD_0 src1_sel:DWORD
	v_mul_u32_u24_sdwa v9, v9, s25 dst_sel:DWORD dst_unused:UNUSED_PAD src0_sel:WORD_1 src1_sel:DWORD
	;; [unrolled: 2-line block ×4, first 2 shown]
	v_pk_fma_f16 v20, v12, v22, v20
	v_pk_fma_f16 v18, v12, v8, v18
	;; [unrolled: 1-line block ×8, first 2 shown]
	ds_read_b128 v[8:11], v83 offset:368
	s_waitcnt lgkmcnt(0)
	v_mul_u32_u24_sdwa v21, v8, s25 dst_sel:DWORD dst_unused:UNUSED_PAD src0_sel:WORD_0 src1_sel:DWORD
	v_mul_u32_u24_sdwa v8, v8, s25 dst_sel:DWORD dst_unused:UNUSED_PAD src0_sel:WORD_1 src1_sel:DWORD
	v_mul_u32_u24_sdwa v22, v9, s25 dst_sel:DWORD dst_unused:UNUSED_PAD src0_sel:WORD_0 src1_sel:DWORD
	v_mul_u32_u24_sdwa v9, v9, s25 dst_sel:DWORD dst_unused:UNUSED_PAD src0_sel:WORD_1 src1_sel:DWORD
	;; [unrolled: 2-line block ×4, first 2 shown]
	v_pk_fma_f16 v20, v13, v21, v20
	v_pk_fma_f16 v18, v13, v8, v18
	;; [unrolled: 1-line block ×8, first 2 shown]
	ds_read2_b32 v[12:13], v90 offset1:32
	ds_read_b128 v[8:11], v83 offset:384
	s_waitcnt lgkmcnt(0)
	v_mul_u32_u24_sdwa v22, v8, s25 dst_sel:DWORD dst_unused:UNUSED_PAD src0_sel:WORD_0 src1_sel:DWORD
	v_mul_u32_u24_sdwa v8, v8, s25 dst_sel:DWORD dst_unused:UNUSED_PAD src0_sel:WORD_1 src1_sel:DWORD
	v_mul_u32_u24_sdwa v23, v9, s25 dst_sel:DWORD dst_unused:UNUSED_PAD src0_sel:WORD_0 src1_sel:DWORD
	v_mul_u32_u24_sdwa v9, v9, s25 dst_sel:DWORD dst_unused:UNUSED_PAD src0_sel:WORD_1 src1_sel:DWORD
	v_mul_u32_u24_sdwa v24, v10, s25 dst_sel:DWORD dst_unused:UNUSED_PAD src0_sel:WORD_0 src1_sel:DWORD
	v_mul_u32_u24_sdwa v10, v10, s25 dst_sel:DWORD dst_unused:UNUSED_PAD src0_sel:WORD_1 src1_sel:DWORD
	v_mul_u32_u24_sdwa v25, v11, s25 dst_sel:DWORD dst_unused:UNUSED_PAD src0_sel:WORD_0 src1_sel:DWORD
	v_mul_u32_u24_sdwa v11, v11, s25 dst_sel:DWORD dst_unused:UNUSED_PAD src0_sel:WORD_1 src1_sel:DWORD
	v_pk_fma_f16 v20, v12, v22, v20
	v_pk_fma_f16 v18, v12, v8, v18
	v_pk_fma_f16 v14, v12, v23, v14
	v_pk_fma_f16 v15, v12, v9, v15
	v_pk_fma_f16 v17, v12, v24, v17
	v_pk_fma_f16 v19, v12, v10, v19
	v_pk_fma_f16 v16, v12, v25, v16
	v_pk_fma_f16 v12, v12, v11, v21
	ds_read_b128 v[8:11], v83 offset:400
	s_waitcnt lgkmcnt(0)
	v_mul_u32_u24_sdwa v21, v8, s25 dst_sel:DWORD dst_unused:UNUSED_PAD src0_sel:WORD_0 src1_sel:DWORD
	v_mul_u32_u24_sdwa v8, v8, s25 dst_sel:DWORD dst_unused:UNUSED_PAD src0_sel:WORD_1 src1_sel:DWORD
	v_mul_u32_u24_sdwa v22, v9, s25 dst_sel:DWORD dst_unused:UNUSED_PAD src0_sel:WORD_0 src1_sel:DWORD
	v_mul_u32_u24_sdwa v9, v9, s25 dst_sel:DWORD dst_unused:UNUSED_PAD src0_sel:WORD_1 src1_sel:DWORD
	v_mul_u32_u24_sdwa v23, v10, s25 dst_sel:DWORD dst_unused:UNUSED_PAD src0_sel:WORD_0 src1_sel:DWORD
	v_mul_u32_u24_sdwa v10, v10, s25 dst_sel:DWORD dst_unused:UNUSED_PAD src0_sel:WORD_1 src1_sel:DWORD
	v_mul_u32_u24_sdwa v24, v11, s25 dst_sel:DWORD dst_unused:UNUSED_PAD src0_sel:WORD_0 src1_sel:DWORD
	v_mul_u32_u24_sdwa v11, v11, s25 dst_sel:DWORD dst_unused:UNUSED_PAD src0_sel:WORD_1 src1_sel:DWORD
	v_pk_fma_f16 v20, v13, v21, v20
	v_pk_fma_f16 v18, v13, v8, v18
	v_pk_fma_f16 v14, v13, v22, v14
	v_pk_fma_f16 v15, v13, v9, v15
	v_pk_fma_f16 v17, v13, v23, v17
	v_pk_fma_f16 v19, v13, v10, v19
	v_pk_fma_f16 v16, v13, v24, v16
	v_pk_fma_f16 v21, v13, v11, v12
	ds_read2_b32 v[12:13], v90 offset0:64 offset1:96
	ds_read_b128 v[8:11], v83 offset:416
	s_waitcnt lgkmcnt(0)
	v_mul_u32_u24_sdwa v22, v8, s25 dst_sel:DWORD dst_unused:UNUSED_PAD src0_sel:WORD_0 src1_sel:DWORD
	v_mul_u32_u24_sdwa v8, v8, s25 dst_sel:DWORD dst_unused:UNUSED_PAD src0_sel:WORD_1 src1_sel:DWORD
	v_mul_u32_u24_sdwa v23, v9, s25 dst_sel:DWORD dst_unused:UNUSED_PAD src0_sel:WORD_0 src1_sel:DWORD
	v_mul_u32_u24_sdwa v9, v9, s25 dst_sel:DWORD dst_unused:UNUSED_PAD src0_sel:WORD_1 src1_sel:DWORD
	v_mul_u32_u24_sdwa v24, v10, s25 dst_sel:DWORD dst_unused:UNUSED_PAD src0_sel:WORD_0 src1_sel:DWORD
	v_mul_u32_u24_sdwa v10, v10, s25 dst_sel:DWORD dst_unused:UNUSED_PAD src0_sel:WORD_1 src1_sel:DWORD
	v_mul_u32_u24_sdwa v25, v11, s25 dst_sel:DWORD dst_unused:UNUSED_PAD src0_sel:WORD_0 src1_sel:DWORD
	v_mul_u32_u24_sdwa v11, v11, s25 dst_sel:DWORD dst_unused:UNUSED_PAD src0_sel:WORD_1 src1_sel:DWORD
	v_pk_fma_f16 v20, v12, v22, v20
	v_pk_fma_f16 v18, v12, v8, v18
	v_pk_fma_f16 v14, v12, v23, v14
	v_pk_fma_f16 v15, v12, v9, v15
	v_pk_fma_f16 v17, v12, v24, v17
	v_pk_fma_f16 v19, v12, v10, v19
	v_pk_fma_f16 v16, v12, v25, v16
	v_pk_fma_f16 v12, v12, v11, v21
	ds_read_b128 v[8:11], v83 offset:432
	s_waitcnt lgkmcnt(0)
	v_mul_u32_u24_sdwa v21, v8, s25 dst_sel:DWORD dst_unused:UNUSED_PAD src0_sel:WORD_0 src1_sel:DWORD
	v_mul_u32_u24_sdwa v8, v8, s25 dst_sel:DWORD dst_unused:UNUSED_PAD src0_sel:WORD_1 src1_sel:DWORD
	v_mul_u32_u24_sdwa v22, v9, s25 dst_sel:DWORD dst_unused:UNUSED_PAD src0_sel:WORD_0 src1_sel:DWORD
	v_mul_u32_u24_sdwa v9, v9, s25 dst_sel:DWORD dst_unused:UNUSED_PAD src0_sel:WORD_1 src1_sel:DWORD
	v_mul_u32_u24_sdwa v23, v10, s25 dst_sel:DWORD dst_unused:UNUSED_PAD src0_sel:WORD_0 src1_sel:DWORD
	v_mul_u32_u24_sdwa v10, v10, s25 dst_sel:DWORD dst_unused:UNUSED_PAD src0_sel:WORD_1 src1_sel:DWORD
	v_mul_u32_u24_sdwa v24, v11, s25 dst_sel:DWORD dst_unused:UNUSED_PAD src0_sel:WORD_0 src1_sel:DWORD
	v_mul_u32_u24_sdwa v11, v11, s25 dst_sel:DWORD dst_unused:UNUSED_PAD src0_sel:WORD_1 src1_sel:DWORD
	v_pk_fma_f16 v20, v13, v21, v20
	v_pk_fma_f16 v18, v13, v8, v18
	v_pk_fma_f16 v14, v13, v22, v14
	v_pk_fma_f16 v15, v13, v9, v15
	v_pk_fma_f16 v17, v13, v23, v17
	v_pk_fma_f16 v19, v13, v10, v19
	v_pk_fma_f16 v16, v13, v24, v16
	v_pk_fma_f16 v21, v13, v11, v12
	ds_read2_b32 v[12:13], v90 offset0:128 offset1:160
	ds_read_b128 v[8:11], v83 offset:448
	s_waitcnt lgkmcnt(0)
	v_mul_u32_u24_sdwa v22, v8, s25 dst_sel:DWORD dst_unused:UNUSED_PAD src0_sel:WORD_0 src1_sel:DWORD
	v_mul_u32_u24_sdwa v8, v8, s25 dst_sel:DWORD dst_unused:UNUSED_PAD src0_sel:WORD_1 src1_sel:DWORD
	v_mul_u32_u24_sdwa v23, v9, s25 dst_sel:DWORD dst_unused:UNUSED_PAD src0_sel:WORD_0 src1_sel:DWORD
	v_mul_u32_u24_sdwa v9, v9, s25 dst_sel:DWORD dst_unused:UNUSED_PAD src0_sel:WORD_1 src1_sel:DWORD
	v_mul_u32_u24_sdwa v24, v10, s25 dst_sel:DWORD dst_unused:UNUSED_PAD src0_sel:WORD_0 src1_sel:DWORD
	v_mul_u32_u24_sdwa v10, v10, s25 dst_sel:DWORD dst_unused:UNUSED_PAD src0_sel:WORD_1 src1_sel:DWORD
	v_mul_u32_u24_sdwa v25, v11, s25 dst_sel:DWORD dst_unused:UNUSED_PAD src0_sel:WORD_0 src1_sel:DWORD
	v_mul_u32_u24_sdwa v11, v11, s25 dst_sel:DWORD dst_unused:UNUSED_PAD src0_sel:WORD_1 src1_sel:DWORD
	v_pk_fma_f16 v20, v12, v22, v20
	v_pk_fma_f16 v18, v12, v8, v18
	v_pk_fma_f16 v14, v12, v23, v14
	v_pk_fma_f16 v15, v12, v9, v15
	v_pk_fma_f16 v17, v12, v24, v17
	v_pk_fma_f16 v19, v12, v10, v19
	v_pk_fma_f16 v16, v12, v25, v16
	v_pk_fma_f16 v12, v12, v11, v21
	ds_read_b128 v[8:11], v83 offset:464
	s_waitcnt lgkmcnt(0)
	v_mul_u32_u24_sdwa v21, v8, s25 dst_sel:DWORD dst_unused:UNUSED_PAD src0_sel:WORD_0 src1_sel:DWORD
	v_mul_u32_u24_sdwa v8, v8, s25 dst_sel:DWORD dst_unused:UNUSED_PAD src0_sel:WORD_1 src1_sel:DWORD
	v_mul_u32_u24_sdwa v22, v9, s25 dst_sel:DWORD dst_unused:UNUSED_PAD src0_sel:WORD_0 src1_sel:DWORD
	v_mul_u32_u24_sdwa v9, v9, s25 dst_sel:DWORD dst_unused:UNUSED_PAD src0_sel:WORD_1 src1_sel:DWORD
	v_mul_u32_u24_sdwa v23, v10, s25 dst_sel:DWORD dst_unused:UNUSED_PAD src0_sel:WORD_0 src1_sel:DWORD
	v_mul_u32_u24_sdwa v10, v10, s25 dst_sel:DWORD dst_unused:UNUSED_PAD src0_sel:WORD_1 src1_sel:DWORD
	v_mul_u32_u24_sdwa v24, v11, s25 dst_sel:DWORD dst_unused:UNUSED_PAD src0_sel:WORD_0 src1_sel:DWORD
	v_mul_u32_u24_sdwa v11, v11, s25 dst_sel:DWORD dst_unused:UNUSED_PAD src0_sel:WORD_1 src1_sel:DWORD
	v_pk_fma_f16 v20, v13, v21, v20
	v_pk_fma_f16 v18, v13, v8, v18
	v_pk_fma_f16 v14, v13, v22, v14
	v_pk_fma_f16 v15, v13, v9, v15
	v_pk_fma_f16 v17, v13, v23, v17
	v_pk_fma_f16 v19, v13, v10, v19
	v_pk_fma_f16 v16, v13, v24, v16
	v_pk_fma_f16 v21, v13, v11, v12
	ds_read2_b32 v[12:13], v90 offset0:192 offset1:224
	ds_read_b128 v[8:11], v83 offset:480
	s_waitcnt lgkmcnt(0)
	v_mul_u32_u24_sdwa v22, v8, s25 dst_sel:DWORD dst_unused:UNUSED_PAD src0_sel:WORD_0 src1_sel:DWORD
	v_mul_u32_u24_sdwa v8, v8, s25 dst_sel:DWORD dst_unused:UNUSED_PAD src0_sel:WORD_1 src1_sel:DWORD
	v_mul_u32_u24_sdwa v23, v9, s25 dst_sel:DWORD dst_unused:UNUSED_PAD src0_sel:WORD_0 src1_sel:DWORD
	v_mul_u32_u24_sdwa v9, v9, s25 dst_sel:DWORD dst_unused:UNUSED_PAD src0_sel:WORD_1 src1_sel:DWORD
	;; [unrolled: 2-line block ×4, first 2 shown]
	v_pk_fma_f16 v20, v12, v22, v20
	v_pk_fma_f16 v18, v12, v8, v18
	;; [unrolled: 1-line block ×8, first 2 shown]
	ds_read_b128 v[8:11], v83 offset:496
	s_waitcnt lgkmcnt(0)
	v_mul_u32_u24_sdwa v21, v8, s25 dst_sel:DWORD dst_unused:UNUSED_PAD src0_sel:WORD_0 src1_sel:DWORD
	v_mul_u32_u24_sdwa v8, v8, s25 dst_sel:DWORD dst_unused:UNUSED_PAD src0_sel:WORD_1 src1_sel:DWORD
	v_mul_u32_u24_sdwa v22, v9, s25 dst_sel:DWORD dst_unused:UNUSED_PAD src0_sel:WORD_0 src1_sel:DWORD
	v_mul_u32_u24_sdwa v9, v9, s25 dst_sel:DWORD dst_unused:UNUSED_PAD src0_sel:WORD_1 src1_sel:DWORD
	;; [unrolled: 2-line block ×4, first 2 shown]
	v_pk_fma_f16 v20, v13, v21, v20
	v_pk_fma_f16 v18, v13, v8, v18
	;; [unrolled: 1-line block ×8, first 2 shown]
	ds_read2_b32 v[12:13], v91 offset1:32
	ds_read_b128 v[8:11], v83 offset:512
	s_waitcnt lgkmcnt(0)
	v_mul_u32_u24_sdwa v22, v8, s25 dst_sel:DWORD dst_unused:UNUSED_PAD src0_sel:WORD_0 src1_sel:DWORD
	v_mul_u32_u24_sdwa v8, v8, s25 dst_sel:DWORD dst_unused:UNUSED_PAD src0_sel:WORD_1 src1_sel:DWORD
	v_mul_u32_u24_sdwa v23, v9, s25 dst_sel:DWORD dst_unused:UNUSED_PAD src0_sel:WORD_0 src1_sel:DWORD
	v_mul_u32_u24_sdwa v9, v9, s25 dst_sel:DWORD dst_unused:UNUSED_PAD src0_sel:WORD_1 src1_sel:DWORD
	v_mul_u32_u24_sdwa v24, v10, s25 dst_sel:DWORD dst_unused:UNUSED_PAD src0_sel:WORD_0 src1_sel:DWORD
	v_mul_u32_u24_sdwa v10, v10, s25 dst_sel:DWORD dst_unused:UNUSED_PAD src0_sel:WORD_1 src1_sel:DWORD
	v_mul_u32_u24_sdwa v25, v11, s25 dst_sel:DWORD dst_unused:UNUSED_PAD src0_sel:WORD_0 src1_sel:DWORD
	v_mul_u32_u24_sdwa v11, v11, s25 dst_sel:DWORD dst_unused:UNUSED_PAD src0_sel:WORD_1 src1_sel:DWORD
	v_pk_fma_f16 v20, v12, v22, v20
	v_pk_fma_f16 v18, v12, v8, v18
	v_pk_fma_f16 v14, v12, v23, v14
	v_pk_fma_f16 v15, v12, v9, v15
	v_pk_fma_f16 v17, v12, v24, v17
	v_pk_fma_f16 v19, v12, v10, v19
	v_pk_fma_f16 v16, v12, v25, v16
	v_pk_fma_f16 v12, v12, v11, v21
	ds_read_b128 v[8:11], v83 offset:528
	s_waitcnt lgkmcnt(0)
	v_mul_u32_u24_sdwa v21, v8, s25 dst_sel:DWORD dst_unused:UNUSED_PAD src0_sel:WORD_0 src1_sel:DWORD
	v_mul_u32_u24_sdwa v8, v8, s25 dst_sel:DWORD dst_unused:UNUSED_PAD src0_sel:WORD_1 src1_sel:DWORD
	v_mul_u32_u24_sdwa v22, v9, s25 dst_sel:DWORD dst_unused:UNUSED_PAD src0_sel:WORD_0 src1_sel:DWORD
	v_mul_u32_u24_sdwa v9, v9, s25 dst_sel:DWORD dst_unused:UNUSED_PAD src0_sel:WORD_1 src1_sel:DWORD
	v_mul_u32_u24_sdwa v23, v10, s25 dst_sel:DWORD dst_unused:UNUSED_PAD src0_sel:WORD_0 src1_sel:DWORD
	v_mul_u32_u24_sdwa v10, v10, s25 dst_sel:DWORD dst_unused:UNUSED_PAD src0_sel:WORD_1 src1_sel:DWORD
	v_mul_u32_u24_sdwa v24, v11, s25 dst_sel:DWORD dst_unused:UNUSED_PAD src0_sel:WORD_0 src1_sel:DWORD
	v_mul_u32_u24_sdwa v11, v11, s25 dst_sel:DWORD dst_unused:UNUSED_PAD src0_sel:WORD_1 src1_sel:DWORD
	v_pk_fma_f16 v20, v13, v21, v20
	v_pk_fma_f16 v18, v13, v8, v18
	v_pk_fma_f16 v14, v13, v22, v14
	v_pk_fma_f16 v15, v13, v9, v15
	v_pk_fma_f16 v17, v13, v23, v17
	v_pk_fma_f16 v19, v13, v10, v19
	v_pk_fma_f16 v16, v13, v24, v16
	v_pk_fma_f16 v21, v13, v11, v12
	ds_read2_b32 v[12:13], v91 offset0:64 offset1:96
	ds_read_b128 v[8:11], v83 offset:544
	s_waitcnt lgkmcnt(0)
	v_mul_u32_u24_sdwa v22, v8, s25 dst_sel:DWORD dst_unused:UNUSED_PAD src0_sel:WORD_0 src1_sel:DWORD
	v_mul_u32_u24_sdwa v8, v8, s25 dst_sel:DWORD dst_unused:UNUSED_PAD src0_sel:WORD_1 src1_sel:DWORD
	v_mul_u32_u24_sdwa v23, v9, s25 dst_sel:DWORD dst_unused:UNUSED_PAD src0_sel:WORD_0 src1_sel:DWORD
	v_mul_u32_u24_sdwa v9, v9, s25 dst_sel:DWORD dst_unused:UNUSED_PAD src0_sel:WORD_1 src1_sel:DWORD
	v_mul_u32_u24_sdwa v24, v10, s25 dst_sel:DWORD dst_unused:UNUSED_PAD src0_sel:WORD_0 src1_sel:DWORD
	v_mul_u32_u24_sdwa v10, v10, s25 dst_sel:DWORD dst_unused:UNUSED_PAD src0_sel:WORD_1 src1_sel:DWORD
	v_mul_u32_u24_sdwa v25, v11, s25 dst_sel:DWORD dst_unused:UNUSED_PAD src0_sel:WORD_0 src1_sel:DWORD
	v_mul_u32_u24_sdwa v11, v11, s25 dst_sel:DWORD dst_unused:UNUSED_PAD src0_sel:WORD_1 src1_sel:DWORD
	v_pk_fma_f16 v20, v12, v22, v20
	v_pk_fma_f16 v18, v12, v8, v18
	v_pk_fma_f16 v14, v12, v23, v14
	v_pk_fma_f16 v15, v12, v9, v15
	v_pk_fma_f16 v17, v12, v24, v17
	v_pk_fma_f16 v19, v12, v10, v19
	v_pk_fma_f16 v16, v12, v25, v16
	v_pk_fma_f16 v12, v12, v11, v21
	ds_read_b128 v[8:11], v83 offset:560
	s_waitcnt lgkmcnt(0)
	v_mul_u32_u24_sdwa v21, v8, s25 dst_sel:DWORD dst_unused:UNUSED_PAD src0_sel:WORD_0 src1_sel:DWORD
	v_mul_u32_u24_sdwa v8, v8, s25 dst_sel:DWORD dst_unused:UNUSED_PAD src0_sel:WORD_1 src1_sel:DWORD
	v_mul_u32_u24_sdwa v22, v9, s25 dst_sel:DWORD dst_unused:UNUSED_PAD src0_sel:WORD_0 src1_sel:DWORD
	v_mul_u32_u24_sdwa v9, v9, s25 dst_sel:DWORD dst_unused:UNUSED_PAD src0_sel:WORD_1 src1_sel:DWORD
	v_mul_u32_u24_sdwa v23, v10, s25 dst_sel:DWORD dst_unused:UNUSED_PAD src0_sel:WORD_0 src1_sel:DWORD
	v_mul_u32_u24_sdwa v10, v10, s25 dst_sel:DWORD dst_unused:UNUSED_PAD src0_sel:WORD_1 src1_sel:DWORD
	v_mul_u32_u24_sdwa v24, v11, s25 dst_sel:DWORD dst_unused:UNUSED_PAD src0_sel:WORD_0 src1_sel:DWORD
	v_mul_u32_u24_sdwa v11, v11, s25 dst_sel:DWORD dst_unused:UNUSED_PAD src0_sel:WORD_1 src1_sel:DWORD
	v_pk_fma_f16 v20, v13, v21, v20
	v_pk_fma_f16 v18, v13, v8, v18
	v_pk_fma_f16 v14, v13, v22, v14
	v_pk_fma_f16 v15, v13, v9, v15
	v_pk_fma_f16 v17, v13, v23, v17
	v_pk_fma_f16 v19, v13, v10, v19
	v_pk_fma_f16 v16, v13, v24, v16
	v_pk_fma_f16 v21, v13, v11, v12
	ds_read2_b32 v[12:13], v91 offset0:128 offset1:160
	;; [unrolled: 37-line block ×3, first 2 shown]
	ds_read_b128 v[8:11], v83 offset:608
	s_waitcnt lgkmcnt(0)
	v_mul_u32_u24_sdwa v22, v8, s25 dst_sel:DWORD dst_unused:UNUSED_PAD src0_sel:WORD_0 src1_sel:DWORD
	v_mul_u32_u24_sdwa v8, v8, s25 dst_sel:DWORD dst_unused:UNUSED_PAD src0_sel:WORD_1 src1_sel:DWORD
	v_mul_u32_u24_sdwa v23, v9, s25 dst_sel:DWORD dst_unused:UNUSED_PAD src0_sel:WORD_0 src1_sel:DWORD
	v_mul_u32_u24_sdwa v9, v9, s25 dst_sel:DWORD dst_unused:UNUSED_PAD src0_sel:WORD_1 src1_sel:DWORD
	;; [unrolled: 2-line block ×4, first 2 shown]
	v_pk_fma_f16 v20, v12, v22, v20
	v_pk_fma_f16 v18, v12, v8, v18
	;; [unrolled: 1-line block ×8, first 2 shown]
	ds_read_b128 v[8:11], v83 offset:624
	s_waitcnt lgkmcnt(0)
	v_mul_u32_u24_sdwa v21, v8, s25 dst_sel:DWORD dst_unused:UNUSED_PAD src0_sel:WORD_0 src1_sel:DWORD
	v_mul_u32_u24_sdwa v8, v8, s25 dst_sel:DWORD dst_unused:UNUSED_PAD src0_sel:WORD_1 src1_sel:DWORD
	v_mul_u32_u24_sdwa v22, v9, s25 dst_sel:DWORD dst_unused:UNUSED_PAD src0_sel:WORD_0 src1_sel:DWORD
	v_mul_u32_u24_sdwa v9, v9, s25 dst_sel:DWORD dst_unused:UNUSED_PAD src0_sel:WORD_1 src1_sel:DWORD
	;; [unrolled: 2-line block ×4, first 2 shown]
	v_pk_fma_f16 v20, v13, v21, v20
	v_pk_fma_f16 v18, v13, v8, v18
	;; [unrolled: 1-line block ×8, first 2 shown]
	ds_read2_b32 v[12:13], v92 offset1:32
	ds_read_b128 v[8:11], v83 offset:640
	s_waitcnt lgkmcnt(0)
	v_mul_u32_u24_sdwa v22, v8, s25 dst_sel:DWORD dst_unused:UNUSED_PAD src0_sel:WORD_0 src1_sel:DWORD
	v_mul_u32_u24_sdwa v8, v8, s25 dst_sel:DWORD dst_unused:UNUSED_PAD src0_sel:WORD_1 src1_sel:DWORD
	v_mul_u32_u24_sdwa v23, v9, s25 dst_sel:DWORD dst_unused:UNUSED_PAD src0_sel:WORD_0 src1_sel:DWORD
	v_mul_u32_u24_sdwa v9, v9, s25 dst_sel:DWORD dst_unused:UNUSED_PAD src0_sel:WORD_1 src1_sel:DWORD
	v_mul_u32_u24_sdwa v24, v10, s25 dst_sel:DWORD dst_unused:UNUSED_PAD src0_sel:WORD_0 src1_sel:DWORD
	v_mul_u32_u24_sdwa v10, v10, s25 dst_sel:DWORD dst_unused:UNUSED_PAD src0_sel:WORD_1 src1_sel:DWORD
	v_mul_u32_u24_sdwa v25, v11, s25 dst_sel:DWORD dst_unused:UNUSED_PAD src0_sel:WORD_0 src1_sel:DWORD
	v_mul_u32_u24_sdwa v11, v11, s25 dst_sel:DWORD dst_unused:UNUSED_PAD src0_sel:WORD_1 src1_sel:DWORD
	v_pk_fma_f16 v20, v12, v22, v20
	v_pk_fma_f16 v18, v12, v8, v18
	v_pk_fma_f16 v14, v12, v23, v14
	v_pk_fma_f16 v15, v12, v9, v15
	v_pk_fma_f16 v17, v12, v24, v17
	v_pk_fma_f16 v19, v12, v10, v19
	v_pk_fma_f16 v16, v12, v25, v16
	v_pk_fma_f16 v12, v12, v11, v21
	ds_read_b128 v[8:11], v83 offset:656
	s_waitcnt lgkmcnt(0)
	v_mul_u32_u24_sdwa v21, v8, s25 dst_sel:DWORD dst_unused:UNUSED_PAD src0_sel:WORD_0 src1_sel:DWORD
	v_mul_u32_u24_sdwa v8, v8, s25 dst_sel:DWORD dst_unused:UNUSED_PAD src0_sel:WORD_1 src1_sel:DWORD
	v_mul_u32_u24_sdwa v22, v9, s25 dst_sel:DWORD dst_unused:UNUSED_PAD src0_sel:WORD_0 src1_sel:DWORD
	v_mul_u32_u24_sdwa v9, v9, s25 dst_sel:DWORD dst_unused:UNUSED_PAD src0_sel:WORD_1 src1_sel:DWORD
	v_mul_u32_u24_sdwa v23, v10, s25 dst_sel:DWORD dst_unused:UNUSED_PAD src0_sel:WORD_0 src1_sel:DWORD
	v_mul_u32_u24_sdwa v10, v10, s25 dst_sel:DWORD dst_unused:UNUSED_PAD src0_sel:WORD_1 src1_sel:DWORD
	v_mul_u32_u24_sdwa v24, v11, s25 dst_sel:DWORD dst_unused:UNUSED_PAD src0_sel:WORD_0 src1_sel:DWORD
	v_mul_u32_u24_sdwa v11, v11, s25 dst_sel:DWORD dst_unused:UNUSED_PAD src0_sel:WORD_1 src1_sel:DWORD
	v_pk_fma_f16 v20, v13, v21, v20
	v_pk_fma_f16 v18, v13, v8, v18
	v_pk_fma_f16 v14, v13, v22, v14
	v_pk_fma_f16 v15, v13, v9, v15
	v_pk_fma_f16 v17, v13, v23, v17
	v_pk_fma_f16 v19, v13, v10, v19
	v_pk_fma_f16 v16, v13, v24, v16
	v_pk_fma_f16 v21, v13, v11, v12
	ds_read2_b32 v[12:13], v92 offset0:64 offset1:96
	ds_read_b128 v[8:11], v83 offset:672
	s_waitcnt lgkmcnt(0)
	v_mul_u32_u24_sdwa v22, v8, s25 dst_sel:DWORD dst_unused:UNUSED_PAD src0_sel:WORD_0 src1_sel:DWORD
	v_mul_u32_u24_sdwa v8, v8, s25 dst_sel:DWORD dst_unused:UNUSED_PAD src0_sel:WORD_1 src1_sel:DWORD
	v_mul_u32_u24_sdwa v23, v9, s25 dst_sel:DWORD dst_unused:UNUSED_PAD src0_sel:WORD_0 src1_sel:DWORD
	v_mul_u32_u24_sdwa v9, v9, s25 dst_sel:DWORD dst_unused:UNUSED_PAD src0_sel:WORD_1 src1_sel:DWORD
	v_mul_u32_u24_sdwa v24, v10, s25 dst_sel:DWORD dst_unused:UNUSED_PAD src0_sel:WORD_0 src1_sel:DWORD
	v_mul_u32_u24_sdwa v10, v10, s25 dst_sel:DWORD dst_unused:UNUSED_PAD src0_sel:WORD_1 src1_sel:DWORD
	v_mul_u32_u24_sdwa v25, v11, s25 dst_sel:DWORD dst_unused:UNUSED_PAD src0_sel:WORD_0 src1_sel:DWORD
	v_mul_u32_u24_sdwa v11, v11, s25 dst_sel:DWORD dst_unused:UNUSED_PAD src0_sel:WORD_1 src1_sel:DWORD
	v_pk_fma_f16 v20, v12, v22, v20
	v_pk_fma_f16 v18, v12, v8, v18
	v_pk_fma_f16 v14, v12, v23, v14
	v_pk_fma_f16 v15, v12, v9, v15
	v_pk_fma_f16 v17, v12, v24, v17
	v_pk_fma_f16 v19, v12, v10, v19
	v_pk_fma_f16 v16, v12, v25, v16
	v_pk_fma_f16 v12, v12, v11, v21
	ds_read_b128 v[8:11], v83 offset:688
	s_waitcnt lgkmcnt(0)
	v_mul_u32_u24_sdwa v21, v8, s25 dst_sel:DWORD dst_unused:UNUSED_PAD src0_sel:WORD_0 src1_sel:DWORD
	v_mul_u32_u24_sdwa v8, v8, s25 dst_sel:DWORD dst_unused:UNUSED_PAD src0_sel:WORD_1 src1_sel:DWORD
	v_mul_u32_u24_sdwa v22, v9, s25 dst_sel:DWORD dst_unused:UNUSED_PAD src0_sel:WORD_0 src1_sel:DWORD
	v_mul_u32_u24_sdwa v9, v9, s25 dst_sel:DWORD dst_unused:UNUSED_PAD src0_sel:WORD_1 src1_sel:DWORD
	v_mul_u32_u24_sdwa v23, v10, s25 dst_sel:DWORD dst_unused:UNUSED_PAD src0_sel:WORD_0 src1_sel:DWORD
	v_mul_u32_u24_sdwa v10, v10, s25 dst_sel:DWORD dst_unused:UNUSED_PAD src0_sel:WORD_1 src1_sel:DWORD
	v_mul_u32_u24_sdwa v24, v11, s25 dst_sel:DWORD dst_unused:UNUSED_PAD src0_sel:WORD_0 src1_sel:DWORD
	v_mul_u32_u24_sdwa v11, v11, s25 dst_sel:DWORD dst_unused:UNUSED_PAD src0_sel:WORD_1 src1_sel:DWORD
	v_pk_fma_f16 v20, v13, v21, v20
	v_pk_fma_f16 v18, v13, v8, v18
	v_pk_fma_f16 v14, v13, v22, v14
	v_pk_fma_f16 v15, v13, v9, v15
	v_pk_fma_f16 v17, v13, v23, v17
	v_pk_fma_f16 v19, v13, v10, v19
	v_pk_fma_f16 v16, v13, v24, v16
	v_pk_fma_f16 v21, v13, v11, v12
	ds_read2_b32 v[12:13], v92 offset0:128 offset1:160
	;; [unrolled: 37-line block ×3, first 2 shown]
	ds_read_b128 v[8:11], v83 offset:736
	s_waitcnt lgkmcnt(0)
	v_mul_u32_u24_sdwa v22, v8, s25 dst_sel:DWORD dst_unused:UNUSED_PAD src0_sel:WORD_0 src1_sel:DWORD
	v_mul_u32_u24_sdwa v8, v8, s25 dst_sel:DWORD dst_unused:UNUSED_PAD src0_sel:WORD_1 src1_sel:DWORD
	v_mul_u32_u24_sdwa v23, v9, s25 dst_sel:DWORD dst_unused:UNUSED_PAD src0_sel:WORD_0 src1_sel:DWORD
	v_mul_u32_u24_sdwa v9, v9, s25 dst_sel:DWORD dst_unused:UNUSED_PAD src0_sel:WORD_1 src1_sel:DWORD
	;; [unrolled: 2-line block ×4, first 2 shown]
	v_pk_fma_f16 v20, v12, v22, v20
	v_pk_fma_f16 v18, v12, v8, v18
	;; [unrolled: 1-line block ×8, first 2 shown]
	ds_read_b128 v[8:11], v83 offset:752
	s_waitcnt lgkmcnt(0)
	v_mul_u32_u24_sdwa v21, v8, s25 dst_sel:DWORD dst_unused:UNUSED_PAD src0_sel:WORD_0 src1_sel:DWORD
	v_mul_u32_u24_sdwa v8, v8, s25 dst_sel:DWORD dst_unused:UNUSED_PAD src0_sel:WORD_1 src1_sel:DWORD
	v_mul_u32_u24_sdwa v22, v9, s25 dst_sel:DWORD dst_unused:UNUSED_PAD src0_sel:WORD_0 src1_sel:DWORD
	v_mul_u32_u24_sdwa v9, v9, s25 dst_sel:DWORD dst_unused:UNUSED_PAD src0_sel:WORD_1 src1_sel:DWORD
	;; [unrolled: 2-line block ×4, first 2 shown]
	v_pk_fma_f16 v20, v13, v21, v20
	v_pk_fma_f16 v18, v13, v8, v18
	;; [unrolled: 1-line block ×8, first 2 shown]
	ds_read2_b32 v[12:13], v93 offset1:32
	ds_read_b128 v[8:11], v83 offset:768
	s_waitcnt lgkmcnt(0)
	v_mul_u32_u24_sdwa v22, v8, s25 dst_sel:DWORD dst_unused:UNUSED_PAD src0_sel:WORD_0 src1_sel:DWORD
	v_mul_u32_u24_sdwa v8, v8, s25 dst_sel:DWORD dst_unused:UNUSED_PAD src0_sel:WORD_1 src1_sel:DWORD
	v_mul_u32_u24_sdwa v23, v9, s25 dst_sel:DWORD dst_unused:UNUSED_PAD src0_sel:WORD_0 src1_sel:DWORD
	v_mul_u32_u24_sdwa v9, v9, s25 dst_sel:DWORD dst_unused:UNUSED_PAD src0_sel:WORD_1 src1_sel:DWORD
	v_mul_u32_u24_sdwa v24, v10, s25 dst_sel:DWORD dst_unused:UNUSED_PAD src0_sel:WORD_0 src1_sel:DWORD
	v_mul_u32_u24_sdwa v10, v10, s25 dst_sel:DWORD dst_unused:UNUSED_PAD src0_sel:WORD_1 src1_sel:DWORD
	v_mul_u32_u24_sdwa v25, v11, s25 dst_sel:DWORD dst_unused:UNUSED_PAD src0_sel:WORD_0 src1_sel:DWORD
	v_mul_u32_u24_sdwa v11, v11, s25 dst_sel:DWORD dst_unused:UNUSED_PAD src0_sel:WORD_1 src1_sel:DWORD
	v_pk_fma_f16 v20, v12, v22, v20
	v_pk_fma_f16 v18, v12, v8, v18
	v_pk_fma_f16 v14, v12, v23, v14
	v_pk_fma_f16 v15, v12, v9, v15
	v_pk_fma_f16 v17, v12, v24, v17
	v_pk_fma_f16 v19, v12, v10, v19
	v_pk_fma_f16 v16, v12, v25, v16
	v_pk_fma_f16 v12, v12, v11, v21
	ds_read_b128 v[8:11], v83 offset:784
	s_waitcnt lgkmcnt(0)
	v_mul_u32_u24_sdwa v21, v8, s25 dst_sel:DWORD dst_unused:UNUSED_PAD src0_sel:WORD_0 src1_sel:DWORD
	v_mul_u32_u24_sdwa v8, v8, s25 dst_sel:DWORD dst_unused:UNUSED_PAD src0_sel:WORD_1 src1_sel:DWORD
	v_mul_u32_u24_sdwa v22, v9, s25 dst_sel:DWORD dst_unused:UNUSED_PAD src0_sel:WORD_0 src1_sel:DWORD
	v_mul_u32_u24_sdwa v9, v9, s25 dst_sel:DWORD dst_unused:UNUSED_PAD src0_sel:WORD_1 src1_sel:DWORD
	v_mul_u32_u24_sdwa v23, v10, s25 dst_sel:DWORD dst_unused:UNUSED_PAD src0_sel:WORD_0 src1_sel:DWORD
	v_mul_u32_u24_sdwa v10, v10, s25 dst_sel:DWORD dst_unused:UNUSED_PAD src0_sel:WORD_1 src1_sel:DWORD
	v_mul_u32_u24_sdwa v24, v11, s25 dst_sel:DWORD dst_unused:UNUSED_PAD src0_sel:WORD_0 src1_sel:DWORD
	v_mul_u32_u24_sdwa v11, v11, s25 dst_sel:DWORD dst_unused:UNUSED_PAD src0_sel:WORD_1 src1_sel:DWORD
	v_pk_fma_f16 v20, v13, v21, v20
	v_pk_fma_f16 v18, v13, v8, v18
	v_pk_fma_f16 v14, v13, v22, v14
	v_pk_fma_f16 v15, v13, v9, v15
	v_pk_fma_f16 v17, v13, v23, v17
	v_pk_fma_f16 v19, v13, v10, v19
	v_pk_fma_f16 v16, v13, v24, v16
	v_pk_fma_f16 v21, v13, v11, v12
	ds_read2_b32 v[12:13], v93 offset0:64 offset1:96
	ds_read_b128 v[8:11], v83 offset:800
	s_waitcnt lgkmcnt(0)
	v_mul_u32_u24_sdwa v22, v8, s25 dst_sel:DWORD dst_unused:UNUSED_PAD src0_sel:WORD_0 src1_sel:DWORD
	v_mul_u32_u24_sdwa v8, v8, s25 dst_sel:DWORD dst_unused:UNUSED_PAD src0_sel:WORD_1 src1_sel:DWORD
	v_mul_u32_u24_sdwa v23, v9, s25 dst_sel:DWORD dst_unused:UNUSED_PAD src0_sel:WORD_0 src1_sel:DWORD
	v_mul_u32_u24_sdwa v9, v9, s25 dst_sel:DWORD dst_unused:UNUSED_PAD src0_sel:WORD_1 src1_sel:DWORD
	v_mul_u32_u24_sdwa v24, v10, s25 dst_sel:DWORD dst_unused:UNUSED_PAD src0_sel:WORD_0 src1_sel:DWORD
	v_mul_u32_u24_sdwa v10, v10, s25 dst_sel:DWORD dst_unused:UNUSED_PAD src0_sel:WORD_1 src1_sel:DWORD
	v_mul_u32_u24_sdwa v25, v11, s25 dst_sel:DWORD dst_unused:UNUSED_PAD src0_sel:WORD_0 src1_sel:DWORD
	v_mul_u32_u24_sdwa v11, v11, s25 dst_sel:DWORD dst_unused:UNUSED_PAD src0_sel:WORD_1 src1_sel:DWORD
	v_pk_fma_f16 v20, v12, v22, v20
	v_pk_fma_f16 v18, v12, v8, v18
	v_pk_fma_f16 v14, v12, v23, v14
	v_pk_fma_f16 v15, v12, v9, v15
	v_pk_fma_f16 v17, v12, v24, v17
	v_pk_fma_f16 v19, v12, v10, v19
	v_pk_fma_f16 v16, v12, v25, v16
	v_pk_fma_f16 v12, v12, v11, v21
	ds_read_b128 v[8:11], v83 offset:816
	s_waitcnt lgkmcnt(0)
	v_mul_u32_u24_sdwa v21, v8, s25 dst_sel:DWORD dst_unused:UNUSED_PAD src0_sel:WORD_0 src1_sel:DWORD
	v_mul_u32_u24_sdwa v8, v8, s25 dst_sel:DWORD dst_unused:UNUSED_PAD src0_sel:WORD_1 src1_sel:DWORD
	v_mul_u32_u24_sdwa v22, v9, s25 dst_sel:DWORD dst_unused:UNUSED_PAD src0_sel:WORD_0 src1_sel:DWORD
	v_mul_u32_u24_sdwa v9, v9, s25 dst_sel:DWORD dst_unused:UNUSED_PAD src0_sel:WORD_1 src1_sel:DWORD
	v_mul_u32_u24_sdwa v23, v10, s25 dst_sel:DWORD dst_unused:UNUSED_PAD src0_sel:WORD_0 src1_sel:DWORD
	v_mul_u32_u24_sdwa v10, v10, s25 dst_sel:DWORD dst_unused:UNUSED_PAD src0_sel:WORD_1 src1_sel:DWORD
	v_mul_u32_u24_sdwa v24, v11, s25 dst_sel:DWORD dst_unused:UNUSED_PAD src0_sel:WORD_0 src1_sel:DWORD
	v_mul_u32_u24_sdwa v11, v11, s25 dst_sel:DWORD dst_unused:UNUSED_PAD src0_sel:WORD_1 src1_sel:DWORD
	v_pk_fma_f16 v20, v13, v21, v20
	v_pk_fma_f16 v18, v13, v8, v18
	v_pk_fma_f16 v14, v13, v22, v14
	v_pk_fma_f16 v15, v13, v9, v15
	v_pk_fma_f16 v17, v13, v23, v17
	v_pk_fma_f16 v19, v13, v10, v19
	v_pk_fma_f16 v16, v13, v24, v16
	v_pk_fma_f16 v21, v13, v11, v12
	ds_read2_b32 v[12:13], v93 offset0:128 offset1:160
	;; [unrolled: 37-line block ×3, first 2 shown]
	ds_read_b128 v[8:11], v83 offset:864
	s_waitcnt lgkmcnt(0)
	v_mul_u32_u24_sdwa v22, v8, s25 dst_sel:DWORD dst_unused:UNUSED_PAD src0_sel:WORD_0 src1_sel:DWORD
	v_mul_u32_u24_sdwa v8, v8, s25 dst_sel:DWORD dst_unused:UNUSED_PAD src0_sel:WORD_1 src1_sel:DWORD
	v_mul_u32_u24_sdwa v23, v9, s25 dst_sel:DWORD dst_unused:UNUSED_PAD src0_sel:WORD_0 src1_sel:DWORD
	v_mul_u32_u24_sdwa v9, v9, s25 dst_sel:DWORD dst_unused:UNUSED_PAD src0_sel:WORD_1 src1_sel:DWORD
	;; [unrolled: 2-line block ×4, first 2 shown]
	v_pk_fma_f16 v20, v12, v22, v20
	v_pk_fma_f16 v18, v12, v8, v18
	;; [unrolled: 1-line block ×8, first 2 shown]
	ds_read_b128 v[8:11], v83 offset:880
	s_waitcnt lgkmcnt(0)
	v_mul_u32_u24_sdwa v21, v8, s25 dst_sel:DWORD dst_unused:UNUSED_PAD src0_sel:WORD_0 src1_sel:DWORD
	v_mul_u32_u24_sdwa v8, v8, s25 dst_sel:DWORD dst_unused:UNUSED_PAD src0_sel:WORD_1 src1_sel:DWORD
	v_mul_u32_u24_sdwa v22, v9, s25 dst_sel:DWORD dst_unused:UNUSED_PAD src0_sel:WORD_0 src1_sel:DWORD
	v_mul_u32_u24_sdwa v9, v9, s25 dst_sel:DWORD dst_unused:UNUSED_PAD src0_sel:WORD_1 src1_sel:DWORD
	;; [unrolled: 2-line block ×4, first 2 shown]
	v_pk_fma_f16 v20, v13, v21, v20
	v_pk_fma_f16 v18, v13, v8, v18
	;; [unrolled: 1-line block ×8, first 2 shown]
	ds_read2_b32 v[12:13], v94 offset1:32
	ds_read_b128 v[8:11], v83 offset:896
	s_waitcnt lgkmcnt(0)
	v_mul_u32_u24_sdwa v22, v8, s25 dst_sel:DWORD dst_unused:UNUSED_PAD src0_sel:WORD_0 src1_sel:DWORD
	v_mul_u32_u24_sdwa v8, v8, s25 dst_sel:DWORD dst_unused:UNUSED_PAD src0_sel:WORD_1 src1_sel:DWORD
	v_mul_u32_u24_sdwa v23, v9, s25 dst_sel:DWORD dst_unused:UNUSED_PAD src0_sel:WORD_0 src1_sel:DWORD
	v_mul_u32_u24_sdwa v9, v9, s25 dst_sel:DWORD dst_unused:UNUSED_PAD src0_sel:WORD_1 src1_sel:DWORD
	v_mul_u32_u24_sdwa v24, v10, s25 dst_sel:DWORD dst_unused:UNUSED_PAD src0_sel:WORD_0 src1_sel:DWORD
	v_mul_u32_u24_sdwa v10, v10, s25 dst_sel:DWORD dst_unused:UNUSED_PAD src0_sel:WORD_1 src1_sel:DWORD
	v_mul_u32_u24_sdwa v25, v11, s25 dst_sel:DWORD dst_unused:UNUSED_PAD src0_sel:WORD_0 src1_sel:DWORD
	v_mul_u32_u24_sdwa v11, v11, s25 dst_sel:DWORD dst_unused:UNUSED_PAD src0_sel:WORD_1 src1_sel:DWORD
	v_pk_fma_f16 v20, v12, v22, v20
	v_pk_fma_f16 v18, v12, v8, v18
	v_pk_fma_f16 v14, v12, v23, v14
	v_pk_fma_f16 v15, v12, v9, v15
	v_pk_fma_f16 v17, v12, v24, v17
	v_pk_fma_f16 v19, v12, v10, v19
	v_pk_fma_f16 v16, v12, v25, v16
	v_pk_fma_f16 v12, v12, v11, v21
	ds_read_b128 v[8:11], v83 offset:912
	s_waitcnt lgkmcnt(0)
	v_mul_u32_u24_sdwa v21, v8, s25 dst_sel:DWORD dst_unused:UNUSED_PAD src0_sel:WORD_0 src1_sel:DWORD
	v_mul_u32_u24_sdwa v8, v8, s25 dst_sel:DWORD dst_unused:UNUSED_PAD src0_sel:WORD_1 src1_sel:DWORD
	v_mul_u32_u24_sdwa v22, v9, s25 dst_sel:DWORD dst_unused:UNUSED_PAD src0_sel:WORD_0 src1_sel:DWORD
	v_mul_u32_u24_sdwa v9, v9, s25 dst_sel:DWORD dst_unused:UNUSED_PAD src0_sel:WORD_1 src1_sel:DWORD
	v_mul_u32_u24_sdwa v23, v10, s25 dst_sel:DWORD dst_unused:UNUSED_PAD src0_sel:WORD_0 src1_sel:DWORD
	v_mul_u32_u24_sdwa v10, v10, s25 dst_sel:DWORD dst_unused:UNUSED_PAD src0_sel:WORD_1 src1_sel:DWORD
	v_mul_u32_u24_sdwa v24, v11, s25 dst_sel:DWORD dst_unused:UNUSED_PAD src0_sel:WORD_0 src1_sel:DWORD
	v_mul_u32_u24_sdwa v11, v11, s25 dst_sel:DWORD dst_unused:UNUSED_PAD src0_sel:WORD_1 src1_sel:DWORD
	v_pk_fma_f16 v20, v13, v21, v20
	v_pk_fma_f16 v18, v13, v8, v18
	v_pk_fma_f16 v14, v13, v22, v14
	v_pk_fma_f16 v15, v13, v9, v15
	v_pk_fma_f16 v17, v13, v23, v17
	v_pk_fma_f16 v19, v13, v10, v19
	v_pk_fma_f16 v16, v13, v24, v16
	v_pk_fma_f16 v21, v13, v11, v12
	ds_read2_b32 v[12:13], v94 offset0:64 offset1:96
	ds_read_b128 v[8:11], v83 offset:928
	s_waitcnt lgkmcnt(0)
	v_mul_u32_u24_sdwa v22, v8, s25 dst_sel:DWORD dst_unused:UNUSED_PAD src0_sel:WORD_0 src1_sel:DWORD
	v_mul_u32_u24_sdwa v8, v8, s25 dst_sel:DWORD dst_unused:UNUSED_PAD src0_sel:WORD_1 src1_sel:DWORD
	v_mul_u32_u24_sdwa v23, v9, s25 dst_sel:DWORD dst_unused:UNUSED_PAD src0_sel:WORD_0 src1_sel:DWORD
	v_mul_u32_u24_sdwa v9, v9, s25 dst_sel:DWORD dst_unused:UNUSED_PAD src0_sel:WORD_1 src1_sel:DWORD
	v_mul_u32_u24_sdwa v24, v10, s25 dst_sel:DWORD dst_unused:UNUSED_PAD src0_sel:WORD_0 src1_sel:DWORD
	v_mul_u32_u24_sdwa v10, v10, s25 dst_sel:DWORD dst_unused:UNUSED_PAD src0_sel:WORD_1 src1_sel:DWORD
	v_mul_u32_u24_sdwa v25, v11, s25 dst_sel:DWORD dst_unused:UNUSED_PAD src0_sel:WORD_0 src1_sel:DWORD
	v_mul_u32_u24_sdwa v11, v11, s25 dst_sel:DWORD dst_unused:UNUSED_PAD src0_sel:WORD_1 src1_sel:DWORD
	v_pk_fma_f16 v20, v12, v22, v20
	v_pk_fma_f16 v18, v12, v8, v18
	v_pk_fma_f16 v14, v12, v23, v14
	v_pk_fma_f16 v15, v12, v9, v15
	v_pk_fma_f16 v17, v12, v24, v17
	v_pk_fma_f16 v19, v12, v10, v19
	v_pk_fma_f16 v16, v12, v25, v16
	v_pk_fma_f16 v12, v12, v11, v21
	ds_read_b128 v[8:11], v83 offset:944
	s_waitcnt lgkmcnt(0)
	v_mul_u32_u24_sdwa v21, v8, s25 dst_sel:DWORD dst_unused:UNUSED_PAD src0_sel:WORD_0 src1_sel:DWORD
	v_mul_u32_u24_sdwa v8, v8, s25 dst_sel:DWORD dst_unused:UNUSED_PAD src0_sel:WORD_1 src1_sel:DWORD
	v_mul_u32_u24_sdwa v22, v9, s25 dst_sel:DWORD dst_unused:UNUSED_PAD src0_sel:WORD_0 src1_sel:DWORD
	v_mul_u32_u24_sdwa v9, v9, s25 dst_sel:DWORD dst_unused:UNUSED_PAD src0_sel:WORD_1 src1_sel:DWORD
	v_mul_u32_u24_sdwa v23, v10, s25 dst_sel:DWORD dst_unused:UNUSED_PAD src0_sel:WORD_0 src1_sel:DWORD
	v_mul_u32_u24_sdwa v10, v10, s25 dst_sel:DWORD dst_unused:UNUSED_PAD src0_sel:WORD_1 src1_sel:DWORD
	v_mul_u32_u24_sdwa v24, v11, s25 dst_sel:DWORD dst_unused:UNUSED_PAD src0_sel:WORD_0 src1_sel:DWORD
	v_mul_u32_u24_sdwa v11, v11, s25 dst_sel:DWORD dst_unused:UNUSED_PAD src0_sel:WORD_1 src1_sel:DWORD
	v_pk_fma_f16 v20, v13, v21, v20
	v_pk_fma_f16 v18, v13, v8, v18
	v_pk_fma_f16 v14, v13, v22, v14
	v_pk_fma_f16 v15, v13, v9, v15
	v_pk_fma_f16 v17, v13, v23, v17
	v_pk_fma_f16 v19, v13, v10, v19
	v_pk_fma_f16 v16, v13, v24, v16
	v_pk_fma_f16 v21, v13, v11, v12
	ds_read2_b32 v[12:13], v94 offset0:128 offset1:160
	;; [unrolled: 37-line block ×3, first 2 shown]
	ds_read_b128 v[8:11], v83 offset:992
	s_waitcnt lgkmcnt(0)
	v_mul_u32_u24_sdwa v14, v8, s25 dst_sel:DWORD dst_unused:UNUSED_PAD src0_sel:WORD_0 src1_sel:DWORD
	v_mul_u32_u24_sdwa v8, v8, s25 dst_sel:DWORD dst_unused:UNUSED_PAD src0_sel:WORD_1 src1_sel:DWORD
	v_mul_u32_u24_sdwa v16, v9, s25 dst_sel:DWORD dst_unused:UNUSED_PAD src0_sel:WORD_0 src1_sel:DWORD
	v_mul_u32_u24_sdwa v9, v9, s25 dst_sel:DWORD dst_unused:UNUSED_PAD src0_sel:WORD_1 src1_sel:DWORD
	;; [unrolled: 2-line block ×4, first 2 shown]
	v_pk_fma_f16 v14, v12, v14, v20
	v_pk_fma_f16 v15, v12, v8, v18
	;; [unrolled: 1-line block ×8, first 2 shown]
	ds_read_b128 v[8:11], v83 offset:1008
	s_waitcnt lgkmcnt(0)
	s_barrier
	s_load_dword s6, s[4:5], 0x4
	v_mul_u32_u24_sdwa v21, v8, s25 dst_sel:DWORD dst_unused:UNUSED_PAD src0_sel:WORD_0 src1_sel:DWORD
	v_mul_u32_u24_sdwa v8, v8, s25 dst_sel:DWORD dst_unused:UNUSED_PAD src0_sel:WORD_1 src1_sel:DWORD
	v_mul_u32_u24_sdwa v22, v9, s25 dst_sel:DWORD dst_unused:UNUSED_PAD src0_sel:WORD_0 src1_sel:DWORD
	v_mul_u32_u24_sdwa v9, v9, s25 dst_sel:DWORD dst_unused:UNUSED_PAD src0_sel:WORD_1 src1_sel:DWORD
	s_waitcnt lgkmcnt(0)
	s_lshl_b32 s6, s6, 6
	v_mul_u32_u24_sdwa v23, v10, s25 dst_sel:DWORD dst_unused:UNUSED_PAD src0_sel:WORD_0 src1_sel:DWORD
	v_mul_u32_u24_sdwa v10, v10, s25 dst_sel:DWORD dst_unused:UNUSED_PAD src0_sel:WORD_1 src1_sel:DWORD
	v_mul_u32_u24_sdwa v24, v11, s25 dst_sel:DWORD dst_unused:UNUSED_PAD src0_sel:WORD_0 src1_sel:DWORD
	v_mul_u32_u24_sdwa v11, v11, s25 dst_sel:DWORD dst_unused:UNUSED_PAD src0_sel:WORD_1 src1_sel:DWORD
	s_add_i32 s2, s6, s2
	v_pk_fma_f16 v102, v13, v21, v14
	v_pk_fma_f16 v101, v13, v8, v15
	;; [unrolled: 1-line block ×8, first 2 shown]
	s_cmp_ge_i32 s2, s30
	s_cbranch_scc0 .LBB17_9
.LBB17_10:
	v_cmp_lt_i32_e32 vcc, v74, v70
	s_cmp_lg_u64 s[12:13], 0
	s_cselect_b64 s[4:5], -1, 0
	v_cndmask_b32_e32 v8, v69, v74, vcc
	v_lshlrev_b32_e32 v17, 2, v8
	ds_bpermute_b32 v12, v17, v44
	ds_bpermute_b32 v13, v17, v45
	v_cmp_lt_i32_e32 vcc, v75, v70
	ds_bpermute_b32 v8, v17, v46
	ds_bpermute_b32 v9, v17, v47
	v_cndmask_b32_e32 v10, v69, v75, vcc
	v_cmp_lt_i32_e32 vcc, v73, v70
	v_lshlrev_b32_e32 v23, 2, v10
	s_waitcnt lgkmcnt(2)
	v_pk_add_f32 v[12:13], v[44:45], v[12:13]
	v_cndmask_b32_e32 v10, v69, v73, vcc
	v_cmp_lt_i32_e32 vcc, v72, v70
	ds_bpermute_b32 v15, v23, v13
	v_lshlrev_b32_e32 v24, 2, v10
	v_cndmask_b32_e32 v14, v69, v72, vcc
	v_lshlrev_b32_e32 v25, 2, v14
	ds_bpermute_b32 v14, v23, v12
	ds_bpermute_b32 v18, v17, v40
	;; [unrolled: 1-line block ×3, first 2 shown]
	s_waitcnt lgkmcnt(4)
	v_pk_add_f32 v[8:9], v[46:47], v[8:9]
	v_cmp_lt_i32_e32 vcc, v71, v70
	s_waitcnt lgkmcnt(2)
	v_pk_add_f32 v[12:13], v[12:13], v[14:15]
	ds_bpermute_b32 v14, v24, v12
	ds_bpermute_b32 v15, v24, v13
	s_waitcnt lgkmcnt(2)
	v_pk_add_f32 v[18:19], v[40:41], v[18:19]
	ds_bpermute_b32 v10, v23, v8
	ds_bpermute_b32 v11, v23, v9
	v_cndmask_b32_e32 v16, v69, v71, vcc
	s_waitcnt lgkmcnt(2)
	v_pk_add_f32 v[12:13], v[12:13], v[14:15]
	ds_bpermute_b32 v14, v17, v42
	ds_bpermute_b32 v15, v17, v43
	;; [unrolled: 1-line block ×3, first 2 shown]
	v_lshlrev_b32_e32 v27, 2, v16
	ds_bpermute_b32 v16, v25, v12
	ds_bpermute_b32 v17, v25, v13
	s_waitcnt lgkmcnt(3)
	v_pk_add_f32 v[14:15], v[42:43], v[14:15]
	ds_bpermute_b32 v20, v23, v14
	ds_bpermute_b32 v21, v23, v15
	;; [unrolled: 1-line block ×3, first 2 shown]
	v_pk_add_f32 v[8:9], v[8:9], v[10:11]
	ds_bpermute_b32 v10, v24, v8
	ds_bpermute_b32 v11, v24, v9
	s_waitcnt lgkmcnt(3)
	v_pk_add_f32 v[14:15], v[14:15], v[20:21]
	s_waitcnt lgkmcnt(2)
	v_pk_add_f32 v[18:19], v[18:19], v[22:23]
	v_pk_add_f32 v[12:13], v[12:13], v[16:17]
	ds_bpermute_b32 v16, v24, v14
	ds_bpermute_b32 v17, v24, v15
	;; [unrolled: 1-line block ×4, first 2 shown]
	s_waitcnt lgkmcnt(4)
	v_pk_add_f32 v[8:9], v[8:9], v[10:11]
	ds_bpermute_b32 v10, v25, v8
	s_waitcnt lgkmcnt(3)
	v_pk_add_f32 v[14:15], v[14:15], v[16:17]
	ds_bpermute_b32 v11, v25, v9
	s_waitcnt lgkmcnt(2)
	v_pk_add_f32 v[18:19], v[18:19], v[20:21]
	ds_bpermute_b32 v16, v25, v14
	ds_bpermute_b32 v17, v25, v15
	ds_bpermute_b32 v20, v25, v18
	;; [unrolled: 1-line block ×3, first 2 shown]
	s_waitcnt lgkmcnt(4)
	v_pk_add_f32 v[8:9], v[8:9], v[10:11]
	ds_bpermute_b32 v10, v27, v8
	s_waitcnt lgkmcnt(3)
	v_pk_add_f32 v[14:15], v[14:15], v[16:17]
	ds_bpermute_b32 v11, v27, v9
	;; [unrolled: 3-line block ×3, first 2 shown]
	ds_bpermute_b32 v23, v27, v13
	ds_bpermute_b32 v16, v27, v14
	;; [unrolled: 1-line block ×5, first 2 shown]
	s_cmp_eq_u32 s3, 0
	s_cselect_b64 s[6:7], -1, 0
	s_and_b64 s[4:5], s[6:7], s[4:5]
	v_lshlrev_b32_e32 v26, 1, v67
	s_waitcnt lgkmcnt(6)
	v_pk_add_f32 v[24:25], v[8:9], v[10:11]
	s_waitcnt lgkmcnt(4)
	v_pk_add_f32 v[22:23], v[12:13], v[22:23]
	;; [unrolled: 2-line block ×4, first 2 shown]
	s_and_b64 vcc, exec, s[4:5]
	s_cbranch_vccz .LBB17_12
; %bb.11:
	s_ashr_i32 s29, s28, 31
	s_lshl_b64 s[4:5], s[28:29], 2
	s_add_u32 s4, s12, s4
	s_addc_u32 s5, s13, s5
	v_mov_b32_e32 v8, 0
	global_load_dwordx4 v[14:17], v8, s[4:5]
	v_max_f32_e32 v8, v0, v0
	v_max_f32_e32 v9, v1, v1
	s_mov_b32 s5, 0x3fb8aa3b
	v_max_f32_e32 v10, v2, v2
	s_mov_b32 s2, 0xc2ce8ed0
	s_mov_b32 s4, 0x42b17218
	v_mov_b32_e32 v27, 0x7f800000
	s_waitcnt vmcnt(0)
	v_max_f32_e32 v12, v14, v14
	v_max_f32_e32 v8, v8, v12
	;; [unrolled: 1-line block ×3, first 2 shown]
	v_sub_f32_e32 v0, v0, v8
	v_max_f32_e32 v9, v9, v13
	v_sub_f32_e32 v11, v14, v8
	v_mul_f32_e32 v28, 0x3fb8aa3b, v0
	v_max_f32_e32 v33, v16, v16
	v_sub_f32_e32 v1, v1, v9
	v_mul_f32_e32 v31, 0x3fb8aa3b, v11
	v_fma_f32 v37, v0, s5, -v28
	v_rndne_f32_e32 v38, v28
	v_max_f32_e32 v10, v10, v33
	v_sub_f32_e32 v29, v15, v9
	v_mul_f32_e32 v32, 0x3fb8aa3b, v1
	v_fma_f32 v39, v11, s5, -v31
	v_rndne_f32_e32 v40, v31
	v_fmac_f32_e32 v37, 0x32a5705f, v0
	v_sub_f32_e32 v28, v28, v38
	v_sub_f32_e32 v2, v2, v10
	v_mul_f32_e32 v34, 0x3fb8aa3b, v29
	v_fma_f32 v41, v1, s5, -v32
	v_rndne_f32_e32 v42, v32
	v_fmac_f32_e32 v39, 0x32a5705f, v11
	v_sub_f32_e32 v31, v31, v40
	v_add_f32_e32 v28, v28, v37
	v_mul_f32_e32 v35, 0x3fb8aa3b, v2
	v_fma_f32 v43, v29, s5, -v34
	v_rndne_f32_e32 v44, v34
	v_cvt_i32_f32_e32 v38, v38
	v_fmac_f32_e32 v41, 0x32a5705f, v1
	v_sub_f32_e32 v32, v32, v42
	v_add_f32_e32 v31, v31, v39
	v_exp_f32_e32 v28, v28
	v_fma_f32 v45, v2, s5, -v35
	v_rndne_f32_e32 v46, v35
	v_cvt_i32_f32_e32 v40, v40
	v_fmac_f32_e32 v43, 0x32a5705f, v29
	v_sub_f32_e32 v34, v34, v44
	v_add_f32_e32 v32, v32, v41
	v_exp_f32_e32 v31, v31
	v_cvt_i32_f32_e32 v42, v42
	v_fmac_f32_e32 v45, 0x32a5705f, v2
	v_sub_f32_e32 v35, v35, v46
	v_add_f32_e32 v34, v34, v43
	v_exp_f32_e32 v32, v32
	v_cvt_i32_f32_e32 v44, v44
	v_add_f32_e32 v35, v35, v45
	v_exp_f32_e32 v34, v34
	v_cvt_i32_f32_e32 v46, v46
	v_exp_f32_e32 v35, v35
	v_ldexp_f32 v28, v28, v38
	v_cmp_ngt_f32_e32 vcc, s2, v0
	v_ldexp_f32 v31, v31, v40
	v_ldexp_f32 v32, v32, v42
	v_cndmask_b32_e32 v28, 0, v28, vcc
	v_cmp_ngt_f32_e32 vcc, s2, v11
	v_ldexp_f32 v34, v34, v44
	v_sub_f32_e32 v30, v16, v10
	v_cndmask_b32_e32 v31, 0, v31, vcc
	v_cmp_ngt_f32_e32 vcc, s2, v1
	v_ldexp_f32 v35, v35, v46
	v_mul_f32_e32 v36, 0x3fb8aa3b, v30
	v_cndmask_b32_e32 v32, 0, v32, vcc
	v_cmp_ngt_f32_e32 vcc, s2, v29
	v_fma_f32 v47, v30, s5, -v36
	v_rndne_f32_e32 v48, v36
	v_cndmask_b32_e32 v34, 0, v34, vcc
	v_cmp_ngt_f32_e32 vcc, s2, v2
	v_fmac_f32_e32 v47, 0x32a5705f, v30
	v_sub_f32_e32 v36, v36, v48
	v_cndmask_b32_e32 v35, 0, v35, vcc
	v_cmp_nlt_f32_e32 vcc, s4, v0
	v_add_f32_e32 v36, v36, v47
	v_cvt_i32_f32_e32 v48, v48
	v_cndmask_b32_e32 v0, v27, v28, vcc
	v_cmp_nlt_f32_e32 vcc, s4, v11
	v_cvt_f16_f32_e32 v11, v0
	v_exp_f32_e32 v36, v36
	v_cndmask_b32_e32 v28, v27, v31, vcc
	v_cmp_nlt_f32_e32 vcc, s4, v1
	v_mul_u32_u24_e32 v11, 0x10001, v11
	v_pk_mul_f16 v102, v102, v11
	v_cndmask_b32_e32 v1, v27, v32, vcc
	v_cvt_f16_f32_e32 v31, v1
	v_cmp_nlt_f32_e32 vcc, s4, v29
	v_ldexp_f32 v11, v36, v48
	v_mul_u32_u24_e32 v31, 0x10001, v31
	v_cndmask_b32_e32 v29, v27, v34, vcc
	v_cmp_nlt_f32_e32 vcc, s4, v2
	v_pk_mul_f16 v101, v101, v31
	v_max_f32_e32 v34, v17, v17
	v_cndmask_b32_e32 v2, v27, v35, vcc
	v_cmp_ngt_f32_e32 vcc, s2, v30
	v_cvt_f16_f32_e32 v32, v2
	v_pk_fma_f32 v[24:25], v[24:25], v[0:1], v[28:29]
	v_cndmask_b32_e32 v31, 0, v11, vcc
	v_max_f32_e32 v11, v3, v3
	v_max_f32_e32 v11, v11, v34
	v_sub_f32_e32 v3, v3, v11
	v_mul_f32_e32 v35, 0x3fb8aa3b, v3
	v_fma_f32 v36, v3, s5, -v35
	v_rndne_f32_e32 v37, v35
	v_fmac_f32_e32 v36, 0x32a5705f, v3
	v_sub_f32_e32 v35, v35, v37
	v_add_f32_e32 v35, v35, v36
	v_exp_f32_e32 v35, v35
	v_cvt_i32_f32_e32 v36, v37
	v_cmp_nlt_f32_e32 vcc, s4, v30
	s_nop 1
	v_cndmask_b32_e32 v30, v27, v31, vcc
	v_mul_u32_u24_e32 v31, 0x10001, v32
	v_sub_f32_e32 v32, v17, v11
	v_pk_mul_f16 v100, v100, v31
	v_ldexp_f32 v31, v35, v36
	v_mul_f32_e32 v35, 0x3fb8aa3b, v32
	v_fma_f32 v36, v32, s5, -v35
	v_rndne_f32_e32 v37, v35
	v_fmac_f32_e32 v36, 0x32a5705f, v32
	v_sub_f32_e32 v35, v35, v37
	v_add_f32_e32 v35, v35, v36
	v_exp_f32_e32 v35, v35
	v_cvt_i32_f32_e32 v36, v37
	v_cmp_ngt_f32_e32 vcc, s2, v3
	s_nop 1
	v_cndmask_b32_e32 v31, 0, v31, vcc
	v_cmp_nlt_f32_e32 vcc, s4, v3
	s_nop 1
	v_cndmask_b32_e32 v3, v27, v31, vcc
	v_ldexp_f32 v31, v35, v36
	v_max_f32_e32 v36, v4, v4
	v_max_f32_e32 v12, v36, v12
	v_sub_f32_e32 v4, v4, v12
	v_mul_f32_e32 v36, 0x3fb8aa3b, v4
	v_fma_f32 v37, v4, s5, -v36
	v_rndne_f32_e32 v38, v36
	v_fmac_f32_e32 v37, 0x32a5705f, v4
	v_sub_f32_e32 v36, v36, v38
	v_cvt_f16_f32_e32 v35, v3
	v_add_f32_e32 v36, v36, v37
	v_exp_f32_e32 v36, v36
	v_cvt_i32_f32_e32 v37, v38
	v_cmp_ngt_f32_e32 vcc, s2, v32
	v_sub_f32_e32 v14, v14, v12
	s_nop 0
	v_cndmask_b32_e32 v31, 0, v31, vcc
	v_cmp_nlt_f32_e32 vcc, s4, v32
	v_mul_u32_u24_e32 v32, 0x10001, v35
	v_mul_f32_e32 v35, 0x3fb8aa3b, v14
	v_pk_mul_f16 v99, v99, v32
	v_ldexp_f32 v32, v36, v37
	v_fma_f32 v36, v14, s5, -v35
	v_rndne_f32_e32 v37, v35
	v_fmac_f32_e32 v36, 0x32a5705f, v14
	v_sub_f32_e32 v35, v35, v37
	v_add_f32_e32 v35, v35, v36
	v_exp_f32_e32 v35, v35
	v_cvt_i32_f32_e32 v36, v37
	v_cndmask_b32_e32 v31, v27, v31, vcc
	v_cmp_ngt_f32_e32 vcc, s2, v4
	v_pk_fma_f32 v[22:23], v[22:23], v[2:3], v[30:31]
	s_nop 0
	v_cndmask_b32_e32 v32, 0, v32, vcc
	v_cmp_nlt_f32_e32 vcc, s4, v4
	s_nop 1
	v_cndmask_b32_e32 v4, v27, v32, vcc
	v_ldexp_f32 v32, v35, v36
	v_max_f32_e32 v36, v5, v5
	v_max_f32_e32 v13, v36, v13
	v_sub_f32_e32 v5, v5, v13
	v_mul_f32_e32 v36, 0x3fb8aa3b, v5
	v_fma_f32 v37, v5, s5, -v36
	v_rndne_f32_e32 v38, v36
	v_fmac_f32_e32 v37, 0x32a5705f, v5
	v_sub_f32_e32 v36, v36, v38
	v_cvt_f16_f32_e32 v35, v4
	v_add_f32_e32 v36, v36, v37
	v_exp_f32_e32 v36, v36
	v_cvt_i32_f32_e32 v37, v38
	v_cmp_ngt_f32_e32 vcc, s2, v14
	v_sub_f32_e32 v15, v15, v13
	s_nop 0
	v_cndmask_b32_e32 v32, 0, v32, vcc
	v_cmp_nlt_f32_e32 vcc, s4, v14
	v_mul_u32_u24_e32 v14, 0x10001, v35
	v_mul_f32_e32 v35, 0x3fb8aa3b, v15
	v_pk_mul_f16 v98, v98, v14
	v_ldexp_f32 v14, v36, v37
	v_fma_f32 v36, v15, s5, -v35
	v_rndne_f32_e32 v37, v35
	v_fmac_f32_e32 v36, 0x32a5705f, v15
	v_sub_f32_e32 v35, v35, v37
	v_add_f32_e32 v35, v35, v36
	v_exp_f32_e32 v35, v35
	v_cvt_i32_f32_e32 v36, v37
	v_cndmask_b32_e32 v32, v27, v32, vcc
	v_cmp_ngt_f32_e32 vcc, s2, v5
	s_nop 1
	v_cndmask_b32_e32 v14, 0, v14, vcc
	v_cmp_nlt_f32_e32 vcc, s4, v5
	s_nop 1
	v_cndmask_b32_e32 v5, v27, v14, vcc
	v_ldexp_f32 v14, v35, v36
	v_cmp_ngt_f32_e32 vcc, s2, v15
	v_cvt_f16_f32_e32 v36, v5
	s_nop 0
	v_cndmask_b32_e32 v35, 0, v14, vcc
	v_max_f32_e32 v14, v6, v6
	v_max_f32_e32 v14, v14, v33
	v_sub_f32_e32 v6, v6, v14
	v_mul_f32_e32 v33, 0x3fb8aa3b, v6
	v_fma_f32 v37, v6, s5, -v33
	v_rndne_f32_e32 v38, v33
	v_fmac_f32_e32 v37, 0x32a5705f, v6
	v_sub_f32_e32 v33, v33, v38
	v_add_f32_e32 v33, v33, v37
	v_exp_f32_e32 v37, v33
	v_cvt_i32_f32_e32 v38, v38
	v_cmp_nlt_f32_e32 vcc, s4, v15
	v_sub_f32_e32 v16, v16, v14
	v_mul_u32_u24_e32 v15, 0x10001, v36
	v_cndmask_b32_e32 v33, v27, v35, vcc
	v_mul_f32_e32 v35, 0x3fb8aa3b, v16
	v_pk_mul_f16 v97, v97, v15
	v_ldexp_f32 v15, v37, v38
	v_fma_f32 v36, v16, s5, -v35
	v_rndne_f32_e32 v37, v35
	v_fmac_f32_e32 v36, 0x32a5705f, v16
	v_sub_f32_e32 v35, v35, v37
	v_add_f32_e32 v35, v35, v36
	v_exp_f32_e32 v35, v35
	v_cvt_i32_f32_e32 v36, v37
	v_cmp_ngt_f32_e32 vcc, s2, v6
	v_pk_fma_f32 v[20:21], v[20:21], v[4:5], v[32:33]
	s_nop 0
	v_cndmask_b32_e32 v15, 0, v15, vcc
	v_cmp_nlt_f32_e32 vcc, s4, v6
	s_nop 1
	v_cndmask_b32_e32 v6, v27, v15, vcc
	v_ldexp_f32 v15, v35, v36
	v_cmp_ngt_f32_e32 vcc, s2, v16
	v_cvt_f16_f32_e32 v36, v6
	s_nop 0
	v_cndmask_b32_e32 v35, 0, v15, vcc
	v_max_f32_e32 v15, v7, v7
	v_max_f32_e32 v15, v15, v34
	v_sub_f32_e32 v7, v7, v15
	v_mul_f32_e32 v34, 0x3fb8aa3b, v7
	v_fma_f32 v37, v7, s5, -v34
	v_rndne_f32_e32 v38, v34
	v_fmac_f32_e32 v37, 0x32a5705f, v7
	v_sub_f32_e32 v34, v34, v38
	v_add_f32_e32 v34, v34, v37
	v_exp_f32_e32 v34, v34
	v_cvt_i32_f32_e32 v37, v38
	v_cmp_nlt_f32_e32 vcc, s4, v16
	v_sub_f32_e32 v17, v17, v15
	v_ldexp_f32 v34, v34, v37
	v_cndmask_b32_e32 v16, v27, v35, vcc
	v_mul_u32_u24_e32 v35, 0x10001, v36
	v_pk_mul_f16 v96, v96, v35
	v_mul_f32_e32 v35, 0x3fb8aa3b, v17
	v_fma_f32 v36, v17, s5, -v35
	v_rndne_f32_e32 v37, v35
	v_fmac_f32_e32 v36, 0x32a5705f, v17
	v_sub_f32_e32 v35, v35, v37
	v_add_f32_e32 v35, v35, v36
	v_cmp_ngt_f32_e32 vcc, s2, v7
	v_exp_f32_e32 v35, v35
	v_cvt_i32_f32_e32 v36, v37
	v_cndmask_b32_e32 v34, 0, v34, vcc
	v_cmp_nlt_f32_e32 vcc, s4, v7
	s_nop 1
	v_cndmask_b32_e32 v7, v27, v34, vcc
	v_cvt_f16_f32_e32 v0, v7
	v_ldexp_f32 v34, v35, v36
	v_cmp_ngt_f32_e32 vcc, s2, v17
	v_mul_u32_u24_e32 v0, 0x10001, v0
	s_nop 0
	v_cndmask_b32_e32 v34, 0, v34, vcc
	v_cmp_nlt_f32_e32 vcc, s4, v17
	v_pk_mul_f16 v95, v95, v0
	s_nop 0
	v_cndmask_b32_e32 v17, v27, v34, vcc
	v_pk_fma_f32 v[18:19], v[18:19], v[6:7], v[16:17]
	v_mov_b64_e32 v[0:1], v[8:9]
	v_mov_b64_e32 v[2:3], v[10:11]
	;; [unrolled: 1-line block ×4, first 2 shown]
.LBB17_12:
	v_cmp_gt_i32_e32 vcc, s22, v68
	s_and_saveexec_b64 s[4:5], vcc
	s_cbranch_execz .LBB17_49
; %bb.13:
	s_load_dword s2, s[0:1], 0xd4
	v_mov_b32_e32 v8, 1.0
	s_waitcnt lgkmcnt(0)
	s_cmp_lg_u32 s2, 1
	s_cselect_b64 s[0:1], -1, 0
	s_cmp_eq_u32 s2, 1
	s_cselect_b64 s[6:7], -1, 0
	s_and_b64 vcc, exec, s[0:1]
	s_cbranch_vccnz .LBB17_15
; %bb.14:
	v_div_scale_f32 v8, s[4:5], v24, v24, 1.0
	v_rcp_f32_e32 v9, v8
	v_div_scale_f32 v10, vcc, 1.0, v24, 1.0
	v_fma_f32 v11, -v8, v9, 1.0
	v_fmac_f32_e32 v9, v11, v9
	v_mul_f32_e32 v11, v10, v9
	v_fma_f32 v12, -v8, v11, v10
	v_fmac_f32_e32 v11, v12, v9
	v_fma_f32 v8, -v8, v11, v10
	v_div_fmas_f32 v8, v8, v9, v11
	v_div_fixup_f32 v8, v8, v24, 1.0
.LBB17_15:
	s_mul_i32 s8, s33, s22
	s_add_i32 s8, s8, s31
	v_add_u32_e32 v9, s8, v66
	v_mul_lo_u32 v12, v9, s23
	v_add_u32_e32 v9, s28, v12
	v_cvt_f32_f16_sdwa v15, v102 dst_sel:DWORD dst_unused:UNUSED_PAD src0_sel:WORD_1
	v_cvt_f32_f16_e32 v14, v102
	v_mul_lo_u32 v9, s2, v9
	v_add_u32_e32 v10, s3, v9
	v_cmp_eq_u32_e32 vcc, 0, v67
	v_lshl_add_u32 v16, v10, 6, v26
	v_mov_b32_e32 v17, 0
	v_lshl_add_u64 v[16:17], v[16:17], 2, s[16:17]
	v_pk_mul_f32 v[8:9], v[8:9], v[14:15] op_sel_hi:[0,1]
	s_and_b64 s[4:5], vcc, s[0:1]
	global_store_dwordx2 v[16:17], v[8:9], off
	s_and_saveexec_b64 s[0:1], s[4:5]
	s_cbranch_execz .LBB17_17
; %bb.16:
	v_ashrrev_i32_e32 v11, 31, v10
	v_lshl_add_u64 v[8:9], v[10:11], 3, s[18:19]
	v_mov_b32_e32 v10, v0
	v_mov_b32_e32 v11, v24
	global_store_dwordx2 v[8:9], v[10:11], off
.LBB17_17:
	s_or_b64 exec, exec, s[0:1]
	v_cndmask_b32_e64 v0, 0, 1, s[6:7]
	v_cmp_ne_u32_e64 s[0:1], 1, v0
	s_andn2_b64 vcc, exec, s[6:7]
	v_mov_b32_e32 v0, 1.0
	s_cbranch_vccnz .LBB17_19
; %bb.18:
	v_div_scale_f32 v0, s[6:7], v25, v25, 1.0
	v_rcp_f32_e32 v8, v0
	v_div_scale_f32 v9, vcc, 1.0, v25, 1.0
	v_fma_f32 v10, -v0, v8, 1.0
	v_fmac_f32_e32 v8, v10, v8
	v_mul_f32_e32 v10, v9, v8
	v_fma_f32 v11, -v0, v10, v9
	v_fmac_f32_e32 v10, v11, v8
	v_fma_f32 v0, -v0, v10, v9
	v_div_fmas_f32 v0, v0, v8, v10
	v_div_fixup_f32 v0, v0, v25, 1.0
.LBB17_19:
	s_add_i32 s11, s28, 1
	v_add_u32_e32 v8, s11, v12
	v_cvt_f32_f16_sdwa v11, v101 dst_sel:DWORD dst_unused:UNUSED_PAD src0_sel:WORD_1
	v_cvt_f32_f16_e32 v10, v101
	v_mul_lo_u32 v8, s2, v8
	v_add_u32_e32 v8, s3, v8
	v_lshl_add_u32 v14, v8, 6, v26
	v_mov_b32_e32 v15, 0
	v_lshl_add_u64 v[14:15], v[14:15], 2, s[16:17]
	v_pk_mul_f32 v[10:11], v[0:1], v[10:11] op_sel_hi:[0,1]
	global_store_dwordx2 v[14:15], v[10:11], off
	s_and_saveexec_b64 s[6:7], s[4:5]
	s_cbranch_execz .LBB17_21
; %bb.20:
	v_ashrrev_i32_e32 v9, 31, v8
	v_lshl_add_u64 v[8:9], v[8:9], 3, s[18:19]
	v_mov_b32_e32 v24, v1
	global_store_dwordx2 v[8:9], v[24:25], off
.LBB17_21:
	s_or_b64 exec, exec, s[6:7]
	s_and_b64 vcc, exec, s[0:1]
	v_mov_b32_e32 v8, 1.0
	s_cbranch_vccnz .LBB17_23
; %bb.22:
	v_div_scale_f32 v0, s[6:7], v22, v22, 1.0
	v_rcp_f32_e32 v1, v0
	v_div_scale_f32 v8, vcc, 1.0, v22, 1.0
	v_fma_f32 v9, -v0, v1, 1.0
	v_fmac_f32_e32 v1, v9, v1
	v_mul_f32_e32 v9, v8, v1
	v_fma_f32 v10, -v0, v9, v8
	v_fmac_f32_e32 v9, v10, v1
	v_fma_f32 v0, -v0, v9, v8
	v_div_fmas_f32 v0, v0, v1, v9
	v_div_fixup_f32 v8, v0, v22, 1.0
.LBB17_23:
	s_add_i32 s10, s28, 2
	v_add_u32_e32 v0, s10, v12
	v_cvt_f32_f16_sdwa v11, v100 dst_sel:DWORD dst_unused:UNUSED_PAD src0_sel:WORD_1
	v_cvt_f32_f16_e32 v10, v100
	v_mul_lo_u32 v0, s2, v0
	v_add_u32_e32 v0, s3, v0
	v_lshl_add_u32 v14, v0, 6, v26
	v_mov_b32_e32 v15, 0
	v_lshl_add_u64 v[14:15], v[14:15], 2, s[16:17]
	v_pk_mul_f32 v[8:9], v[8:9], v[10:11] op_sel_hi:[0,1]
	global_store_dwordx2 v[14:15], v[8:9], off
	s_and_saveexec_b64 s[6:7], s[4:5]
	s_cbranch_execz .LBB17_25
; %bb.24:
	v_ashrrev_i32_e32 v1, 31, v0
	v_lshl_add_u64 v[0:1], v[0:1], 3, s[18:19]
	v_mov_b32_e32 v8, v2
	v_mov_b32_e32 v9, v22
	global_store_dwordx2 v[0:1], v[8:9], off
.LBB17_25:
	s_or_b64 exec, exec, s[6:7]
	s_and_b64 vcc, exec, s[0:1]
	v_mov_b32_e32 v2, 1.0
	s_cbranch_vccnz .LBB17_27
; %bb.26:
	v_div_scale_f32 v0, s[6:7], v23, v23, 1.0
	v_rcp_f32_e32 v1, v0
	v_div_scale_f32 v2, vcc, 1.0, v23, 1.0
	v_fma_f32 v8, -v0, v1, 1.0
	v_fmac_f32_e32 v1, v8, v1
	v_mul_f32_e32 v8, v2, v1
	v_fma_f32 v9, -v0, v8, v2
	v_fmac_f32_e32 v8, v9, v1
	v_fma_f32 v0, -v0, v8, v2
	v_div_fmas_f32 v0, v0, v1, v8
	v_div_fixup_f32 v2, v0, v23, 1.0
.LBB17_27:
	s_add_i32 s9, s28, 3
	v_add_u32_e32 v0, s9, v12
	v_cvt_f32_f16_sdwa v9, v99 dst_sel:DWORD dst_unused:UNUSED_PAD src0_sel:WORD_1
	v_cvt_f32_f16_e32 v8, v99
	v_mul_lo_u32 v0, s2, v0
	v_add_u32_e32 v0, s3, v0
	v_lshl_add_u32 v10, v0, 6, v26
	v_mov_b32_e32 v11, 0
	v_lshl_add_u64 v[10:11], v[10:11], 2, s[16:17]
	v_pk_mul_f32 v[8:9], v[2:3], v[8:9] op_sel_hi:[0,1]
	global_store_dwordx2 v[10:11], v[8:9], off
	s_and_saveexec_b64 s[6:7], s[4:5]
	s_cbranch_execz .LBB17_29
; %bb.28:
	v_ashrrev_i32_e32 v1, 31, v0
	v_lshl_add_u64 v[0:1], v[0:1], 3, s[18:19]
	v_mov_b32_e32 v22, v3
	global_store_dwordx2 v[0:1], v[22:23], off
.LBB17_29:
	s_or_b64 exec, exec, s[6:7]
	v_cmp_gt_i32_e32 vcc, s22, v65
	s_and_b64 exec, exec, vcc
	s_cbranch_execz .LBB17_49
; %bb.30:
	s_and_b64 vcc, exec, s[0:1]
	v_mov_b32_e32 v0, 1.0
	s_cbranch_vccnz .LBB17_32
; %bb.31:
	v_div_scale_f32 v0, s[6:7], v20, v20, 1.0
	v_rcp_f32_e32 v1, v0
	v_div_scale_f32 v2, vcc, 1.0, v20, 1.0
	v_fma_f32 v3, -v0, v1, 1.0
	v_fmac_f32_e32 v1, v3, v1
	v_mul_f32_e32 v3, v2, v1
	v_fma_f32 v8, -v0, v3, v2
	v_fmac_f32_e32 v3, v8, v1
	v_fma_f32 v0, -v0, v3, v2
	v_div_fmas_f32 v0, v0, v1, v3
	v_div_fixup_f32 v0, v0, v20, 1.0
.LBB17_32:
	v_add_u32_e32 v1, s8, v64
	v_mul_lo_u32 v1, v1, s23
	v_add_u32_e32 v1, s28, v1
	v_cvt_f32_f16_sdwa v9, v98 dst_sel:DWORD dst_unused:UNUSED_PAD src0_sel:WORD_1
	v_cvt_f32_f16_e32 v8, v98
	v_mul_lo_u32 v1, s2, v1
	v_add_u32_e32 v2, s3, v1
	v_lshl_add_u32 v10, v2, 6, v26
	v_mov_b32_e32 v11, 0
	v_lshl_add_u64 v[10:11], v[10:11], 2, s[16:17]
	v_pk_mul_f32 v[0:1], v[0:1], v[8:9] op_sel_hi:[0,1]
	global_store_dwordx2 v[10:11], v[0:1], off
	s_and_saveexec_b64 s[6:7], s[4:5]
	s_cbranch_execz .LBB17_34
; %bb.33:
	v_ashrrev_i32_e32 v3, 31, v2
	v_lshl_add_u64 v[0:1], v[2:3], 3, s[18:19]
	v_mov_b32_e32 v2, v4
	v_mov_b32_e32 v3, v20
	global_store_dwordx2 v[0:1], v[2:3], off
.LBB17_34:
	s_or_b64 exec, exec, s[6:7]
	v_cmp_gt_i32_e32 vcc, s22, v63
	s_and_b64 exec, exec, vcc
	s_cbranch_execz .LBB17_49
; %bb.35:
	s_and_b64 vcc, exec, s[0:1]
	v_mov_b32_e32 v0, 1.0
	s_cbranch_vccnz .LBB17_37
; %bb.36:
	v_div_scale_f32 v0, s[6:7], v21, v21, 1.0
	v_rcp_f32_e32 v1, v0
	v_div_scale_f32 v2, vcc, 1.0, v21, 1.0
	v_fma_f32 v3, -v0, v1, 1.0
	v_fmac_f32_e32 v1, v3, v1
	v_mul_f32_e32 v3, v2, v1
	v_fma_f32 v4, -v0, v3, v2
	v_fmac_f32_e32 v3, v4, v1
	v_fma_f32 v0, -v0, v3, v2
	v_div_fmas_f32 v0, v0, v1, v3
	v_div_fixup_f32 v0, v0, v21, 1.0
.LBB17_37:
	v_add_u32_e32 v1, s8, v62
	v_mul_lo_u32 v1, v1, s23
	v_add_u32_e32 v1, s11, v1
	v_cvt_f32_f16_sdwa v9, v97 dst_sel:DWORD dst_unused:UNUSED_PAD src0_sel:WORD_1
	v_cvt_f32_f16_e32 v8, v97
	v_mul_lo_u32 v1, s2, v1
	v_add_u32_e32 v2, s3, v1
	v_lshl_add_u32 v10, v2, 6, v26
	v_mov_b32_e32 v11, 0
	v_lshl_add_u64 v[10:11], v[10:11], 2, s[16:17]
	v_pk_mul_f32 v[0:1], v[0:1], v[8:9] op_sel_hi:[0,1]
	global_store_dwordx2 v[10:11], v[0:1], off
	s_and_saveexec_b64 s[6:7], s[4:5]
	s_cbranch_execz .LBB17_39
; %bb.38:
	v_ashrrev_i32_e32 v3, 31, v2
	v_lshl_add_u64 v[0:1], v[2:3], 3, s[18:19]
	v_mov_b32_e32 v20, v5
	global_store_dwordx2 v[0:1], v[20:21], off
.LBB17_39:
	s_or_b64 exec, exec, s[6:7]
	v_cmp_gt_i32_e32 vcc, s22, v61
	s_and_b64 exec, exec, vcc
	s_cbranch_execz .LBB17_49
; %bb.40:
	s_and_b64 vcc, exec, s[0:1]
	v_mov_b32_e32 v0, 1.0
	s_cbranch_vccnz .LBB17_42
; %bb.41:
	v_div_scale_f32 v0, s[6:7], v18, v18, 1.0
	v_rcp_f32_e32 v1, v0
	v_div_scale_f32 v2, vcc, 1.0, v18, 1.0
	v_fma_f32 v3, -v0, v1, 1.0
	v_fmac_f32_e32 v1, v3, v1
	v_mul_f32_e32 v3, v2, v1
	v_fma_f32 v4, -v0, v3, v2
	v_fmac_f32_e32 v3, v4, v1
	v_fma_f32 v0, -v0, v3, v2
	v_div_fmas_f32 v0, v0, v1, v3
	v_div_fixup_f32 v0, v0, v18, 1.0
.LBB17_42:
	v_add_u32_e32 v1, s8, v60
	v_mul_lo_u32 v1, v1, s23
	v_add_u32_e32 v1, s10, v1
	v_cvt_f32_f16_sdwa v5, v96 dst_sel:DWORD dst_unused:UNUSED_PAD src0_sel:WORD_1
	v_cvt_f32_f16_e32 v4, v96
	v_mul_lo_u32 v1, s2, v1
	v_add_u32_e32 v2, s3, v1
	v_lshl_add_u32 v8, v2, 6, v26
	v_mov_b32_e32 v9, 0
	v_lshl_add_u64 v[8:9], v[8:9], 2, s[16:17]
	v_pk_mul_f32 v[0:1], v[0:1], v[4:5] op_sel_hi:[0,1]
	global_store_dwordx2 v[8:9], v[0:1], off
	s_and_saveexec_b64 s[6:7], s[4:5]
	s_cbranch_execz .LBB17_44
; %bb.43:
	v_ashrrev_i32_e32 v3, 31, v2
	v_lshl_add_u64 v[0:1], v[2:3], 3, s[18:19]
	v_mov_b32_e32 v2, v6
	v_mov_b32_e32 v3, v18
	global_store_dwordx2 v[0:1], v[2:3], off
.LBB17_44:
	s_or_b64 exec, exec, s[6:7]
	v_cmp_gt_i32_e32 vcc, s22, v59
	s_and_b64 exec, exec, vcc
	s_cbranch_execz .LBB17_49
; %bb.45:
	s_and_b64 vcc, exec, s[0:1]
	v_mov_b32_e32 v0, 1.0
	s_cbranch_vccnz .LBB17_47
; %bb.46:
	v_div_scale_f32 v0, s[0:1], v19, v19, 1.0
	v_rcp_f32_e32 v1, v0
	v_div_scale_f32 v2, vcc, 1.0, v19, 1.0
	v_fma_f32 v3, -v0, v1, 1.0
	v_fmac_f32_e32 v1, v3, v1
	v_mul_f32_e32 v3, v2, v1
	v_fma_f32 v4, -v0, v3, v2
	v_fmac_f32_e32 v3, v4, v1
	v_fma_f32 v0, -v0, v3, v2
	v_div_fmas_f32 v0, v0, v1, v3
	v_div_fixup_f32 v0, v0, v19, 1.0
.LBB17_47:
	v_add_u32_e32 v1, s8, v58
	v_mul_lo_u32 v1, v1, s23
	v_add_u32_e32 v1, s9, v1
	v_cvt_f32_f16_sdwa v5, v95 dst_sel:DWORD dst_unused:UNUSED_PAD src0_sel:WORD_1
	v_cvt_f32_f16_e32 v4, v95
	v_mul_lo_u32 v1, s2, v1
	v_add_u32_e32 v2, s3, v1
	v_lshl_add_u32 v8, v2, 6, v26
	v_mov_b32_e32 v9, 0
	v_lshl_add_u64 v[8:9], v[8:9], 2, s[16:17]
	v_pk_mul_f32 v[0:1], v[0:1], v[4:5] op_sel_hi:[0,1]
	global_store_dwordx2 v[8:9], v[0:1], off
	s_and_b64 exec, exec, s[4:5]
	s_cbranch_execz .LBB17_49
; %bb.48:
	v_ashrrev_i32_e32 v3, 31, v2
	v_lshl_add_u64 v[0:1], v[2:3], 3, s[18:19]
	v_mov_b32_e32 v18, v7
	global_store_dwordx2 v[0:1], v[18:19], off
.LBB17_49:
	s_endpgm
	.section	.rodata,"a",@progbits
	.p2align	6, 0x0
	.amdhsa_kernel _ZL15flash_attn_tileILi64ELi64ELi16ELi4ELb0EEvPKcS1_S1_S1_S1_PKiPfP15HIP_vector_typeIfLj2EEffffjfiS5_IjLj3EEiiiiiiiiiiiliiliiiiil
		.amdhsa_group_segment_fixed_size 25600
		.amdhsa_private_segment_fixed_size 0
		.amdhsa_kernarg_size 464
		.amdhsa_user_sgpr_count 2
		.amdhsa_user_sgpr_dispatch_ptr 0
		.amdhsa_user_sgpr_queue_ptr 0
		.amdhsa_user_sgpr_kernarg_segment_ptr 1
		.amdhsa_user_sgpr_dispatch_id 0
		.amdhsa_user_sgpr_kernarg_preload_length 0
		.amdhsa_user_sgpr_kernarg_preload_offset 0
		.amdhsa_user_sgpr_private_segment_size 0
		.amdhsa_uses_dynamic_stack 0
		.amdhsa_enable_private_segment 0
		.amdhsa_system_sgpr_workgroup_id_x 1
		.amdhsa_system_sgpr_workgroup_id_y 1
		.amdhsa_system_sgpr_workgroup_id_z 1
		.amdhsa_system_sgpr_workgroup_info 0
		.amdhsa_system_vgpr_workitem_id 1
		.amdhsa_next_free_vgpr 152
		.amdhsa_next_free_sgpr 91
		.amdhsa_accum_offset 152
		.amdhsa_reserve_vcc 1
		.amdhsa_float_round_mode_32 0
		.amdhsa_float_round_mode_16_64 0
		.amdhsa_float_denorm_mode_32 3
		.amdhsa_float_denorm_mode_16_64 3
		.amdhsa_dx10_clamp 1
		.amdhsa_ieee_mode 1
		.amdhsa_fp16_overflow 0
		.amdhsa_tg_split 0
		.amdhsa_exception_fp_ieee_invalid_op 0
		.amdhsa_exception_fp_denorm_src 0
		.amdhsa_exception_fp_ieee_div_zero 0
		.amdhsa_exception_fp_ieee_overflow 0
		.amdhsa_exception_fp_ieee_underflow 0
		.amdhsa_exception_fp_ieee_inexact 0
		.amdhsa_exception_int_div_zero 0
	.end_amdhsa_kernel
	.section	.text._ZL15flash_attn_tileILi64ELi64ELi16ELi4ELb0EEvPKcS1_S1_S1_S1_PKiPfP15HIP_vector_typeIfLj2EEffffjfiS5_IjLj3EEiiiiiiiiiiiliiliiiiil,"axG",@progbits,_ZL15flash_attn_tileILi64ELi64ELi16ELi4ELb0EEvPKcS1_S1_S1_S1_PKiPfP15HIP_vector_typeIfLj2EEffffjfiS5_IjLj3EEiiiiiiiiiiiliiliiiiil,comdat
.Lfunc_end17:
	.size	_ZL15flash_attn_tileILi64ELi64ELi16ELi4ELb0EEvPKcS1_S1_S1_S1_PKiPfP15HIP_vector_typeIfLj2EEffffjfiS5_IjLj3EEiiiiiiiiiiiliiliiiiil, .Lfunc_end17-_ZL15flash_attn_tileILi64ELi64ELi16ELi4ELb0EEvPKcS1_S1_S1_S1_PKiPfP15HIP_vector_typeIfLj2EEffffjfiS5_IjLj3EEiiiiiiiiiiiliiliiiiil
                                        ; -- End function
	.set _ZL15flash_attn_tileILi64ELi64ELi16ELi4ELb0EEvPKcS1_S1_S1_S1_PKiPfP15HIP_vector_typeIfLj2EEffffjfiS5_IjLj3EEiiiiiiiiiiiliiliiiiil.num_vgpr, 152
	.set _ZL15flash_attn_tileILi64ELi64ELi16ELi4ELb0EEvPKcS1_S1_S1_S1_PKiPfP15HIP_vector_typeIfLj2EEffffjfiS5_IjLj3EEiiiiiiiiiiiliiliiiiil.num_agpr, 0
	.set _ZL15flash_attn_tileILi64ELi64ELi16ELi4ELb0EEvPKcS1_S1_S1_S1_PKiPfP15HIP_vector_typeIfLj2EEffffjfiS5_IjLj3EEiiiiiiiiiiiliiliiiiil.numbered_sgpr, 46
	.set _ZL15flash_attn_tileILi64ELi64ELi16ELi4ELb0EEvPKcS1_S1_S1_S1_PKiPfP15HIP_vector_typeIfLj2EEffffjfiS5_IjLj3EEiiiiiiiiiiiliiliiiiil.num_named_barrier, 0
	.set _ZL15flash_attn_tileILi64ELi64ELi16ELi4ELb0EEvPKcS1_S1_S1_S1_PKiPfP15HIP_vector_typeIfLj2EEffffjfiS5_IjLj3EEiiiiiiiiiiiliiliiiiil.private_seg_size, 0
	.set _ZL15flash_attn_tileILi64ELi64ELi16ELi4ELb0EEvPKcS1_S1_S1_S1_PKiPfP15HIP_vector_typeIfLj2EEffffjfiS5_IjLj3EEiiiiiiiiiiiliiliiiiil.uses_vcc, 1
	.set _ZL15flash_attn_tileILi64ELi64ELi16ELi4ELb0EEvPKcS1_S1_S1_S1_PKiPfP15HIP_vector_typeIfLj2EEffffjfiS5_IjLj3EEiiiiiiiiiiiliiliiiiil.uses_flat_scratch, 0
	.set _ZL15flash_attn_tileILi64ELi64ELi16ELi4ELb0EEvPKcS1_S1_S1_S1_PKiPfP15HIP_vector_typeIfLj2EEffffjfiS5_IjLj3EEiiiiiiiiiiiliiliiiiil.has_dyn_sized_stack, 0
	.set _ZL15flash_attn_tileILi64ELi64ELi16ELi4ELb0EEvPKcS1_S1_S1_S1_PKiPfP15HIP_vector_typeIfLj2EEffffjfiS5_IjLj3EEiiiiiiiiiiiliiliiiiil.has_recursion, 0
	.set _ZL15flash_attn_tileILi64ELi64ELi16ELi4ELb0EEvPKcS1_S1_S1_S1_PKiPfP15HIP_vector_typeIfLj2EEffffjfiS5_IjLj3EEiiiiiiiiiiiliiliiiiil.has_indirect_call, 0
	.section	.AMDGPU.csdata,"",@progbits
; Kernel info:
; codeLenInByte = 29832
; TotalNumSgprs: 52
; NumVgprs: 152
; NumAgprs: 0
; TotalNumVgprs: 152
; ScratchSize: 0
; MemoryBound: 0
; FloatMode: 240
; IeeeMode: 1
; LDSByteSize: 25600 bytes/workgroup (compile time only)
; SGPRBlocks: 12
; VGPRBlocks: 18
; NumSGPRsForWavesPerEU: 97
; NumVGPRsForWavesPerEU: 152
; AccumOffset: 152
; Occupancy: 3
; WaveLimiterHint : 1
; COMPUTE_PGM_RSRC2:SCRATCH_EN: 0
; COMPUTE_PGM_RSRC2:USER_SGPR: 2
; COMPUTE_PGM_RSRC2:TRAP_HANDLER: 0
; COMPUTE_PGM_RSRC2:TGID_X_EN: 1
; COMPUTE_PGM_RSRC2:TGID_Y_EN: 1
; COMPUTE_PGM_RSRC2:TGID_Z_EN: 1
; COMPUTE_PGM_RSRC2:TIDIG_COMP_CNT: 1
; COMPUTE_PGM_RSRC3_GFX90A:ACCUM_OFFSET: 37
; COMPUTE_PGM_RSRC3_GFX90A:TG_SPLIT: 0
	.section	.text._ZL25flash_attn_mask_to_KV_maxILi16EEvPK7__half2Piiii,"axG",@progbits,_ZL25flash_attn_mask_to_KV_maxILi16EEvPK7__half2Piiii,comdat
	.globl	_ZL25flash_attn_mask_to_KV_maxILi16EEvPK7__half2Piiii ; -- Begin function _ZL25flash_attn_mask_to_KV_maxILi16EEvPK7__half2Piiii
	.p2align	8
	.type	_ZL25flash_attn_mask_to_KV_maxILi16EEvPK7__half2Piiii,@function
_ZL25flash_attn_mask_to_KV_maxILi16EEvPK7__half2Piiii: ; @_ZL25flash_attn_mask_to_KV_maxILi16EEvPK7__half2Piiii
; %bb.0:
	s_load_dwordx4 s[4:7], s[0:1], 0x0
	v_cmp_gt_u32_e32 vcc, 32, v0
	s_and_saveexec_b64 s[8:9], vcc
; %bb.1:
	v_lshlrev_b32_e32 v1, 2, v0
	v_mov_b32_e32 v2, 1
	ds_write_b32 v1, v2
; %bb.2:
	s_or_b64 exec, exec, s[8:9]
	s_load_dwordx4 s[8:11], s[0:1], 0x10
	s_load_dword s33, s[0:1], 0x20
	v_and_b32_e32 v2, 31, v0
	v_lshlrev_b32_e32 v6, 2, v2
	v_lshrrev_b32_e32 v1, 3, v0
	s_waitcnt lgkmcnt(0)
	s_mul_i32 s1, s2, s9
	s_mul_i32 s0, s10, s3
	s_lshl_b32 s1, s1, 4
	s_add_i32 s0, s0, s1
	s_ashr_i32 s1, s0, 31
	s_lshl_b64 s[0:1], s[0:1], 2
	s_add_u32 s10, s4, s0
	s_addc_u32 s11, s5, s1
	v_cmp_eq_u32_e64 s[0:1], 0, v2
	v_mbcnt_lo_u32_b32 v2, -1, 0
	s_lshl_b32 s8, s8, 8
	s_mov_b64 s[12:13], 0
	v_mov_b32_e32 v3, 0
	s_movk_i32 s74, 0x204
	v_mbcnt_hi_u32_b32 v7, -1, v2
	s_barrier
                                        ; implicit-def: $sgpr4_sgpr5
	s_branch .LBB18_5
.LBB18_3:                               ;   in Loop: Header=BB18_5 Depth=1
	s_or_b64 exec, exec, s[14:15]
	s_waitcnt lgkmcnt(0)
	s_barrier
	ds_read_b32 v10, v6
	s_waitcnt lgkmcnt(0)
	s_barrier
	ds_bpermute_b32 v2, v2, v10
	v_cmp_ne_u32_e32 vcc, 0, v10
	s_waitcnt lgkmcnt(0)
	v_cmp_ne_u32_e64 s[4:5], 0, v2
	s_and_b64 s[4:5], vcc, s[4:5]
	s_nop 0
	v_cndmask_b32_e64 v2, 0, 1, s[4:5]
	ds_bpermute_b32 v2, v4, v2
	s_waitcnt lgkmcnt(0)
	v_cmp_ne_u32_e32 vcc, 0, v2
	s_and_b64 s[4:5], vcc, s[4:5]
	v_cndmask_b32_e64 v2, 0, 1, s[4:5]
	ds_bpermute_b32 v2, v5, v2
	s_waitcnt lgkmcnt(0)
	v_cmp_ne_u32_e32 vcc, 0, v2
	s_and_b64 s[4:5], vcc, s[4:5]
	;; [unrolled: 5-line block ×3, first 2 shown]
	v_cndmask_b32_e64 v2, 0, 1, s[4:5]
	ds_bpermute_b32 v2, v9, v2
	s_xor_b64 s[4:5], s[4:5], -1
	s_waitcnt lgkmcnt(0)
	v_cmp_eq_u32_e32 vcc, 0, v2
	s_or_b64 s[4:5], vcc, s[4:5]
.LBB18_4:                               ;   in Loop: Header=BB18_5 Depth=1
	s_and_b64 s[14:15], exec, s[4:5]
	s_or_b64 s[12:13], s[14:15], s[12:13]
	v_mov_b32_e32 v2, s8
	s_mov_b32 s8, s75
	s_andn2_b64 exec, exec, s[12:13]
	s_cbranch_execz .LBB18_68
.LBB18_5:                               ; =>This Inner Loop Header: Depth=1
	s_add_i32 s75, s8, 0xffffff00
	s_or_b64 s[4:5], s[4:5], exec
	s_cmp_lt_i32 s75, 0
	s_cbranch_scc1 .LBB18_4
; %bb.6:                                ;   in Loop: Header=BB18_5 Depth=1
	s_lshr_b32 s4, s75, 1
	v_add_u32_e32 v2, s4, v0
	v_lshl_add_u64 v[4:5], v[2:3], 2, s[10:11]
	global_load_dword v4, v[4:5], off
	v_mov_b32_e32 v5, 0
	s_waitcnt vmcnt(0)
	v_cmp_class_f16_e64 s[4:5], v4, s74
	v_cmp_class_f16_sdwa s[14:15], v4, s74 src0_sel:WORD_1 src1_sel:DWORD
	s_and_b64 s[14:15], s[4:5], s[14:15]
	s_and_saveexec_b64 s[4:5], s[14:15]
	s_cbranch_execz .LBB18_66
; %bb.7:                                ;   in Loop: Header=BB18_5 Depth=1
	v_add_u32_e32 v4, s9, v2
	v_ashrrev_i32_e32 v5, 31, v4
	v_lshl_add_u64 v[8:9], v[4:5], 2, s[10:11]
	global_load_dword v2, v[8:9], off
	v_mov_b32_e32 v5, 0
	s_waitcnt vmcnt(0)
	v_cmp_class_f16_e64 s[16:17], v2, s74
	s_and_saveexec_b64 s[14:15], s[16:17]
	s_cbranch_execz .LBB18_65
; %bb.8:                                ;   in Loop: Header=BB18_5 Depth=1
	v_cmp_class_f16_sdwa s[18:19], v2, s74 src0_sel:WORD_1 src1_sel:DWORD
	v_mov_b32_e32 v5, 0
	s_and_saveexec_b64 s[16:17], s[18:19]
	s_cbranch_execz .LBB18_64
; %bb.9:                                ;   in Loop: Header=BB18_5 Depth=1
	v_add_u32_e32 v4, s9, v4
	v_ashrrev_i32_e32 v5, 31, v4
	v_lshl_add_u64 v[8:9], v[4:5], 2, s[10:11]
	global_load_dword v2, v[8:9], off
	v_mov_b32_e32 v5, 0
	s_waitcnt vmcnt(0)
	v_cmp_class_f16_e64 s[20:21], v2, s74
	s_and_saveexec_b64 s[18:19], s[20:21]
	s_cbranch_execz .LBB18_63
; %bb.10:                               ;   in Loop: Header=BB18_5 Depth=1
	v_cmp_class_f16_sdwa s[22:23], v2, s74 src0_sel:WORD_1 src1_sel:DWORD
	v_mov_b32_e32 v5, 0
	s_and_saveexec_b64 s[20:21], s[22:23]
	s_cbranch_execz .LBB18_62
; %bb.11:                               ;   in Loop: Header=BB18_5 Depth=1
	v_add_u32_e32 v4, s9, v4
	v_ashrrev_i32_e32 v5, 31, v4
	v_lshl_add_u64 v[8:9], v[4:5], 2, s[10:11]
	global_load_dword v2, v[8:9], off
	v_mov_b32_e32 v5, 0
	s_waitcnt vmcnt(0)
	v_cmp_class_f16_e64 s[24:25], v2, s74
	s_and_saveexec_b64 s[22:23], s[24:25]
	s_cbranch_execz .LBB18_61
; %bb.12:                               ;   in Loop: Header=BB18_5 Depth=1
	v_cmp_class_f16_sdwa s[26:27], v2, s74 src0_sel:WORD_1 src1_sel:DWORD
	v_mov_b32_e32 v5, 0
	s_and_saveexec_b64 s[24:25], s[26:27]
	s_cbranch_execz .LBB18_60
; %bb.13:                               ;   in Loop: Header=BB18_5 Depth=1
	;; [unrolled: 15-line block ×13, first 2 shown]
	v_add_u32_e32 v4, s9, v4
	v_ashrrev_i32_e32 v5, 31, v4
	v_lshl_add_u64 v[4:5], v[4:5], 2, s[10:11]
	global_load_dword v2, v[4:5], off
	v_mov_b32_e32 v5, 0
	s_waitcnt vmcnt(0)
	v_cmp_class_f16_e64 s[76:77], v2, s74
	s_and_saveexec_b64 s[72:73], s[76:77]
; %bb.36:                               ;   in Loop: Header=BB18_5 Depth=1
	v_cmp_class_f16_sdwa s[76:77], v2, s74 src0_sel:WORD_1 src1_sel:DWORD
	s_nop 1
	v_cndmask_b32_e64 v5, 0, 1, s[76:77]
; %bb.37:                               ;   in Loop: Header=BB18_5 Depth=1
	s_or_b64 exec, exec, s[72:73]
.LBB18_38:                              ;   in Loop: Header=BB18_5 Depth=1
	s_or_b64 exec, exec, s[70:71]
.LBB18_39:                              ;   in Loop: Header=BB18_5 Depth=1
	s_or_b64 exec, exec, s[68:69]
.LBB18_40:                              ;   in Loop: Header=BB18_5 Depth=1
	s_or_b64 exec, exec, s[66:67]
.LBB18_41:                              ;   in Loop: Header=BB18_5 Depth=1
	s_or_b64 exec, exec, s[64:65]
.LBB18_42:                              ;   in Loop: Header=BB18_5 Depth=1
	s_or_b64 exec, exec, s[62:63]
.LBB18_43:                              ;   in Loop: Header=BB18_5 Depth=1
	s_or_b64 exec, exec, s[60:61]
.LBB18_44:                              ;   in Loop: Header=BB18_5 Depth=1
	s_or_b64 exec, exec, s[58:59]
.LBB18_45:                              ;   in Loop: Header=BB18_5 Depth=1
	s_or_b64 exec, exec, s[56:57]
.LBB18_46:                              ;   in Loop: Header=BB18_5 Depth=1
	s_or_b64 exec, exec, s[54:55]
.LBB18_47:                              ;   in Loop: Header=BB18_5 Depth=1
	s_or_b64 exec, exec, s[52:53]
.LBB18_48:                              ;   in Loop: Header=BB18_5 Depth=1
	s_or_b64 exec, exec, s[50:51]
.LBB18_49:                              ;   in Loop: Header=BB18_5 Depth=1
	s_or_b64 exec, exec, s[48:49]
.LBB18_50:                              ;   in Loop: Header=BB18_5 Depth=1
	s_or_b64 exec, exec, s[46:47]
.LBB18_51:                              ;   in Loop: Header=BB18_5 Depth=1
	s_or_b64 exec, exec, s[44:45]
.LBB18_52:                              ;   in Loop: Header=BB18_5 Depth=1
	s_or_b64 exec, exec, s[42:43]
.LBB18_53:                              ;   in Loop: Header=BB18_5 Depth=1
	s_or_b64 exec, exec, s[40:41]
.LBB18_54:                              ;   in Loop: Header=BB18_5 Depth=1
	s_or_b64 exec, exec, s[38:39]
.LBB18_55:                              ;   in Loop: Header=BB18_5 Depth=1
	s_or_b64 exec, exec, s[36:37]
.LBB18_56:                              ;   in Loop: Header=BB18_5 Depth=1
	s_or_b64 exec, exec, s[34:35]
.LBB18_57:                              ;   in Loop: Header=BB18_5 Depth=1
	s_or_b64 exec, exec, s[30:31]
.LBB18_58:                              ;   in Loop: Header=BB18_5 Depth=1
	s_or_b64 exec, exec, s[28:29]
.LBB18_59:                              ;   in Loop: Header=BB18_5 Depth=1
	s_or_b64 exec, exec, s[26:27]
.LBB18_60:                              ;   in Loop: Header=BB18_5 Depth=1
	s_or_b64 exec, exec, s[24:25]
.LBB18_61:                              ;   in Loop: Header=BB18_5 Depth=1
	s_or_b64 exec, exec, s[22:23]
.LBB18_62:                              ;   in Loop: Header=BB18_5 Depth=1
	s_or_b64 exec, exec, s[20:21]
.LBB18_63:                              ;   in Loop: Header=BB18_5 Depth=1
	s_or_b64 exec, exec, s[18:19]
.LBB18_64:                              ;   in Loop: Header=BB18_5 Depth=1
	s_or_b64 exec, exec, s[16:17]
.LBB18_65:                              ;   in Loop: Header=BB18_5 Depth=1
	s_or_b64 exec, exec, s[14:15]
.LBB18_66:                              ;   in Loop: Header=BB18_5 Depth=1
	s_or_b64 exec, exec, s[4:5]
	v_and_b32_e32 v2, 0x60, v7
	v_add_u32_e32 v9, 32, v2
	v_xor_b32_e32 v2, 16, v7
	v_cmp_lt_i32_e32 vcc, v2, v9
	v_xor_b32_e32 v11, 1, v7
	s_nop 0
	v_cndmask_b32_e32 v2, v7, v2, vcc
	v_lshlrev_b32_e32 v2, 2, v2
	ds_bpermute_b32 v4, v2, v5
	v_cmp_ne_u32_e32 vcc, 0, v5
	s_waitcnt lgkmcnt(0)
	v_cmp_ne_u32_e64 s[4:5], 0, v4
	v_xor_b32_e32 v4, 8, v7
	s_and_b64 s[4:5], vcc, s[4:5]
	v_cmp_lt_i32_e32 vcc, v4, v9
	v_cndmask_b32_e64 v5, 0, 1, s[4:5]
	s_nop 0
	v_cndmask_b32_e32 v4, v7, v4, vcc
	v_lshlrev_b32_e32 v4, 2, v4
	ds_bpermute_b32 v5, v4, v5
	s_waitcnt lgkmcnt(0)
	v_cmp_ne_u32_e32 vcc, 0, v5
	v_xor_b32_e32 v5, 4, v7
	s_and_b64 s[4:5], vcc, s[4:5]
	v_cmp_lt_i32_e32 vcc, v5, v9
	v_cndmask_b32_e64 v8, 0, 1, s[4:5]
	s_nop 0
	v_cndmask_b32_e32 v5, v7, v5, vcc
	v_lshlrev_b32_e32 v5, 2, v5
	ds_bpermute_b32 v8, v5, v8
	s_waitcnt lgkmcnt(0)
	v_cmp_ne_u32_e32 vcc, 0, v8
	;; [unrolled: 10-line block ×3, first 2 shown]
	s_and_b64 s[4:5], vcc, s[4:5]
	v_cmp_lt_i32_e32 vcc, v11, v9
	v_cndmask_b32_e64 v10, 0, 1, s[4:5]
	s_nop 0
	v_cndmask_b32_e32 v9, v7, v11, vcc
	v_lshlrev_b32_e32 v9, 2, v9
	ds_bpermute_b32 v10, v9, v10
	s_and_saveexec_b64 s[14:15], s[0:1]
	s_cbranch_execz .LBB18_3
; %bb.67:                               ;   in Loop: Header=BB18_5 Depth=1
	s_waitcnt lgkmcnt(0)
	v_cmp_ne_u32_e32 vcc, 0, v10
	s_and_b64 s[4:5], vcc, s[4:5]
	v_cndmask_b32_e64 v10, 0, 1, s[4:5]
	ds_write_b32 v1, v10
	s_branch .LBB18_3
.LBB18_68:
	s_or_b64 exec, exec, s[12:13]
	v_cmp_eq_u32_e32 vcc, 0, v0
	s_and_saveexec_b64 s[0:1], vcc
	s_cbranch_execz .LBB18_70
; %bb.69:
	s_mul_i32 s0, s33, s3
	s_add_i32 s0, s0, s2
	s_ashr_i32 s1, s0, 31
	s_lshl_b64 s[0:1], s[0:1], 2
	s_add_u32 s0, s6, s0
	s_addc_u32 s1, s7, s1
	v_mov_b32_e32 v0, 0
	global_store_dword v0, v2, s[0:1]
.LBB18_70:
	s_endpgm
	.section	.rodata,"a",@progbits
	.p2align	6, 0x0
	.amdhsa_kernel _ZL25flash_attn_mask_to_KV_maxILi16EEvPK7__half2Piiii
		.amdhsa_group_segment_fixed_size 128
		.amdhsa_private_segment_fixed_size 0
		.amdhsa_kernarg_size 288
		.amdhsa_user_sgpr_count 2
		.amdhsa_user_sgpr_dispatch_ptr 0
		.amdhsa_user_sgpr_queue_ptr 0
		.amdhsa_user_sgpr_kernarg_segment_ptr 1
		.amdhsa_user_sgpr_dispatch_id 0
		.amdhsa_user_sgpr_kernarg_preload_length 0
		.amdhsa_user_sgpr_kernarg_preload_offset 0
		.amdhsa_user_sgpr_private_segment_size 0
		.amdhsa_uses_dynamic_stack 0
		.amdhsa_enable_private_segment 0
		.amdhsa_system_sgpr_workgroup_id_x 1
		.amdhsa_system_sgpr_workgroup_id_y 1
		.amdhsa_system_sgpr_workgroup_id_z 0
		.amdhsa_system_sgpr_workgroup_info 0
		.amdhsa_system_vgpr_workitem_id 0
		.amdhsa_next_free_vgpr 12
		.amdhsa_next_free_sgpr 78
		.amdhsa_accum_offset 12
		.amdhsa_reserve_vcc 1
		.amdhsa_float_round_mode_32 0
		.amdhsa_float_round_mode_16_64 0
		.amdhsa_float_denorm_mode_32 3
		.amdhsa_float_denorm_mode_16_64 3
		.amdhsa_dx10_clamp 1
		.amdhsa_ieee_mode 1
		.amdhsa_fp16_overflow 0
		.amdhsa_tg_split 0
		.amdhsa_exception_fp_ieee_invalid_op 0
		.amdhsa_exception_fp_denorm_src 0
		.amdhsa_exception_fp_ieee_div_zero 0
		.amdhsa_exception_fp_ieee_overflow 0
		.amdhsa_exception_fp_ieee_underflow 0
		.amdhsa_exception_fp_ieee_inexact 0
		.amdhsa_exception_int_div_zero 0
	.end_amdhsa_kernel
	.section	.text._ZL25flash_attn_mask_to_KV_maxILi16EEvPK7__half2Piiii,"axG",@progbits,_ZL25flash_attn_mask_to_KV_maxILi16EEvPK7__half2Piiii,comdat
.Lfunc_end18:
	.size	_ZL25flash_attn_mask_to_KV_maxILi16EEvPK7__half2Piiii, .Lfunc_end18-_ZL25flash_attn_mask_to_KV_maxILi16EEvPK7__half2Piiii
                                        ; -- End function
	.set _ZL25flash_attn_mask_to_KV_maxILi16EEvPK7__half2Piiii.num_vgpr, 12
	.set _ZL25flash_attn_mask_to_KV_maxILi16EEvPK7__half2Piiii.num_agpr, 0
	.set _ZL25flash_attn_mask_to_KV_maxILi16EEvPK7__half2Piiii.numbered_sgpr, 78
	.set _ZL25flash_attn_mask_to_KV_maxILi16EEvPK7__half2Piiii.num_named_barrier, 0
	.set _ZL25flash_attn_mask_to_KV_maxILi16EEvPK7__half2Piiii.private_seg_size, 0
	.set _ZL25flash_attn_mask_to_KV_maxILi16EEvPK7__half2Piiii.uses_vcc, 1
	.set _ZL25flash_attn_mask_to_KV_maxILi16EEvPK7__half2Piiii.uses_flat_scratch, 0
	.set _ZL25flash_attn_mask_to_KV_maxILi16EEvPK7__half2Piiii.has_dyn_sized_stack, 0
	.set _ZL25flash_attn_mask_to_KV_maxILi16EEvPK7__half2Piiii.has_recursion, 0
	.set _ZL25flash_attn_mask_to_KV_maxILi16EEvPK7__half2Piiii.has_indirect_call, 0
	.section	.AMDGPU.csdata,"",@progbits
; Kernel info:
; codeLenInByte = 1900
; TotalNumSgprs: 84
; NumVgprs: 12
; NumAgprs: 0
; TotalNumVgprs: 12
; ScratchSize: 0
; MemoryBound: 0
; FloatMode: 240
; IeeeMode: 1
; LDSByteSize: 128 bytes/workgroup (compile time only)
; SGPRBlocks: 10
; VGPRBlocks: 1
; NumSGPRsForWavesPerEU: 84
; NumVGPRsForWavesPerEU: 12
; AccumOffset: 12
; Occupancy: 8
; WaveLimiterHint : 0
; COMPUTE_PGM_RSRC2:SCRATCH_EN: 0
; COMPUTE_PGM_RSRC2:USER_SGPR: 2
; COMPUTE_PGM_RSRC2:TRAP_HANDLER: 0
; COMPUTE_PGM_RSRC2:TGID_X_EN: 1
; COMPUTE_PGM_RSRC2:TGID_Y_EN: 1
; COMPUTE_PGM_RSRC2:TGID_Z_EN: 0
; COMPUTE_PGM_RSRC2:TIDIG_COMP_CNT: 0
; COMPUTE_PGM_RSRC3_GFX90A:ACCUM_OFFSET: 2
; COMPUTE_PGM_RSRC3_GFX90A:TG_SPLIT: 0
	.section	.text._ZL33flash_attn_stream_k_fixup_uniformILi64ELi16ELi4EEvPfPK15HIP_vector_typeIfLj2EEiiiiiiS1_IjLj3EES5_S5_,"axG",@progbits,_ZL33flash_attn_stream_k_fixup_uniformILi64ELi16ELi4EEvPfPK15HIP_vector_typeIfLj2EEiiiiiiS1_IjLj3EES5_S5_,comdat
	.globl	_ZL33flash_attn_stream_k_fixup_uniformILi64ELi16ELi4EEvPfPK15HIP_vector_typeIfLj2EEiiiiiiS1_IjLj3EES5_S5_ ; -- Begin function _ZL33flash_attn_stream_k_fixup_uniformILi64ELi16ELi4EEvPfPK15HIP_vector_typeIfLj2EEiiiiiiS1_IjLj3EES5_S5_
	.p2align	8
	.type	_ZL33flash_attn_stream_k_fixup_uniformILi64ELi16ELi4EEvPfPK15HIP_vector_typeIfLj2EEiiiiiiS1_IjLj3EES5_S5_,@function
_ZL33flash_attn_stream_k_fixup_uniformILi64ELi16ELi4EEvPfPK15HIP_vector_typeIfLj2EEiiiiiiS1_IjLj3EES5_S5_: ; @_ZL33flash_attn_stream_k_fixup_uniformILi64ELi16ELi4EEvPfPK15HIP_vector_typeIfLj2EEiiiiiiS1_IjLj3EES5_S5_
; %bb.0:
	s_load_dwordx8 s[8:15], s[0:1], 0x1c
	s_load_dwordx2 s[6:7], s[0:1], 0x10
	s_load_dwordx4 s[20:23], s[0:1], 0x3c
	s_waitcnt lgkmcnt(0)
	s_mul_hi_u32 s5, s11, s2
	s_add_i32 s5, s2, s5
	s_lshr_b32 s5, s5, s12
	s_mul_i32 s11, s5, s13
	s_sub_i32 s11, s2, s11
	s_mul_hi_u32 s12, s11, s14
	s_add_i32 s12, s11, s12
	s_lshr_b32 s16, s12, s15
	s_mul_i32 s12, s16, s20
	s_sub_i32 s11, s11, s12
	;; [unrolled: 5-line block ×3, first 2 shown]
	s_lshl_b32 s11, s12, 2
	s_lshl_b32 s12, s17, 4
	s_add_i32 s12, s12, s3
	s_cmp_lt_i32 s12, s6
	s_cselect_b64 s[12:13], -1, 0
	s_add_i32 s14, s11, s4
	s_cmp_lt_i32 s14, s9
	s_cselect_b64 s[14:15], -1, 0
	s_and_b64 s[12:13], s[12:13], s[14:15]
	s_andn2_b64 vcc, exec, s[12:13]
	s_cbranch_vccnz .LBB19_6
; %bb.1:
	s_load_dwordx4 s[12:15], s[0:1], 0x0
	s_mul_i32 s0, s5, s6
	s_add_i32 s0, s0, s3
	s_mul_i32 s0, s0, s7
	s_mul_i32 s16, s16, s9
	s_add_i32 s0, s0, s4
	s_add_i32 s0, s0, s16
	s_mul_i32 s1, s7, s17
	s_add_i32 s0, s0, s11
	s_lshl_b32 s1, s1, 10
	s_lshl_b32 s0, s0, 6
	s_add_i32 s1, s1, s0
	v_or_b32_e32 v4, s1, v0
	s_waitcnt lgkmcnt(0)
	v_mov_b32_e32 v2, s12
	v_mov_b32_e32 v3, s13
	v_ashrrev_i32_e32 v5, 31, v4
	v_lshl_add_u64 v[2:3], v[4:5], 2, v[2:3]
	global_load_dword v5, v[2:3], off
	s_mul_i32 s5, s10, s2
	s_lshl_b32 s11, s3, 2
	s_add_i32 s9, s5, s10
	s_add_i32 s0, s11, s4
	s_lshl_b32 s1, s9, 6
	s_add_i32 s0, s0, s1
	s_sub_i32 s0, s0, 64
	s_ashr_i32 s1, s0, 31
	s_lshl_b64 s[0:1], s[0:1], 3
	s_add_u32 s0, s14, s0
	s_addc_u32 s1, s15, s1
	s_load_dword s12, s[0:1], 0x4
	s_add_i32 s6, s9, -2
	s_cmp_lt_i32 s6, s5
	s_cbranch_scc1 .LBB19_4
; %bb.2:
	s_lshl_b32 s6, s8, 8
	s_ashr_i32 s7, s6, 31
	s_lshl_b64 s[6:7], s[6:7], 2
	s_add_u32 s6, s14, s6
	s_addc_u32 s7, s15, s7
	s_add_i32 s2, s2, 1
	s_load_dword s0, s[0:1], 0x0
	s_mul_i32 s1, s10, s2
	s_lshl_b32 s3, s3, 8
	s_lshl_b32 s10, s4, 6
	;; [unrolled: 1-line block ×3, first 2 shown]
	s_add_i32 s3, s10, s3
	s_lshl_b32 s1, s1, 6
	s_add_i32 s3, s3, s2
	s_add_i32 s1, s4, s1
	s_lshl_b32 s2, s8, 6
	s_add_i32 s1, s1, s2
	v_or_b32_e32 v0, s3, v0
	s_add_i32 s1, s1, s11
	s_add_i32 s9, s9, -1
	v_add_u32_e32 v0, 0xffffe000, v0
	s_add_i32 s2, s1, 0xffffff80
	s_waitcnt lgkmcnt(0)
	v_mov_b32_e32 v7, s0
	v_mov_b32_e32 v4, s12
	s_mov_b32 s4, 0x3fb8aa3b
	s_mov_b32 s8, 0xc2ce8ed0
	;; [unrolled: 1-line block ×3, first 2 shown]
	v_mov_b32_e32 v6, 0x7f800000
	s_mov_b32 s11, 0xc1a00000
.LBB19_3:                               ; =>This Inner Loop Header: Depth=1
	v_ashrrev_i32_e32 v1, 31, v0
	v_lshl_add_u64 v[8:9], v[0:1], 2, s[6:7]
	global_load_dword v9, v[8:9], off
	s_ashr_i32 s3, s2, 31
	s_lshl_b64 s[0:1], s[2:3], 3
	s_add_u32 s0, s14, s0
	s_addc_u32 s1, s15, s1
	s_load_dwordx2 s[0:1], s[0:1], 0x0
	v_max_f32_e32 v1, v7, v7
	s_add_i32 s9, s9, -1
	s_sub_i32 s2, s2, 64
	v_add_u32_e32 v0, 0xfffff000, v0
	s_waitcnt lgkmcnt(0)
	v_max_f32_e64 v10, s0, s0
	v_max_f32_e32 v1, v1, v10
	v_sub_f32_e32 v11, s0, v1
	v_sub_f32_e32 v10, v7, v1
	v_mul_f32_e32 v12, 0x3fb8aa3b, v11
	v_mov_b32_e32 v7, v1
	v_mul_f32_e32 v1, 0x3fb8aa3b, v10
	v_fma_f32 v15, v11, s4, -v12
	v_rndne_f32_e32 v16, v12
	v_fma_f32 v13, v10, s4, -v1
	v_rndne_f32_e32 v14, v1
	v_fmac_f32_e32 v15, 0x32a5705f, v11
	v_sub_f32_e32 v12, v12, v16
	v_fmac_f32_e32 v13, 0x32a5705f, v10
	v_sub_f32_e32 v1, v1, v14
	v_add_f32_e32 v12, v12, v15
	v_cvt_i32_f32_e32 v16, v16
	v_add_f32_e32 v1, v1, v13
	v_exp_f32_e32 v12, v12
	v_cvt_i32_f32_e32 v14, v14
	v_exp_f32_e32 v1, v1
	v_cmp_ngt_f32_e32 vcc, s8, v11
	v_ldexp_f32 v12, v12, v16
	v_mov_b32_e32 v8, s1
	v_ldexp_f32 v1, v1, v14
	v_cmp_ngt_f32_e64 s[0:1], s8, v10
	v_cndmask_b32_e32 v12, 0, v12, vcc
	v_cmp_nlt_f32_e32 vcc, s10, v11
	v_cndmask_b32_e64 v1, 0, v1, s[0:1]
	v_cmp_nlt_f32_e64 s[0:1], s10, v10
	v_cndmask_b32_e32 v12, v6, v12, vcc
	v_cmp_le_f32_e32 vcc, s11, v11
	v_cndmask_b32_e64 v1, v6, v1, s[0:1]
	v_cmp_le_f32_e64 s[0:1], s11, v10
	v_cndmask_b32_e32 v12, 0, v12, vcc
	s_cmp_le_i32 s9, s5
	v_cndmask_b32_e64 v10, 0, v1, s[0:1]
	s_waitcnt vmcnt(0)
	v_pk_mul_f32 v[8:9], v[8:9], v[12:13] op_sel_hi:[1,0]
	s_nop 0
	v_pk_fma_f32 v[4:5], v[4:5], v[10:11], v[8:9] op_sel_hi:[1,0,1]
	s_cbranch_scc0 .LBB19_3
	s_branch .LBB19_5
.LBB19_4:
	s_waitcnt lgkmcnt(0)
	v_mov_b32_e32 v4, s12
.LBB19_5:
	s_waitcnt vmcnt(0)
	v_div_scale_f32 v0, s[0:1], v4, v4, v5
	v_rcp_f32_e32 v1, v0
	v_div_scale_f32 v6, vcc, v5, v4, v5
	v_fma_f32 v7, -v0, v1, 1.0
	v_fmac_f32_e32 v1, v7, v1
	v_mul_f32_e32 v7, v6, v1
	v_fma_f32 v8, -v0, v7, v6
	v_fmac_f32_e32 v7, v8, v1
	v_fma_f32 v0, -v0, v7, v6
	v_div_fmas_f32 v0, v0, v1, v7
	v_div_fixup_f32 v0, v0, v4, v5
	global_store_dword v[2:3], v0, off
.LBB19_6:
	s_endpgm
	.section	.rodata,"a",@progbits
	.p2align	6, 0x0
	.amdhsa_kernel _ZL33flash_attn_stream_k_fixup_uniformILi64ELi16ELi4EEvPfPK15HIP_vector_typeIfLj2EEiiiiiiS1_IjLj3EES5_S5_
		.amdhsa_group_segment_fixed_size 0
		.amdhsa_private_segment_fixed_size 0
		.amdhsa_kernarg_size 76
		.amdhsa_user_sgpr_count 2
		.amdhsa_user_sgpr_dispatch_ptr 0
		.amdhsa_user_sgpr_queue_ptr 0
		.amdhsa_user_sgpr_kernarg_segment_ptr 1
		.amdhsa_user_sgpr_dispatch_id 0
		.amdhsa_user_sgpr_kernarg_preload_length 0
		.amdhsa_user_sgpr_kernarg_preload_offset 0
		.amdhsa_user_sgpr_private_segment_size 0
		.amdhsa_uses_dynamic_stack 0
		.amdhsa_enable_private_segment 0
		.amdhsa_system_sgpr_workgroup_id_x 1
		.amdhsa_system_sgpr_workgroup_id_y 1
		.amdhsa_system_sgpr_workgroup_id_z 1
		.amdhsa_system_sgpr_workgroup_info 0
		.amdhsa_system_vgpr_workitem_id 0
		.amdhsa_next_free_vgpr 17
		.amdhsa_next_free_sgpr 24
		.amdhsa_accum_offset 20
		.amdhsa_reserve_vcc 1
		.amdhsa_float_round_mode_32 0
		.amdhsa_float_round_mode_16_64 0
		.amdhsa_float_denorm_mode_32 3
		.amdhsa_float_denorm_mode_16_64 3
		.amdhsa_dx10_clamp 1
		.amdhsa_ieee_mode 1
		.amdhsa_fp16_overflow 0
		.amdhsa_tg_split 0
		.amdhsa_exception_fp_ieee_invalid_op 0
		.amdhsa_exception_fp_denorm_src 0
		.amdhsa_exception_fp_ieee_div_zero 0
		.amdhsa_exception_fp_ieee_overflow 0
		.amdhsa_exception_fp_ieee_underflow 0
		.amdhsa_exception_fp_ieee_inexact 0
		.amdhsa_exception_int_div_zero 0
	.end_amdhsa_kernel
	.section	.text._ZL33flash_attn_stream_k_fixup_uniformILi64ELi16ELi4EEvPfPK15HIP_vector_typeIfLj2EEiiiiiiS1_IjLj3EES5_S5_,"axG",@progbits,_ZL33flash_attn_stream_k_fixup_uniformILi64ELi16ELi4EEvPfPK15HIP_vector_typeIfLj2EEiiiiiiS1_IjLj3EES5_S5_,comdat
.Lfunc_end19:
	.size	_ZL33flash_attn_stream_k_fixup_uniformILi64ELi16ELi4EEvPfPK15HIP_vector_typeIfLj2EEiiiiiiS1_IjLj3EES5_S5_, .Lfunc_end19-_ZL33flash_attn_stream_k_fixup_uniformILi64ELi16ELi4EEvPfPK15HIP_vector_typeIfLj2EEiiiiiiS1_IjLj3EES5_S5_
                                        ; -- End function
	.set _ZL33flash_attn_stream_k_fixup_uniformILi64ELi16ELi4EEvPfPK15HIP_vector_typeIfLj2EEiiiiiiS1_IjLj3EES5_S5_.num_vgpr, 17
	.set _ZL33flash_attn_stream_k_fixup_uniformILi64ELi16ELi4EEvPfPK15HIP_vector_typeIfLj2EEiiiiiiS1_IjLj3EES5_S5_.num_agpr, 0
	.set _ZL33flash_attn_stream_k_fixup_uniformILi64ELi16ELi4EEvPfPK15HIP_vector_typeIfLj2EEiiiiiiS1_IjLj3EES5_S5_.numbered_sgpr, 24
	.set _ZL33flash_attn_stream_k_fixup_uniformILi64ELi16ELi4EEvPfPK15HIP_vector_typeIfLj2EEiiiiiiS1_IjLj3EES5_S5_.num_named_barrier, 0
	.set _ZL33flash_attn_stream_k_fixup_uniformILi64ELi16ELi4EEvPfPK15HIP_vector_typeIfLj2EEiiiiiiS1_IjLj3EES5_S5_.private_seg_size, 0
	.set _ZL33flash_attn_stream_k_fixup_uniformILi64ELi16ELi4EEvPfPK15HIP_vector_typeIfLj2EEiiiiiiS1_IjLj3EES5_S5_.uses_vcc, 1
	.set _ZL33flash_attn_stream_k_fixup_uniformILi64ELi16ELi4EEvPfPK15HIP_vector_typeIfLj2EEiiiiiiS1_IjLj3EES5_S5_.uses_flat_scratch, 0
	.set _ZL33flash_attn_stream_k_fixup_uniformILi64ELi16ELi4EEvPfPK15HIP_vector_typeIfLj2EEiiiiiiS1_IjLj3EES5_S5_.has_dyn_sized_stack, 0
	.set _ZL33flash_attn_stream_k_fixup_uniformILi64ELi16ELi4EEvPfPK15HIP_vector_typeIfLj2EEiiiiiiS1_IjLj3EES5_S5_.has_recursion, 0
	.set _ZL33flash_attn_stream_k_fixup_uniformILi64ELi16ELi4EEvPfPK15HIP_vector_typeIfLj2EEiiiiiiS1_IjLj3EES5_S5_.has_indirect_call, 0
	.section	.AMDGPU.csdata,"",@progbits
; Kernel info:
; codeLenInByte = 840
; TotalNumSgprs: 30
; NumVgprs: 17
; NumAgprs: 0
; TotalNumVgprs: 17
; ScratchSize: 0
; MemoryBound: 0
; FloatMode: 240
; IeeeMode: 1
; LDSByteSize: 0 bytes/workgroup (compile time only)
; SGPRBlocks: 3
; VGPRBlocks: 2
; NumSGPRsForWavesPerEU: 30
; NumVGPRsForWavesPerEU: 17
; AccumOffset: 20
; Occupancy: 8
; WaveLimiterHint : 0
; COMPUTE_PGM_RSRC2:SCRATCH_EN: 0
; COMPUTE_PGM_RSRC2:USER_SGPR: 2
; COMPUTE_PGM_RSRC2:TRAP_HANDLER: 0
; COMPUTE_PGM_RSRC2:TGID_X_EN: 1
; COMPUTE_PGM_RSRC2:TGID_Y_EN: 1
; COMPUTE_PGM_RSRC2:TGID_Z_EN: 1
; COMPUTE_PGM_RSRC2:TIDIG_COMP_CNT: 0
; COMPUTE_PGM_RSRC3_GFX90A:ACCUM_OFFSET: 4
; COMPUTE_PGM_RSRC3_GFX90A:TG_SPLIT: 0
	.section	.text._ZL33flash_attn_stream_k_fixup_generalILi64ELi16ELi4EEvPfPK15HIP_vector_typeIfLj2EEiiiiS1_IjLj3EES5_S5_S5_,"axG",@progbits,_ZL33flash_attn_stream_k_fixup_generalILi64ELi16ELi4EEvPfPK15HIP_vector_typeIfLj2EEiiiiS1_IjLj3EES5_S5_S5_,comdat
	.globl	_ZL33flash_attn_stream_k_fixup_generalILi64ELi16ELi4EEvPfPK15HIP_vector_typeIfLj2EEiiiiS1_IjLj3EES5_S5_S5_ ; -- Begin function _ZL33flash_attn_stream_k_fixup_generalILi64ELi16ELi4EEvPfPK15HIP_vector_typeIfLj2EEiiiiS1_IjLj3EES5_S5_S5_
	.p2align	8
	.type	_ZL33flash_attn_stream_k_fixup_generalILi64ELi16ELi4EEvPfPK15HIP_vector_typeIfLj2EEiiiiS1_IjLj3EES5_S5_S5_,@function
_ZL33flash_attn_stream_k_fixup_generalILi64ELi16ELi4EEvPfPK15HIP_vector_typeIfLj2EEiiiiS1_IjLj3EES5_S5_S5_: ; @_ZL33flash_attn_stream_k_fixup_generalILi64ELi16ELi4EEvPfPK15HIP_vector_typeIfLj2EEiiiiS1_IjLj3EES5_S5_S5_
; %bb.0:
	s_load_dwordx4 s[8:11], s[0:1], 0x10
	s_load_dword s22, s[0:1], 0x50
	s_mov_b32 s12, 0
	s_waitcnt lgkmcnt(0)
	s_mul_hi_i32 s13, s11, s2
	s_cmp_lg_u64 s[12:13], 0
	s_mul_i32 s5, s11, s2
	s_cbranch_scc0 .LBB20_20
; %bb.1:
	s_add_u32 s6, s22, 0
	s_addc_u32 s7, 0, 0
	s_xor_b64 s[6:7], s[6:7], 0
	v_cvt_f32_u32_e32 v1, s6
	v_cvt_f32_u32_e32 v2, s7
	s_sub_u32 s12, 0, s6
	s_subb_u32 s18, 0, s7
	v_fmamk_f32 v1, v2, 0x4f800000, v1
	v_rcp_f32_e32 v1, v1
	s_nop 0
	v_mul_f32_e32 v1, 0x5f7ffffc, v1
	v_mul_f32_e32 v2, 0x2f800000, v1
	v_trunc_f32_e32 v2, v2
	v_fmamk_f32 v1, v2, 0xcf800000, v1
	v_cvt_u32_f32_e32 v2, v2
	v_cvt_u32_f32_e32 v1, v1
	v_readfirstlane_b32 s19, v2
	v_readfirstlane_b32 s14, v1
	s_mul_i32 s15, s12, s19
	s_mul_hi_u32 s21, s12, s14
	s_mul_i32 s20, s18, s14
	s_add_i32 s15, s21, s15
	s_add_i32 s15, s15, s20
	s_mul_i32 s23, s12, s14
	s_mul_i32 s21, s14, s15
	s_mul_hi_u32 s24, s14, s23
	s_mul_hi_u32 s20, s14, s15
	s_add_u32 s21, s24, s21
	s_addc_u32 s20, 0, s20
	s_mul_hi_u32 s25, s19, s23
	s_mul_i32 s23, s19, s23
	s_add_u32 s21, s21, s23
	s_mul_hi_u32 s24, s19, s15
	s_addc_u32 s20, s20, s25
	s_addc_u32 s21, s24, 0
	s_mul_i32 s15, s19, s15
	s_add_u32 s15, s20, s15
	s_addc_u32 s20, 0, s21
	s_add_u32 s21, s14, s15
	s_cselect_b64 s[14:15], -1, 0
	s_cmp_lg_u64 s[14:15], 0
	s_addc_u32 s19, s19, s20
	s_mul_i32 s14, s12, s19
	s_mul_hi_u32 s15, s12, s21
	s_add_i32 s14, s15, s14
	s_mul_i32 s18, s18, s21
	s_add_i32 s14, s14, s18
	s_mul_i32 s12, s12, s21
	s_mul_hi_u32 s18, s19, s12
	s_mul_i32 s20, s19, s12
	s_mul_i32 s24, s21, s14
	s_mul_hi_u32 s12, s21, s12
	s_mul_hi_u32 s23, s21, s14
	s_add_u32 s12, s12, s24
	s_addc_u32 s23, 0, s23
	s_add_u32 s12, s12, s20
	s_mul_hi_u32 s15, s19, s14
	s_addc_u32 s12, s23, s18
	s_addc_u32 s15, s15, 0
	s_mul_i32 s14, s19, s14
	s_add_u32 s12, s12, s14
	s_addc_u32 s18, 0, s15
	s_add_u32 s20, s21, s12
	s_cselect_b64 s[14:15], -1, 0
	s_cmp_lg_u64 s[14:15], 0
	s_addc_u32 s18, s19, s18
	s_ashr_i32 s14, s13, 31
	s_add_u32 s12, s5, s14
	s_mov_b32 s15, s14
	s_addc_u32 s13, s13, s14
	s_xor_b64 s[12:13], s[12:13], s[14:15]
	s_mul_i32 s21, s12, s18
	s_mul_hi_u32 s23, s12, s20
	s_mul_hi_u32 s19, s12, s18
	s_add_u32 s21, s23, s21
	s_addc_u32 s19, 0, s19
	s_mul_hi_u32 s24, s13, s20
	s_mul_i32 s20, s13, s20
	s_add_u32 s20, s21, s20
	s_mul_hi_u32 s23, s13, s18
	s_addc_u32 s19, s19, s24
	s_addc_u32 s20, s23, 0
	s_mul_i32 s18, s13, s18
	s_add_u32 s23, s19, s18
	s_addc_u32 s24, 0, s20
	s_mul_i32 s18, s6, s24
	s_mul_hi_u32 s19, s6, s23
	s_add_i32 s18, s19, s18
	s_mul_i32 s19, s7, s23
	s_add_i32 s25, s18, s19
	s_sub_i32 s20, s13, s25
	s_mul_i32 s18, s6, s23
	s_sub_u32 s12, s12, s18
	s_cselect_b64 s[18:19], -1, 0
	s_cmp_lg_u64 s[18:19], 0
	s_subb_u32 s26, s20, s7
	s_sub_u32 s27, s12, s6
	s_cselect_b64 s[20:21], -1, 0
	s_cmp_lg_u64 s[20:21], 0
	s_subb_u32 s20, s26, 0
	s_cmp_ge_u32 s20, s7
	s_cselect_b32 s21, -1, 0
	s_cmp_ge_u32 s27, s6
	s_cselect_b32 s26, -1, 0
	s_cmp_eq_u32 s20, s7
	s_cselect_b32 s20, s26, s21
	s_add_u32 s21, s23, 1
	s_addc_u32 s26, s24, 0
	s_add_u32 s27, s23, 2
	s_addc_u32 s28, s24, 0
	s_cmp_lg_u32 s20, 0
	s_cselect_b32 s20, s27, s21
	s_cselect_b32 s21, s28, s26
	s_cmp_lg_u64 s[18:19], 0
	s_subb_u32 s13, s13, s25
	s_cmp_ge_u32 s13, s7
	s_cselect_b32 s18, -1, 0
	s_cmp_ge_u32 s12, s6
	s_cselect_b32 s6, -1, 0
	s_cmp_eq_u32 s13, s7
	s_cselect_b32 s6, s6, s18
	s_cmp_lg_u32 s6, 0
	s_cselect_b32 s7, s21, s24
	s_cselect_b32 s6, s20, s23
	s_xor_b64 s[12:13], s[14:15], 0
	s_xor_b64 s[6:7], s[6:7], s[12:13]
	s_sub_u32 s6, s6, s12
	s_load_dwordx4 s[12:15], s[0:1], 0x44
	s_cbranch_execnz .LBB20_3
.LBB20_2:
	v_cvt_f32_u32_e32 v1, s22
	s_sub_i32 s6, 0, s22
	v_rcp_iflag_f32_e32 v1, v1
	s_nop 0
	v_mul_f32_e32 v1, 0x4f7ffffe, v1
	v_cvt_u32_f32_e32 v1, v1
	s_nop 0
	v_readfirstlane_b32 s7, v1
	s_mul_i32 s6, s6, s7
	s_mul_hi_u32 s6, s7, s6
	s_add_i32 s7, s7, s6
	s_mul_hi_u32 s6, s5, s7
	s_waitcnt lgkmcnt(0)
	s_mul_i32 s15, s6, s22
	s_sub_i32 s5, s5, s15
	s_add_i32 s7, s6, 1
	s_sub_i32 s15, s5, s22
	s_cmp_ge_u32 s5, s22
	s_cselect_b32 s6, s7, s6
	s_cselect_b32 s5, s15, s5
	s_add_i32 s7, s6, 1
	s_cmp_ge_u32 s5, s22
	s_cselect_b32 s6, s7, s6
.LBB20_3:
	s_add_i32 s5, s2, 1
	s_mul_hi_i32 s21, s11, s5
	s_mov_b32 s20, 0
	s_cmp_lg_u64 s[20:21], 0
	s_mul_i32 s5, s11, s5
	s_cbranch_scc0 .LBB20_21
; %bb.4:
	s_add_u32 s16, s22, 0
	s_addc_u32 s17, 0, 0
	s_xor_b64 s[18:19], s[16:17], 0
	v_cvt_f32_u32_e32 v1, s18
	v_cvt_f32_u32_e32 v2, s19
	s_sub_u32 s7, 0, s18
	s_waitcnt lgkmcnt(0)
	s_subb_u32 s15, 0, s19
	v_fmamk_f32 v1, v2, 0x4f800000, v1
	v_rcp_f32_e32 v1, v1
	s_nop 0
	v_mul_f32_e32 v1, 0x5f7ffffc, v1
	v_mul_f32_e32 v2, 0x2f800000, v1
	v_trunc_f32_e32 v2, v2
	v_fmamk_f32 v1, v2, 0xcf800000, v1
	v_cvt_u32_f32_e32 v2, v2
	v_cvt_u32_f32_e32 v1, v1
	v_readfirstlane_b32 s20, v2
	v_readfirstlane_b32 s23, v1
	s_mul_i32 s24, s7, s20
	s_mul_hi_u32 s26, s7, s23
	s_mul_i32 s25, s15, s23
	s_add_i32 s24, s26, s24
	s_add_i32 s24, s24, s25
	s_mul_i32 s27, s7, s23
	s_mul_i32 s26, s23, s24
	s_mul_hi_u32 s28, s23, s27
	s_mul_hi_u32 s25, s23, s24
	s_add_u32 s26, s28, s26
	s_addc_u32 s25, 0, s25
	s_mul_hi_u32 s29, s20, s27
	s_mul_i32 s27, s20, s27
	s_add_u32 s26, s26, s27
	s_mul_hi_u32 s28, s20, s24
	s_addc_u32 s25, s25, s29
	s_addc_u32 s26, s28, 0
	s_mul_i32 s24, s20, s24
	s_add_u32 s24, s25, s24
	s_addc_u32 s26, 0, s26
	s_add_u32 s23, s23, s24
	s_cselect_b64 s[24:25], -1, 0
	s_cmp_lg_u64 s[24:25], 0
	s_addc_u32 s20, s20, s26
	s_mul_i32 s24, s7, s20
	s_mul_hi_u32 s25, s7, s23
	s_add_i32 s24, s25, s24
	s_mul_i32 s15, s15, s23
	s_add_i32 s24, s24, s15
	s_mul_i32 s7, s7, s23
	s_mul_hi_u32 s25, s20, s7
	s_mul_i32 s26, s20, s7
	s_mul_i32 s28, s23, s24
	s_mul_hi_u32 s7, s23, s7
	s_mul_hi_u32 s27, s23, s24
	s_add_u32 s7, s7, s28
	s_addc_u32 s27, 0, s27
	s_add_u32 s7, s7, s26
	s_mul_hi_u32 s15, s20, s24
	s_addc_u32 s7, s27, s25
	s_addc_u32 s15, s15, 0
	s_mul_i32 s24, s20, s24
	s_add_u32 s7, s7, s24
	s_addc_u32 s15, 0, s15
	s_add_u32 s7, s23, s7
	s_cselect_b64 s[24:25], -1, 0
	s_cmp_lg_u64 s[24:25], 0
	s_addc_u32 s15, s20, s15
	s_ashr_i32 s24, s21, 31
	s_add_u32 s20, s5, s24
	s_mov_b32 s25, s24
	s_addc_u32 s21, s21, s24
	s_xor_b64 s[20:21], s[20:21], s[24:25]
	s_mul_i32 s26, s20, s15
	s_mul_hi_u32 s27, s20, s7
	s_mul_hi_u32 s23, s20, s15
	s_add_u32 s26, s27, s26
	s_addc_u32 s23, 0, s23
	s_mul_hi_u32 s28, s21, s7
	s_mul_i32 s7, s21, s7
	s_add_u32 s7, s26, s7
	s_mul_hi_u32 s27, s21, s15
	s_addc_u32 s7, s23, s28
	s_addc_u32 s23, s27, 0
	s_mul_i32 s15, s21, s15
	s_add_u32 s7, s7, s15
	s_addc_u32 s15, 0, s23
	s_mul_i32 s23, s18, s15
	s_mul_hi_u32 s26, s18, s7
	s_add_i32 s23, s26, s23
	s_mul_i32 s26, s19, s7
	s_add_i32 s23, s23, s26
	s_sub_i32 s28, s21, s23
	s_mul_i32 s26, s18, s7
	s_sub_u32 s20, s20, s26
	s_cselect_b64 s[26:27], -1, 0
	s_cmp_lg_u64 s[26:27], 0
	s_subb_u32 s30, s28, s19
	s_sub_u32 s31, s20, s18
	s_cselect_b64 s[28:29], -1, 0
	s_cmp_lg_u64 s[28:29], 0
	s_subb_u32 s28, s30, 0
	s_cmp_ge_u32 s28, s19
	s_cselect_b32 s29, -1, 0
	s_cmp_ge_u32 s31, s18
	s_cselect_b32 s30, -1, 0
	s_cmp_eq_u32 s28, s19
	s_cselect_b32 s28, s30, s29
	s_add_u32 s29, s7, 1
	s_addc_u32 s30, s15, 0
	s_add_u32 s31, s7, 2
	s_addc_u32 s33, s15, 0
	s_cmp_lg_u32 s28, 0
	s_cselect_b32 s28, s31, s29
	s_cselect_b32 s29, s33, s30
	s_cmp_lg_u64 s[26:27], 0
	s_subb_u32 s21, s21, s23
	s_cmp_ge_u32 s21, s19
	s_cselect_b32 s23, -1, 0
	s_cmp_ge_u32 s20, s18
	s_cselect_b32 s18, -1, 0
	s_cmp_eq_u32 s21, s19
	s_cselect_b32 s18, s18, s23
	s_cmp_lg_u32 s18, 0
	s_cselect_b32 s19, s29, s15
	s_cselect_b32 s18, s28, s7
	s_xor_b64 s[20:21], s[24:25], 0
	s_xor_b64 s[18:19], s[18:19], s[20:21]
	s_sub_u32 s18, s18, s20
	s_cbranch_execnz .LBB20_6
.LBB20_5:
	v_cvt_f32_u32_e32 v1, s22
	s_sub_i32 s7, 0, s22
	v_rcp_iflag_f32_e32 v1, v1
	s_nop 0
	v_mul_f32_e32 v1, 0x4f7ffffe, v1
	v_cvt_u32_f32_e32 v1, v1
	s_waitcnt lgkmcnt(0)
	v_readfirstlane_b32 s15, v1
	s_mul_i32 s7, s7, s15
	s_mul_hi_u32 s7, s15, s7
	s_add_i32 s15, s15, s7
	s_mul_hi_u32 s7, s5, s15
	s_mul_i32 s16, s7, s22
	s_sub_i32 s5, s5, s16
	s_add_i32 s15, s7, 1
	s_sub_i32 s16, s5, s22
	s_cmp_ge_u32 s5, s22
	s_cselect_b32 s7, s15, s7
	s_cselect_b32 s5, s16, s5
	s_add_i32 s15, s7, 1
	s_cmp_ge_u32 s5, s22
	s_cselect_b32 s18, s15, s7
.LBB20_6:
	s_cmp_eq_u32 s6, s18
	s_waitcnt lgkmcnt(0)
	s_mul_hi_u32 s5, s6, s12
	s_cselect_b64 s[16:17], -1, 0
	s_add_i32 s5, s5, s6
	s_lshr_b32 s7, s5, s13
	s_mul_i32 s5, s7, s14
	s_cmp_eq_u32 s5, s6
	s_mul_hi_u32 s5, s18, s12
	s_cselect_b64 s[20:21], -1, 0
	s_add_i32 s5, s5, s18
	s_lshr_b32 s5, s5, s13
	s_cmp_eq_u32 s7, s5
	s_mul_i32 s5, s5, s14
	s_cselect_b64 s[24:25], -1, 0
	s_cmp_lg_u32 s5, s18
	s_cselect_b64 s[18:19], -1, 0
	s_and_b64 s[18:19], s[24:25], s[18:19]
	s_or_b64 s[16:17], s[16:17], s[20:21]
	s_or_b64 s[16:17], s[16:17], s[18:19]
	s_and_b64 vcc, exec, s[16:17]
	s_cbranch_vccnz .LBB20_23
; %bb.7:
	s_load_dwordx8 s[24:31], s[0:1], 0x20
	s_load_dword s15, s[0:1], 0x40
	s_waitcnt lgkmcnt(0)
	s_mul_hi_u32 s5, s6, s24
	s_add_i32 s5, s5, s6
	s_lshr_b32 s5, s5, s25
	s_mul_i32 s16, s5, s26
	s_sub_i32 s16, s6, s16
	s_mul_hi_u32 s17, s16, s27
	s_add_i32 s17, s16, s17
	s_lshr_b32 s20, s17, s28
	s_mul_i32 s17, s20, s29
	s_sub_i32 s16, s16, s17
	;; [unrolled: 5-line block ×3, first 2 shown]
	s_mul_hi_u32 s16, s15, s12
	s_add_i32 s15, s15, s16
	s_lshr_b32 s23, s15, s13
	s_lshl_b32 s15, s23, 4
	s_lshl_b32 s21, s17, 2
	s_add_i32 s15, s15, s3
	s_cmp_lt_i32 s15, s8
	s_cselect_b64 s[16:17], -1, 0
	s_add_i32 s15, s21, s4
	s_cmp_lt_i32 s15, s10
	s_cselect_b64 s[18:19], -1, 0
	s_and_b64 s[16:17], s[16:17], s[18:19]
	s_andn2_b64 vcc, exec, s[16:17]
	s_cbranch_vccnz .LBB20_23
; %bb.8:
	s_load_dwordx4 s[16:19], s[0:1], 0x0
	s_mov_b32 s0, 0
	s_lshl_b32 s15, s3, 2
	s_lshl_b32 s24, s22, 8
	s_mov_b32 s25, s0
	s_add_i32 s15, s15, s4
	s_waitcnt lgkmcnt(0)
	v_mov_b32_e32 v2, s16
	v_mov_b32_e32 v3, s17
	s_lshl_b64 s[16:17], s[24:25], 2
	s_add_u32 s16, s18, s16
	s_mul_i32 s1, s5, s8
	s_addc_u32 s17, s19, s17
	s_add_i32 s1, s1, s3
	s_mul_i32 s1, s1, s9
	s_mul_i32 s20, s20, s10
	s_add_i32 s1, s1, s4
	s_add_i32 s1, s1, s20
	s_mul_i32 s5, s9, s23
	s_add_i32 s1, s1, s21
	s_lshl_b32 s5, s5, 10
	s_lshl_b32 s1, s1, 6
	s_add_i32 s5, s5, s1
	v_or_b32_e32 v4, s5, v0
	v_ashrrev_i32_e32 v5, 31, v4
	v_lshl_add_u64 v[2:3], v[4:5], 2, v[2:3]
	global_load_dword v1, v[2:3], off
	v_cvt_f32_u32_e32 v4, s22
	s_lshl_b32 s1, s2, 6
	s_add_i32 s4, s15, s1
	s_ashr_i32 s5, s4, 31
	s_lshl_b64 s[4:5], s[4:5], 3
	v_rcp_iflag_f32_e32 v4, v4
	s_add_u32 s4, s18, s4
	s_addc_u32 s5, s19, s5
	s_load_dwordx2 s[4:5], s[4:5], 0x0
	v_mul_f32_e32 v4, 0x4f7ffffe, v4
	v_cvt_u32_f32_e32 v7, v4
	s_add_i32 s24, s2, -1
	v_lshl_or_b32 v6, s15, 6, v0
	s_waitcnt lgkmcnt(0)
	v_mov_b32_e32 v0, s5
	v_mov_b32_e32 v9, s4
	s_mov_b32 s10, 0x3fb8aa3b
	s_mov_b32 s20, 0xc2ce8ed0
	;; [unrolled: 1-line block ×4, first 2 shown]
	v_mov_b32_e32 v8, 0x7f800000
	s_mul_hi_i32 s1, s24, s11
	s_cmp_lg_u64 s[0:1], 0
	s_mul_i32 s8, s24, s11
	s_cbranch_scc0 .LBB20_19
.LBB20_9:
	s_add_u32 s2, s22, 0
	s_addc_u32 s3, 0, 0
	s_xor_b64 s[2:3], s[2:3], 0
	v_cvt_f32_u32_e32 v4, s2
	v_cvt_f32_u32_e32 v5, s3
	s_sub_u32 s9, 0, s2
	s_subb_u32 s25, 0, s3
	v_fmac_f32_e32 v4, 0x4f800000, v5
	v_rcp_f32_e32 v4, v4
	s_nop 0
	v_mul_f32_e32 v4, 0x5f7ffffc, v4
	v_mul_f32_e32 v5, 0x2f800000, v4
	v_trunc_f32_e32 v5, v5
	v_fmac_f32_e32 v4, 0xcf800000, v5
	v_cvt_u32_f32_e32 v5, v5
	v_cvt_u32_f32_e32 v4, v4
	v_readfirstlane_b32 s26, v5
	v_readfirstlane_b32 s4, v4
	s_mul_i32 s5, s9, s26
	s_mul_hi_u32 s28, s9, s4
	s_mul_i32 s27, s25, s4
	s_add_i32 s5, s28, s5
	s_mul_i32 s29, s9, s4
	s_add_i32 s5, s5, s27
	s_mul_i32 s28, s4, s5
	s_mul_hi_u32 s30, s4, s29
	s_mul_hi_u32 s27, s4, s5
	s_add_u32 s28, s30, s28
	s_addc_u32 s27, 0, s27
	s_mul_hi_u32 s31, s26, s29
	s_mul_i32 s29, s26, s29
	s_add_u32 s28, s28, s29
	s_mul_hi_u32 s30, s26, s5
	s_addc_u32 s27, s27, s31
	s_addc_u32 s28, s30, 0
	s_mul_i32 s5, s26, s5
	s_add_u32 s5, s27, s5
	s_addc_u32 s27, 0, s28
	s_add_u32 s28, s4, s5
	s_cselect_b64 s[4:5], -1, 0
	s_cmp_lg_u64 s[4:5], 0
	s_addc_u32 s26, s26, s27
	s_mul_i32 s4, s9, s26
	s_mul_hi_u32 s5, s9, s28
	s_add_i32 s4, s5, s4
	s_mul_i32 s25, s25, s28
	s_add_i32 s4, s4, s25
	s_mul_i32 s9, s9, s28
	s_mul_hi_u32 s25, s26, s9
	s_mul_i32 s27, s26, s9
	s_mul_i32 s30, s28, s4
	s_mul_hi_u32 s9, s28, s9
	s_mul_hi_u32 s29, s28, s4
	s_add_u32 s9, s9, s30
	s_addc_u32 s29, 0, s29
	s_add_u32 s9, s9, s27
	s_mul_hi_u32 s5, s26, s4
	s_addc_u32 s9, s29, s25
	s_addc_u32 s5, s5, 0
	s_mul_i32 s4, s26, s4
	s_add_u32 s4, s9, s4
	s_addc_u32 s9, 0, s5
	s_add_u32 s25, s28, s4
	s_cselect_b64 s[4:5], -1, 0
	s_cmp_lg_u64 s[4:5], 0
	s_addc_u32 s9, s26, s9
	s_ashr_i32 s4, s1, 31
	s_add_u32 s26, s8, s4
	s_mov_b32 s5, s4
	s_addc_u32 s27, s1, s4
	s_xor_b64 s[26:27], s[26:27], s[4:5]
	s_mul_i32 s28, s26, s9
	s_mul_hi_u32 s29, s26, s25
	s_mul_hi_u32 s1, s26, s9
	s_add_u32 s28, s29, s28
	s_addc_u32 s1, 0, s1
	s_mul_hi_u32 s30, s27, s25
	s_mul_i32 s25, s27, s25
	s_add_u32 s25, s28, s25
	s_mul_hi_u32 s29, s27, s9
	s_addc_u32 s1, s1, s30
	s_addc_u32 s25, s29, 0
	s_mul_i32 s9, s27, s9
	s_add_u32 s1, s1, s9
	s_addc_u32 s9, 0, s25
	s_mul_i32 s25, s2, s9
	s_mul_hi_u32 s28, s2, s1
	s_add_i32 s25, s28, s25
	s_mul_i32 s28, s3, s1
	s_add_i32 s25, s25, s28
	s_sub_i32 s30, s27, s25
	s_mul_i32 s28, s2, s1
	s_sub_u32 s26, s26, s28
	s_cselect_b64 s[28:29], -1, 0
	s_cmp_lg_u64 s[28:29], 0
	s_subb_u32 s33, s30, s3
	s_sub_u32 s34, s26, s2
	s_cselect_b64 s[30:31], -1, 0
	s_cmp_lg_u64 s[30:31], 0
	s_subb_u32 s30, s33, 0
	s_cmp_ge_u32 s30, s3
	s_cselect_b32 s31, -1, 0
	s_cmp_ge_u32 s34, s2
	s_cselect_b32 s33, -1, 0
	s_cmp_eq_u32 s30, s3
	s_cselect_b32 s30, s33, s31
	s_add_u32 s31, s1, 1
	s_addc_u32 s33, s9, 0
	s_add_u32 s34, s1, 2
	s_addc_u32 s35, s9, 0
	s_cmp_lg_u32 s30, 0
	s_cselect_b32 s30, s34, s31
	s_cselect_b32 s31, s35, s33
	s_cmp_lg_u64 s[28:29], 0
	s_subb_u32 s25, s27, s25
	s_cmp_ge_u32 s25, s3
	s_cselect_b32 s27, -1, 0
	s_cmp_ge_u32 s26, s2
	s_cselect_b32 s2, -1, 0
	s_cmp_eq_u32 s25, s3
	s_cselect_b32 s2, s2, s27
	s_cmp_lg_u32 s2, 0
	s_cselect_b32 s3, s31, s9
	s_cselect_b32 s2, s30, s1
	s_xor_b64 s[4:5], s[4:5], 0
	s_xor_b64 s[2:3], s[2:3], s[4:5]
	s_sub_u32 s4, s2, s4
	s_cbranch_execnz .LBB20_11
.LBB20_10:
	s_sub_i32 s1, 0, s22
	v_readfirstlane_b32 s2, v7
	s_mul_i32 s1, s1, s2
	s_mul_hi_u32 s1, s2, s1
	s_add_i32 s2, s2, s1
	s_mul_hi_u32 s1, s8, s2
	s_mul_i32 s3, s1, s22
	s_sub_i32 s3, s8, s3
	s_add_i32 s2, s1, 1
	s_sub_i32 s4, s3, s22
	s_cmp_ge_u32 s3, s22
	s_cselect_b32 s1, s2, s1
	s_cselect_b32 s3, s4, s3
	s_add_i32 s2, s1, 1
	s_cmp_ge_u32 s3, s22
	s_cselect_b32 s4, s2, s1
.LBB20_11:
	s_cmp_lg_u32 s6, s4
	s_cbranch_scc0 .LBB20_15
; %bb.12:
	s_add_i32 s1, s24, s22
	s_lshl_b32 s1, s1, 6
	s_add_i32 s2, s1, s15
	s_mov_b32 s3, s0
	s_lshl_b64 s[2:3], s[2:3], 3
	s_add_u32 s8, s18, s2
	s_mul_hi_u32 s1, s4, s12
	s_addc_u32 s9, s19, s3
	s_add_i32 s1, s1, s4
	s_lshr_b32 s1, s1, s13
	s_mul_i32 s2, s1, s14
	s_cmp_eq_u32 s2, s4
	s_cselect_b64 s[2:3], -1, 0
	s_cmp_lt_u32 s1, s7
	s_cselect_b64 s[26:27], -1, 0
	s_or_b64 s[26:27], s[26:27], s[2:3]
	s_mov_b64 s[2:3], -1
	s_and_b64 vcc, exec, s[26:27]
	s_mov_b32 s1, s24
	s_mov_b32 s25, s6
	s_cbranch_vccnz .LBB20_14
; %bb.13:
	s_add_i32 s1, s24, -1
	s_mov_b64 s[2:3], 0
	s_mov_b32 s25, s4
.LBB20_14:
	v_lshl_add_u32 v4, s24, 12, v6
	v_ashrrev_i32_e32 v5, 31, v4
	v_lshl_add_u64 v[4:5], v[4:5], 2, s[16:17]
	global_load_dword v5, v[4:5], off
	s_load_dwordx2 s[4:5], s[8:9], 0x0
	v_max_f32_e32 v4, v9, v9
	s_waitcnt lgkmcnt(0)
	v_max_f32_e64 v10, s4, s4
	v_max_f32_e32 v10, v4, v10
	v_sub_f32_e32 v11, v9, v10
	v_sub_f32_e32 v13, s4, v10
	v_mul_f32_e32 v4, 0x3fb8aa3b, v11
	v_mul_f32_e32 v12, 0x3fb8aa3b, v13
	v_fma_f32 v14, v11, s10, -v4
	v_rndne_f32_e32 v15, v4
	v_fma_f32 v16, v13, s10, -v12
	v_rndne_f32_e32 v17, v12
	v_fmac_f32_e32 v14, 0x32a5705f, v11
	v_sub_f32_e32 v4, v4, v15
	v_fmac_f32_e32 v16, 0x32a5705f, v13
	v_sub_f32_e32 v12, v12, v17
	v_add_f32_e32 v4, v4, v14
	v_cvt_i32_f32_e32 v15, v15
	v_add_f32_e32 v12, v12, v16
	v_exp_f32_e32 v14, v4
	v_cvt_i32_f32_e32 v17, v17
	v_exp_f32_e32 v12, v12
	v_cmp_ngt_f32_e32 vcc, s20, v11
	v_ldexp_f32 v14, v14, v15
	v_mov_b32_e32 v4, s5
	v_ldexp_f32 v12, v12, v17
	v_cndmask_b32_e32 v14, 0, v14, vcc
	v_cmp_ngt_f32_e32 vcc, s20, v13
	s_nop 1
	v_cndmask_b32_e32 v12, 0, v12, vcc
	v_cmp_nlt_f32_e32 vcc, s21, v11
	s_nop 1
	v_cndmask_b32_e32 v14, v8, v14, vcc
	v_cmp_nlt_f32_e32 vcc, s21, v13
	s_nop 1
	v_cndmask_b32_e32 v15, v8, v12, vcc
	v_cmp_le_f32_e32 vcc, s23, v11
	s_nop 1
	v_cndmask_b32_e32 v12, 0, v14, vcc
	v_cmp_le_f32_e32 vcc, s23, v13
	s_nop 1
	v_cndmask_b32_e32 v14, 0, v15, vcc
	s_waitcnt vmcnt(0)
	v_pk_mul_f32 v[4:5], v[4:5], v[14:15] op_sel_hi:[1,0]
	s_nop 0
	v_pk_fma_f32 v[4:5], v[0:1], v[12:13], v[4:5] op_sel_hi:[1,0,1]
	s_cbranch_execz .LBB20_16
	s_branch .LBB20_17
.LBB20_15:
                                        ; implicit-def: $vgpr4_vgpr5
                                        ; implicit-def: $sgpr2_sgpr3
                                        ; implicit-def: $vgpr10
                                        ; implicit-def: $sgpr1
                                        ; implicit-def: $sgpr25
.LBB20_16:
	s_add_i32 s1, s24, -1
	s_mov_b64 s[2:3], 0
	s_mov_b32 s25, s6
	v_mov_b32_e32 v10, v9
	s_waitcnt vmcnt(0)
	v_mov_b64_e32 v[4:5], v[0:1]
.LBB20_17:
	s_andn2_b64 vcc, exec, s[2:3]
	s_cbranch_vccz .LBB20_22
; %bb.18:
	s_mov_b32 s6, s25
	s_mov_b32 s24, s1
	v_mov_b32_e32 v9, v10
	s_waitcnt vmcnt(0)
	v_mov_b64_e32 v[0:1], v[4:5]
	s_mul_hi_i32 s1, s24, s11
	s_cmp_lg_u64 s[0:1], 0
	s_mul_i32 s8, s24, s11
	s_cbranch_scc1 .LBB20_9
.LBB20_19:
                                        ; implicit-def: $sgpr4_sgpr5
	s_branch .LBB20_10
.LBB20_20:
                                        ; implicit-def: $sgpr6_sgpr7
	s_load_dwordx4 s[12:15], s[0:1], 0x44
	s_branch .LBB20_2
.LBB20_21:
                                        ; implicit-def: $sgpr18_sgpr19
	s_branch .LBB20_5
.LBB20_22:
	v_div_scale_f32 v0, s[0:1], v4, v4, v5
	s_waitcnt vmcnt(0)
	v_rcp_f32_e32 v1, v0
	v_div_scale_f32 v6, vcc, v5, v4, v5
	v_fma_f32 v7, -v0, v1, 1.0
	v_fmac_f32_e32 v1, v7, v1
	v_mul_f32_e32 v7, v6, v1
	v_fma_f32 v8, -v0, v7, v6
	v_fmac_f32_e32 v7, v8, v1
	v_fma_f32 v0, -v0, v7, v6
	v_div_fmas_f32 v0, v0, v1, v7
	v_div_fixup_f32 v0, v0, v4, v5
	global_store_dword v[2:3], v0, off
.LBB20_23:
	s_endpgm
	.section	.rodata,"a",@progbits
	.p2align	6, 0x0
	.amdhsa_kernel _ZL33flash_attn_stream_k_fixup_generalILi64ELi16ELi4EEvPfPK15HIP_vector_typeIfLj2EEiiiiS1_IjLj3EES5_S5_S5_
		.amdhsa_group_segment_fixed_size 0
		.amdhsa_private_segment_fixed_size 0
		.amdhsa_kernarg_size 336
		.amdhsa_user_sgpr_count 2
		.amdhsa_user_sgpr_dispatch_ptr 0
		.amdhsa_user_sgpr_queue_ptr 0
		.amdhsa_user_sgpr_kernarg_segment_ptr 1
		.amdhsa_user_sgpr_dispatch_id 0
		.amdhsa_user_sgpr_kernarg_preload_length 0
		.amdhsa_user_sgpr_kernarg_preload_offset 0
		.amdhsa_user_sgpr_private_segment_size 0
		.amdhsa_uses_dynamic_stack 0
		.amdhsa_enable_private_segment 0
		.amdhsa_system_sgpr_workgroup_id_x 1
		.amdhsa_system_sgpr_workgroup_id_y 1
		.amdhsa_system_sgpr_workgroup_id_z 1
		.amdhsa_system_sgpr_workgroup_info 0
		.amdhsa_system_vgpr_workitem_id 0
		.amdhsa_next_free_vgpr 18
		.amdhsa_next_free_sgpr 36
		.amdhsa_accum_offset 20
		.amdhsa_reserve_vcc 1
		.amdhsa_float_round_mode_32 0
		.amdhsa_float_round_mode_16_64 0
		.amdhsa_float_denorm_mode_32 3
		.amdhsa_float_denorm_mode_16_64 3
		.amdhsa_dx10_clamp 1
		.amdhsa_ieee_mode 1
		.amdhsa_fp16_overflow 0
		.amdhsa_tg_split 0
		.amdhsa_exception_fp_ieee_invalid_op 0
		.amdhsa_exception_fp_denorm_src 0
		.amdhsa_exception_fp_ieee_div_zero 0
		.amdhsa_exception_fp_ieee_overflow 0
		.amdhsa_exception_fp_ieee_underflow 0
		.amdhsa_exception_fp_ieee_inexact 0
		.amdhsa_exception_int_div_zero 0
	.end_amdhsa_kernel
	.section	.text._ZL33flash_attn_stream_k_fixup_generalILi64ELi16ELi4EEvPfPK15HIP_vector_typeIfLj2EEiiiiS1_IjLj3EES5_S5_S5_,"axG",@progbits,_ZL33flash_attn_stream_k_fixup_generalILi64ELi16ELi4EEvPfPK15HIP_vector_typeIfLj2EEiiiiS1_IjLj3EES5_S5_S5_,comdat
.Lfunc_end20:
	.size	_ZL33flash_attn_stream_k_fixup_generalILi64ELi16ELi4EEvPfPK15HIP_vector_typeIfLj2EEiiiiS1_IjLj3EES5_S5_S5_, .Lfunc_end20-_ZL33flash_attn_stream_k_fixup_generalILi64ELi16ELi4EEvPfPK15HIP_vector_typeIfLj2EEiiiiS1_IjLj3EES5_S5_S5_
                                        ; -- End function
	.set _ZL33flash_attn_stream_k_fixup_generalILi64ELi16ELi4EEvPfPK15HIP_vector_typeIfLj2EEiiiiS1_IjLj3EES5_S5_S5_.num_vgpr, 18
	.set _ZL33flash_attn_stream_k_fixup_generalILi64ELi16ELi4EEvPfPK15HIP_vector_typeIfLj2EEiiiiS1_IjLj3EES5_S5_S5_.num_agpr, 0
	.set _ZL33flash_attn_stream_k_fixup_generalILi64ELi16ELi4EEvPfPK15HIP_vector_typeIfLj2EEiiiiS1_IjLj3EES5_S5_S5_.numbered_sgpr, 36
	.set _ZL33flash_attn_stream_k_fixup_generalILi64ELi16ELi4EEvPfPK15HIP_vector_typeIfLj2EEiiiiS1_IjLj3EES5_S5_S5_.num_named_barrier, 0
	.set _ZL33flash_attn_stream_k_fixup_generalILi64ELi16ELi4EEvPfPK15HIP_vector_typeIfLj2EEiiiiS1_IjLj3EES5_S5_S5_.private_seg_size, 0
	.set _ZL33flash_attn_stream_k_fixup_generalILi64ELi16ELi4EEvPfPK15HIP_vector_typeIfLj2EEiiiiS1_IjLj3EES5_S5_S5_.uses_vcc, 1
	.set _ZL33flash_attn_stream_k_fixup_generalILi64ELi16ELi4EEvPfPK15HIP_vector_typeIfLj2EEiiiiS1_IjLj3EES5_S5_S5_.uses_flat_scratch, 0
	.set _ZL33flash_attn_stream_k_fixup_generalILi64ELi16ELi4EEvPfPK15HIP_vector_typeIfLj2EEiiiiS1_IjLj3EES5_S5_S5_.has_dyn_sized_stack, 0
	.set _ZL33flash_attn_stream_k_fixup_generalILi64ELi16ELi4EEvPfPK15HIP_vector_typeIfLj2EEiiiiS1_IjLj3EES5_S5_S5_.has_recursion, 0
	.set _ZL33flash_attn_stream_k_fixup_generalILi64ELi16ELi4EEvPfPK15HIP_vector_typeIfLj2EEiiiiS1_IjLj3EES5_S5_S5_.has_indirect_call, 0
	.section	.AMDGPU.csdata,"",@progbits
; Kernel info:
; codeLenInByte = 2940
; TotalNumSgprs: 42
; NumVgprs: 18
; NumAgprs: 0
; TotalNumVgprs: 18
; ScratchSize: 0
; MemoryBound: 0
; FloatMode: 240
; IeeeMode: 1
; LDSByteSize: 0 bytes/workgroup (compile time only)
; SGPRBlocks: 5
; VGPRBlocks: 2
; NumSGPRsForWavesPerEU: 42
; NumVGPRsForWavesPerEU: 18
; AccumOffset: 20
; Occupancy: 8
; WaveLimiterHint : 0
; COMPUTE_PGM_RSRC2:SCRATCH_EN: 0
; COMPUTE_PGM_RSRC2:USER_SGPR: 2
; COMPUTE_PGM_RSRC2:TRAP_HANDLER: 0
; COMPUTE_PGM_RSRC2:TGID_X_EN: 1
; COMPUTE_PGM_RSRC2:TGID_Y_EN: 1
; COMPUTE_PGM_RSRC2:TGID_Z_EN: 1
; COMPUTE_PGM_RSRC2:TIDIG_COMP_CNT: 0
; COMPUTE_PGM_RSRC3_GFX90A:ACCUM_OFFSET: 4
; COMPUTE_PGM_RSRC3_GFX90A:TG_SPLIT: 0
	.section	.text._ZL15flash_attn_tileILi64ELi64ELi8ELi4ELb0EEvPKcS1_S1_S1_S1_PKiPfP15HIP_vector_typeIfLj2EEffffjfiS5_IjLj3EEiiiiiiiiiiiliiliiiiil,"axG",@progbits,_ZL15flash_attn_tileILi64ELi64ELi8ELi4ELb0EEvPKcS1_S1_S1_S1_PKiPfP15HIP_vector_typeIfLj2EEffffjfiS5_IjLj3EEiiiiiiiiiiiliiliiiiil,comdat
	.globl	_ZL15flash_attn_tileILi64ELi64ELi8ELi4ELb0EEvPKcS1_S1_S1_S1_PKiPfP15HIP_vector_typeIfLj2EEffffjfiS5_IjLj3EEiiiiiiiiiiiliiliiiiil ; -- Begin function _ZL15flash_attn_tileILi64ELi64ELi8ELi4ELb0EEvPKcS1_S1_S1_S1_PKiPfP15HIP_vector_typeIfLj2EEffffjfiS5_IjLj3EEiiiiiiiiiiiliiliiiiil
	.p2align	8
	.type	_ZL15flash_attn_tileILi64ELi64ELi8ELi4ELb0EEvPKcS1_S1_S1_S1_PKiPfP15HIP_vector_typeIfLj2EEffffjfiS5_IjLj3EEiiiiiiiiiiiliiliiiiil,@function
_ZL15flash_attn_tileILi64ELi64ELi8ELi4ELb0EEvPKcS1_S1_S1_S1_PKiPfP15HIP_vector_typeIfLj2EEffffjfiS5_IjLj3EEiiiiiiiiiiiliiliiiiil: ; @_ZL15flash_attn_tileILi64ELi64ELi8ELi4ELb0EEvPKcS1_S1_S1_S1_PKiPfP15HIP_vector_typeIfLj2EEffffjfiS5_IjLj3EEiiiiiiiiiiiliiliiiiil
; %bb.0:
	s_load_dwordx4 s[20:23], s[0:1], 0x5c
	s_load_dwordx2 s[30:31], s[0:1], 0x80
	s_load_dwordx2 s[36:37], s[0:1], 0xb8
	s_mov_b64 s[34:35], 0
	s_waitcnt lgkmcnt(0)
	s_ashr_i32 s5, s23, 31
	s_lshr_b32 s5, s5, 30
	s_add_i32 s5, s23, s5
	s_ashr_i32 s5, s5, 2
	v_cvt_f32_u32_e32 v1, s5
	s_sub_i32 s6, 0, s5
	v_rcp_iflag_f32_e32 v1, v1
	s_nop 0
	v_mul_f32_e32 v1, 0x4f7ffffe, v1
	v_cvt_u32_f32_e32 v1, v1
	s_nop 0
	v_readfirstlane_b32 s7, v1
	s_mul_i32 s6, s6, s7
	s_mul_hi_u32 s6, s7, s6
	s_add_i32 s7, s7, s6
	s_mul_hi_u32 s6, s4, s7
	s_mul_i32 s7, s6, s5
	s_sub_i32 s7, s4, s7
	s_add_i32 s8, s6, 1
	s_sub_i32 s9, s7, s5
	s_cmp_ge_u32 s7, s5
	s_cselect_b32 s6, s8, s6
	s_cselect_b32 s7, s9, s7
	s_add_i32 s8, s6, 1
	s_cmp_ge_u32 s7, s5
	s_cselect_b32 s33, s8, s6
	s_abs_i32 s5, s31
	v_cvt_f32_u32_e32 v1, s5
	s_lshl_b32 s4, s4, 2
	s_mul_i32 s8, s33, s23
	s_sub_i32 s9, 0, s5
	v_rcp_iflag_f32_e32 v1, v1
	s_sub_i32 s28, s4, s8
	s_abs_i32 s7, s23
	s_xor_b32 s6, s23, s31
	v_mul_f32_e32 v1, 0x4f7ffffe, v1
	v_cvt_u32_f32_e32 v1, v1
	s_ashr_i32 s6, s6, 31
	v_readfirstlane_b32 s4, v1
	s_mul_i32 s9, s9, s4
	s_mul_hi_u32 s8, s4, s9
	s_add_i32 s4, s4, s8
	s_mul_hi_u32 s4, s7, s4
	s_mul_i32 s8, s4, s5
	s_sub_i32 s7, s7, s8
	s_add_i32 s9, s4, 1
	s_sub_i32 s8, s7, s5
	s_cmp_ge_u32 s7, s5
	s_cselect_b32 s4, s9, s4
	s_cselect_b32 s7, s8, s7
	s_add_i32 s8, s4, 1
	s_cmp_ge_u32 s7, s5
	s_cselect_b32 s4, s8, s4
	s_xor_b32 s4, s4, s6
	s_sub_i32 s31, s4, s6
	s_abs_i32 s29, s31
	v_cvt_f32_u32_e32 v1, s29
	s_load_dwordx16 s[4:19], s[0:1], 0x0
	v_rcp_iflag_f32_e32 v1, v1
	s_waitcnt lgkmcnt(0)
	s_cmp_eq_u64 s[10:11], 0
	v_mul_f32_e32 v1, 0x4f7ffffe, v1
	v_cvt_u32_f32_e32 v1, v1
	s_nop 0
	v_readfirstlane_b32 s38, v1
	s_cbranch_scc1 .LBB21_2
; %bb.1:
	s_abs_i32 s26, s36
	v_cvt_f32_u32_e32 v1, s26
	s_sub_i32 s35, 0, s26
	s_abs_i32 s34, s33
	s_ashr_i32 s27, s33, 31
	v_rcp_iflag_f32_e32 v1, v1
	s_load_dwordx2 s[24:25], s[0:1], 0xc8
	v_mul_f32_e32 v1, 0x4f7ffffe, v1
	v_cvt_u32_f32_e32 v1, v1
	s_nop 0
	v_readfirstlane_b32 s36, v1
	s_mul_i32 s35, s35, s36
	s_mul_hi_u32 s35, s36, s35
	s_add_i32 s36, s36, s35
	s_mul_hi_u32 s35, s34, s36
	s_mul_i32 s35, s35, s26
	s_sub_i32 s34, s34, s35
	s_sub_i32 s35, s34, s26
	s_cmp_ge_u32 s34, s26
	s_cselect_b32 s34, s35, s34
	s_sub_i32 s35, s34, s26
	s_cmp_ge_u32 s34, s26
	s_cselect_b32 s26, s35, s34
	s_xor_b32 s26, s26, s27
	s_sub_i32 s26, s26, s27
	s_ashr_i32 s27, s26, 31
	s_waitcnt lgkmcnt(0)
	s_mul_hi_u32 s34, s24, s26
	s_mul_i32 s27, s24, s27
	s_mul_i32 s25, s25, s26
	s_add_i32 s27, s34, s27
	s_add_i32 s27, s27, s25
	s_mul_i32 s24, s24, s26
	s_add_u32 s34, s10, s24
	s_addc_u32 s35, s11, s27
.LBB21_2:
	s_load_dwordx4 s[24:27], s[0:1], 0x70
	v_bfe_u32 v4, v0, 10, 10
	v_lshl_add_u32 v17, s2, 3, v4
	v_mul_hi_u32 v1, s20, v17
	v_add_u32_e32 v1, v17, v1
	s_waitcnt lgkmcnt(0)
	s_mul_i32 s10, s33, s26
	s_ashr_i32 s26, s10, 31
	s_mul_i32 s11, s28, s25
	s_add_u32 s4, s4, s10
	s_addc_u32 s5, s5, s26
	s_ashr_i32 s10, s11, 31
	s_add_u32 s4, s4, s11
	v_lshrrev_b32_e32 v1, s21, v1
	s_addc_u32 s5, s5, s10
	v_mul_lo_u32 v1, v1, s22
	s_ashr_i32 s21, s24, 31
	s_mov_b32 s20, s24
	v_sub_u32_e32 v1, v17, v1
	s_lshr_b64 s[40:41], s[20:21], 2
	s_ashr_i32 s11, s25, 31
	s_mov_b32 s10, s25
	v_mad_u64_u32 v[2:3], s[40:41], s40, v1, 0
	s_lshr_b64 s[26:27], s[10:11], 2
	v_mov_b32_e32 v6, v3
	s_lshr_b32 s10, s21, 2
	v_mad_u64_u32 v[6:7], s[20:21], s10, v1, v[6:7]
	v_mov_b32_e32 v3, v6
	v_and_b32_e32 v16, 0x3ff, v0
	v_lshl_add_u64 v[6:7], v[2:3], 2, s[4:5]
	v_lshlrev_b32_e32 v2, 3, v16
	v_mov_b32_e32 v3, 0
	v_lshl_add_u64 v[6:7], v[6:7], 0, v[2:3]
	s_and_b32 s10, s25, -4
	v_lshl_add_u64 v[10:11], v[6:7], 0, s[10:11]
	global_load_dwordx2 v[8:9], v[6:7], off
	v_lshl_add_u64 v[12:13], s[26:27], 3, v[6:7]
	global_load_dwordx2 v[10:11], v[10:11], off
	v_mad_u64_u32 v[6:7], s[4:5], s26, 12, v[6:7]
	v_mov_b32_e32 v0, v7
	v_mad_u64_u32 v[14:15], s[4:5], s11, 12, v[0:1]
	v_mov_b32_e32 v7, v14
	global_load_dwordx2 v[12:13], v[12:13], off
	s_load_dword s4, s[0:1], 0x40
	global_load_dwordx2 v[6:7], v[6:7], off
	v_lshlrev_b32_e32 v0, 9, v4
	v_add_u32_e32 v34, 0x3400, v0
	v_lshl_add_u32 v3, v16, 2, v34
	s_cmp_eq_u64 s[14:15], 0
	s_waitcnt vmcnt(3) lgkmcnt(0)
	v_fma_mixlo_f16 v5, s4, v8, 0
	v_fma_mixlo_f16 v8, s4, v9, 0
	v_lshlrev_b32_e32 v8, 16, v8
	s_waitcnt vmcnt(2)
	v_fma_mixlo_f16 v9, s4, v10, 0
	v_fma_mixlo_f16 v10, s4, v11, 0
	v_or_b32_sdwa v5, v8, v5 dst_sel:DWORD dst_unused:UNUSED_PAD src0_sel:DWORD src1_sel:WORD_0
	v_lshlrev_b32_e32 v8, 16, v10
	v_or_b32_sdwa v8, v8, v9 dst_sel:DWORD dst_unused:UNUSED_PAD src0_sel:DWORD src1_sel:WORD_0
	ds_write2_b32 v3, v5, v8 offset1:32
	s_waitcnt vmcnt(1)
	v_fma_mixlo_f16 v11, s4, v12, 0
	v_fma_mixlo_f16 v12, s4, v13, 0
	s_waitcnt vmcnt(0)
	v_fma_mixlo_f16 v5, s4, v6, 0
	v_fma_mixlo_f16 v6, s4, v7, 0
	v_lshlrev_b32_e32 v10, 16, v12
	v_lshlrev_b32_e32 v6, 16, v6
	v_or_b32_sdwa v9, v10, v11 dst_sel:DWORD dst_unused:UNUSED_PAD src0_sel:DWORD src1_sel:WORD_0
	v_or_b32_sdwa v5, v6, v5 dst_sel:DWORD dst_unused:UNUSED_PAD src0_sel:DWORD src1_sel:WORD_0
	ds_write2_b32 v3, v9, v5 offset0:64 offset1:96
	s_waitcnt lgkmcnt(0)
	s_barrier
	s_cbranch_scc1 .LBB21_4
; %bb.3:
	s_load_dword s4, s[0:1], 0xd0
	s_mov_b32 s5, 0
	s_waitcnt lgkmcnt(0)
	s_mul_i32 s4, s4, s33
	s_add_i32 s4, s4, s2
	s_lshl_b64 s[4:5], s[4:5], 2
	s_add_u32 s4, s14, s4
	s_addc_u32 s5, s15, s5
	s_load_dword s30, s[4:5], 0x0
.LBB21_4:
	s_lshl_b32 s2, s3, 6
	s_waitcnt lgkmcnt(0)
	s_cmp_lt_i32 s2, s30
	v_mbcnt_lo_u32_b32 v3, -1, 0
	s_cbranch_scc1 .LBB21_7
; %bb.5:
	v_mbcnt_hi_u32_b32 v29, -1, v3
	v_and_b32_e32 v5, 0x60, v29
	v_add_u32_e32 v35, 32, v5
	v_xor_b32_e32 v38, 16, v29
	v_xor_b32_e32 v39, 8, v29
	;; [unrolled: 1-line block ×5, first 2 shown]
	s_cbranch_execz .LBB21_8
; %bb.6:
	v_mov_b32_e32 v19, 0
	v_mov_b32_e32 v58, 0
	;; [unrolled: 1-line block ×12, first 2 shown]
	s_branch .LBB21_10
.LBB21_7:
                                        ; implicit-def: $vgpr29
                                        ; implicit-def: $vgpr35
                                        ; implicit-def: $vgpr38
                                        ; implicit-def: $vgpr39
                                        ; implicit-def: $vgpr40
                                        ; implicit-def: $vgpr37
                                        ; implicit-def: $vgpr36
.LBB21_8:
	s_sub_i32 s4, 0, s29
	s_mul_i32 s4, s4, s38
	s_mul_hi_u32 s4, s38, s4
	s_add_i32 s38, s38, s4
	s_load_dwordx2 s[4:5], s[0:1], 0x8c
	s_load_dwordx4 s[24:27], s[0:1], 0x98
	s_abs_i32 s14, s28
	s_mul_hi_u32 s15, s14, s38
	s_ashr_i32 s36, s28, 31
	s_waitcnt lgkmcnt(0)
	s_ashr_i32 s11, s4, 2
	s_ashr_i32 s4, s33, 31
	;; [unrolled: 1-line block ×4, first 2 shown]
	s_mul_hi_u32 s37, s24, s33
	s_mul_i32 s38, s24, s4
	s_add_i32 s37, s37, s38
	s_mul_i32 s25, s25, s33
	s_ashr_i32 s31, s31, 31
	s_add_i32 s37, s37, s25
	s_mul_i32 s24, s24, s33
	s_add_u32 s6, s6, s24
	s_mul_i32 s25, s15, s29
	s_addc_u32 s7, s7, s37
	s_sub_i32 s14, s14, s25
	s_xor_b32 s24, s36, s31
	s_add_i32 s25, s15, 1
	s_sub_i32 s31, s14, s29
	s_cmp_ge_u32 s14, s29
	s_cselect_b32 s15, s25, s15
	s_cselect_b32 s14, s31, s14
	s_add_i32 s25, s15, 1
	s_cmp_ge_u32 s14, s29
	s_load_dwordx2 s[20:21], s[0:1], 0xa8
	s_cselect_b32 s14, s25, s15
	s_xor_b32 s14, s14, s24
	s_sub_i32 s24, s14, s24
	s_mul_i32 s5, s24, s5
	s_ashr_i32 s15, s5, 31
	s_add_u32 s14, s6, s5
	s_waitcnt lgkmcnt(0)
	s_mul_hi_u32 s5, s20, s33
	s_mul_i32 s4, s20, s4
	s_addc_u32 s15, s7, s15
	s_add_i32 s4, s5, s4
	s_mul_i32 s5, s21, s33
	s_add_i32 s4, s4, s5
	s_mul_i32 s5, s20, s33
	s_add_u32 s5, s8, s5
	s_mul_i32 s24, s24, s27
	s_addc_u32 s4, s9, s4
	s_ashr_i32 s6, s24, 31
	v_lshrrev_b32_e32 v5, 3, v16
	v_lshlrev_b32_e32 v41, 2, v16
	s_add_u32 s8, s5, s24
	v_lshl_add_u32 v5, v4, 2, v5
	v_and_b32_e32 v4, 28, v41
	s_addc_u32 s9, s4, s6
	v_lshlrev_b32_e32 v6, 2, v4
	s_movk_i32 s4, 0x90
	v_mad_u32_u24 v42, v5, s4, v6
	v_mad_u64_u32 v[28:29], s[4:5], v1, s26, v[16:17]
	v_mul_lo_u32 v24, s11, v5
	v_mul_lo_u32 v30, s10, v5
	v_mbcnt_hi_u32_b32 v29, -1, v3
	v_mov_b32_e32 v23, 0
	v_lshl_add_u32 v26, s11, 5, v24
	v_add_u32_e32 v44, 0x2400, v0
	v_lshl_or_b32 v45, v5, 7, v6
	v_lshl_add_u32 v32, s10, 5, v30
	s_add_u32 s4, s0, 0xd0
	v_and_b32_e32 v1, 0x60, v29
	v_ashrrev_i32_e32 v25, 31, v24
	v_ashrrev_i32_e32 v27, 31, v26
	v_mul_u32_u24_e32 v43, 0x90, v16
	v_ashrrev_i32_e32 v31, 31, v30
	v_add_u32_e32 v46, 0x1000, v45
	v_ashrrev_i32_e32 v33, 31, v32
	s_addc_u32 s5, s1, 0
	v_mov_b32_e32 v0, 0xfeffffff
	v_lshlrev_b32_e32 v22, 2, v4
	v_add_u32_e32 v35, 32, v1
	v_xor_b32_e32 v38, 16, v29
	v_xor_b32_e32 v39, 8, v29
	;; [unrolled: 1-line block ×5, first 2 shown]
	s_mov_b32 s20, 0x3fb8aa3b
	s_mov_b32 s21, 0xc2ce8ed0
	;; [unrolled: 1-line block ×3, first 2 shown]
	v_mov_b32_e32 v47, 0x7f800000
	s_mov_b32 s25, 0x10001
	v_add_u32_e32 v48, v44, v2
	v_add_u32_e32 v49, 0x400, v41
	v_add_u32_e32 v50, 0x800, v41
	v_add_u32_e32 v51, 0xc00, v41
	v_add_u32_e32 v52, 0x1000, v41
	v_add_u32_e32 v53, 0x1400, v41
	v_add_u32_e32 v54, 0x1800, v41
	v_add_u32_e32 v55, 0x1c00, v41
	v_mov_b32_e32 v59, v23
	v_mov_b32_e32 v56, v23
	;; [unrolled: 1-line block ×11, first 2 shown]
.LBB21_9:                               ; =>This Inner Loop Header: Depth=1
	s_mul_hi_i32 s7, s2, s11
	s_mul_i32 s6, s2, s11
	s_lshl_b64 s[6:7], s[6:7], 2
	s_add_u32 s6, s14, s6
	s_addc_u32 s7, s15, s7
	v_mov_b32_e32 v62, v1
	v_mov_b32_e32 v63, v0
	v_lshl_add_u64 v[0:1], v[24:25], 2, s[6:7]
	v_lshl_add_u64 v[0:1], v[0:1], 0, v[22:23]
	v_mov_b32_e32 v60, v3
	v_mov_b32_e32 v61, v2
	global_load_dwordx4 v[0:3], v[0:1], off
	v_add_u32_e32 v4, 0x1200, v42
	v_mov_b32_e32 v64, 0
	v_mov_b32_e32 v65, 0
	;; [unrolled: 1-line block ×4, first 2 shown]
	v_cmp_lt_i32_e32 vcc, v38, v35
	s_waitcnt vmcnt(0)
	ds_write_b128 v42, v[0:3]
	v_lshl_add_u64 v[0:1], v[26:27], 2, s[6:7]
	v_lshl_add_u64 v[0:1], v[0:1], 0, v[22:23]
	global_load_dwordx4 v[0:3], v[0:1], off
	s_mul_hi_i32 s7, s2, s10
	s_mul_i32 s6, s2, s10
	s_lshl_b64 s[6:7], s[6:7], 2
	s_add_u32 s6, s8, s6
	s_addc_u32 s7, s9, s7
	s_waitcnt vmcnt(0)
	ds_write_b128 v4, v[0:3]
	s_waitcnt lgkmcnt(0)
	s_barrier
	ds_read_b128 v[68:71], v43
	ds_read_b128 v[0:3], v43 offset:4608
	ds_read_b128 v[72:75], v34
	ds_read_b128 v[12:15], v34 offset:128
	ds_read_b128 v[8:11], v34 offset:256
	ds_read_b128 v[4:7], v34 offset:384
	s_waitcnt lgkmcnt(3)
	;;#ASMSTART
	v_dot2_f32_f16 v64, v68, v72, v64
	;;#ASMEND
	s_nop 0
	;;#ASMSTART
	v_dot2_f32_f16 v64, v69, v73, v64
	;;#ASMEND
	s_nop 0
	;;#ASMSTART
	v_dot2_f32_f16 v64, v70, v74, v64
	;;#ASMEND
	s_nop 0
	;;#ASMSTART
	v_dot2_f32_f16 v64, v71, v75, v64
	;;#ASMEND
	s_waitcnt lgkmcnt(2)
	;;#ASMSTART
	v_dot2_f32_f16 v65, v68, v12, v65
	;;#ASMEND
	s_nop 0
	;;#ASMSTART
	v_dot2_f32_f16 v65, v69, v13, v65
	;;#ASMEND
	s_nop 0
	;;#ASMSTART
	v_dot2_f32_f16 v65, v70, v14, v65
	;;#ASMEND
	s_nop 0
	;;#ASMSTART
	v_dot2_f32_f16 v65, v71, v15, v65
	;;#ASMEND
	;; [unrolled: 16-line block ×3, first 2 shown]
	s_waitcnt lgkmcnt(0)
	;;#ASMSTART
	v_dot2_f32_f16 v67, v68, v4, v67
	;;#ASMEND
	v_mov_b32_e32 v68, 0
	;;#ASMSTART
	v_dot2_f32_f16 v67, v69, v5, v67
	;;#ASMEND
	v_mov_b32_e32 v69, 0
	;;#ASMSTART
	v_dot2_f32_f16 v67, v70, v6, v67
	;;#ASMEND
	s_nop 0
	;;#ASMSTART
	v_dot2_f32_f16 v67, v71, v7, v67
	;;#ASMEND
	;;#ASMSTART
	v_dot2_f32_f16 v68, v0, v72, v68
	;;#ASMEND
	s_nop 0
	;;#ASMSTART
	v_dot2_f32_f16 v68, v1, v73, v68
	;;#ASMEND
	s_nop 0
	;; [unrolled: 4-line block ×3, first 2 shown]
	;;#ASMSTART
	v_dot2_f32_f16 v68, v3, v75, v68
	;;#ASMEND
	;;#ASMSTART
	v_dot2_f32_f16 v69, v0, v12, v69
	;;#ASMEND
	v_mov_b32_e32 v12, 0
	;;#ASMSTART
	v_dot2_f32_f16 v69, v1, v13, v69
	;;#ASMEND
	s_nop 0
	;;#ASMSTART
	v_dot2_f32_f16 v69, v2, v14, v69
	;;#ASMEND
	s_nop 0
	;;#ASMSTART
	v_dot2_f32_f16 v69, v3, v15, v69
	;;#ASMEND
	;;#ASMSTART
	v_dot2_f32_f16 v12, v0, v8, v12
	;;#ASMEND
	v_mov_b32_e32 v8, 0
	;;#ASMSTART
	v_dot2_f32_f16 v12, v1, v9, v12
	;;#ASMEND
	s_nop 0
	;;#ASMSTART
	v_dot2_f32_f16 v12, v2, v10, v12
	;;#ASMEND
	s_nop 0
	;;#ASMSTART
	v_dot2_f32_f16 v12, v3, v11, v12
	;;#ASMEND
	;;#ASMSTART
	v_dot2_f32_f16 v8, v0, v4, v8
	;;#ASMEND
	s_nop 0
	;;#ASMSTART
	v_dot2_f32_f16 v8, v1, v5, v8
	;;#ASMEND
	s_nop 0
	;; [unrolled: 4-line block ×3, first 2 shown]
	;;#ASMSTART
	v_dot2_f32_f16 v8, v3, v7, v8
	;;#ASMEND
	ds_read_b128 v[0:3], v43 offset:16
	ds_read_b128 v[4:7], v43 offset:4624
	;; [unrolled: 1-line block ×6, first 2 shown]
	s_waitcnt lgkmcnt(3)
	;;#ASMSTART
	v_dot2_f32_f16 v64, v0, v70, v64
	;;#ASMEND
	s_nop 0
	;;#ASMSTART
	v_dot2_f32_f16 v64, v1, v71, v64
	;;#ASMEND
	s_nop 0
	;;#ASMSTART
	v_dot2_f32_f16 v64, v2, v72, v64
	;;#ASMEND
	s_nop 0
	;;#ASMSTART
	v_dot2_f32_f16 v64, v3, v73, v64
	;;#ASMEND
	s_waitcnt lgkmcnt(2)
	;;#ASMSTART
	v_dot2_f32_f16 v65, v0, v74, v65
	;;#ASMEND
	s_nop 0
	;;#ASMSTART
	v_dot2_f32_f16 v65, v1, v75, v65
	;;#ASMEND
	s_nop 0
	;;#ASMSTART
	v_dot2_f32_f16 v65, v2, v76, v65
	;;#ASMEND
	s_nop 0
	;;#ASMSTART
	v_dot2_f32_f16 v65, v3, v77, v65
	;;#ASMEND
	;; [unrolled: 16-line block ×4, first 2 shown]
	;;#ASMSTART
	v_dot2_f32_f16 v68, v4, v70, v68
	;;#ASMEND
	s_nop 0
	;;#ASMSTART
	v_dot2_f32_f16 v68, v5, v71, v68
	;;#ASMEND
	s_nop 0
	;;#ASMSTART
	v_dot2_f32_f16 v68, v6, v72, v68
	;;#ASMEND
	s_nop 0
	;;#ASMSTART
	v_dot2_f32_f16 v68, v7, v73, v68
	;;#ASMEND
	;;#ASMSTART
	v_dot2_f32_f16 v69, v4, v74, v69
	;;#ASMEND
	s_nop 0
	;;#ASMSTART
	v_dot2_f32_f16 v69, v5, v75, v69
	;;#ASMEND
	s_nop 0
	;;#ASMSTART
	v_dot2_f32_f16 v69, v6, v76, v69
	;;#ASMEND
	s_nop 0
	;;#ASMSTART
	v_dot2_f32_f16 v69, v7, v77, v69
	;;#ASMEND
	;; [unrolled: 15-line block ×4, first 2 shown]
	ds_read_b128 v[0:3], v43 offset:32
	ds_read_b128 v[4:7], v43 offset:4640
	;; [unrolled: 1-line block ×6, first 2 shown]
	s_waitcnt lgkmcnt(3)
	;;#ASMSTART
	v_dot2_f32_f16 v64, v0, v70, v64
	;;#ASMEND
	s_nop 0
	;;#ASMSTART
	v_dot2_f32_f16 v64, v1, v71, v64
	;;#ASMEND
	s_nop 0
	;;#ASMSTART
	v_dot2_f32_f16 v64, v2, v72, v64
	;;#ASMEND
	s_nop 0
	;;#ASMSTART
	v_dot2_f32_f16 v64, v3, v73, v64
	;;#ASMEND
	s_waitcnt lgkmcnt(2)
	;;#ASMSTART
	v_dot2_f32_f16 v65, v0, v74, v65
	;;#ASMEND
	s_nop 0
	;;#ASMSTART
	v_dot2_f32_f16 v65, v1, v75, v65
	;;#ASMEND
	s_nop 0
	;;#ASMSTART
	v_dot2_f32_f16 v65, v2, v76, v65
	;;#ASMEND
	s_nop 0
	;;#ASMSTART
	v_dot2_f32_f16 v65, v3, v77, v65
	;;#ASMEND
	;; [unrolled: 16-line block ×4, first 2 shown]
	;;#ASMSTART
	v_dot2_f32_f16 v68, v4, v70, v68
	;;#ASMEND
	s_nop 0
	;;#ASMSTART
	v_dot2_f32_f16 v68, v5, v71, v68
	;;#ASMEND
	s_nop 0
	;;#ASMSTART
	v_dot2_f32_f16 v68, v6, v72, v68
	;;#ASMEND
	s_nop 0
	;;#ASMSTART
	v_dot2_f32_f16 v68, v7, v73, v68
	;;#ASMEND
	;;#ASMSTART
	v_dot2_f32_f16 v69, v4, v74, v69
	;;#ASMEND
	s_nop 0
	;;#ASMSTART
	v_dot2_f32_f16 v69, v5, v75, v69
	;;#ASMEND
	s_nop 0
	;;#ASMSTART
	v_dot2_f32_f16 v69, v6, v76, v69
	;;#ASMEND
	s_nop 0
	;;#ASMSTART
	v_dot2_f32_f16 v69, v7, v77, v69
	;;#ASMEND
	;;#ASMSTART
	v_dot2_f32_f16 v12, v4, v78, v12
	;;#ASMEND
	s_nop 0
	;;#ASMSTART
	v_dot2_f32_f16 v12, v5, v79, v12
	;;#ASMEND
	s_nop 0
	;;#ASMSTART
	v_dot2_f32_f16 v12, v6, v80, v12
	;;#ASMEND
	s_nop 0
	;;#ASMSTART
	v_dot2_f32_f16 v12, v7, v81, v12
	;;#ASMEND
	;;#ASMSTART
	v_dot2_f32_f16 v8, v4, v82, v8
	;;#ASMEND
	s_nop 0
	;;#ASMSTART
	v_dot2_f32_f16 v8, v5, v83, v8
	;;#ASMEND
	s_nop 0
	;;#ASMSTART
	v_dot2_f32_f16 v8, v6, v84, v8
	;;#ASMEND
	s_nop 0
	;;#ASMSTART
	v_dot2_f32_f16 v8, v7, v85, v8
	;;#ASMEND
	ds_read_b128 v[0:3], v43 offset:48
	ds_read_b128 v[4:7], v43 offset:4656
	;; [unrolled: 1-line block ×6, first 2 shown]
	s_waitcnt lgkmcnt(3)
	;;#ASMSTART
	v_dot2_f32_f16 v64, v0, v70, v64
	;;#ASMEND
	s_nop 0
	;;#ASMSTART
	v_dot2_f32_f16 v64, v1, v71, v64
	;;#ASMEND
	s_nop 0
	;;#ASMSTART
	v_dot2_f32_f16 v64, v2, v72, v64
	;;#ASMEND
	s_nop 0
	;;#ASMSTART
	v_dot2_f32_f16 v64, v3, v73, v64
	;;#ASMEND
	s_waitcnt lgkmcnt(2)
	;;#ASMSTART
	v_dot2_f32_f16 v65, v0, v74, v65
	;;#ASMEND
	s_nop 0
	;;#ASMSTART
	v_dot2_f32_f16 v65, v1, v75, v65
	;;#ASMEND
	s_nop 0
	;;#ASMSTART
	v_dot2_f32_f16 v65, v2, v76, v65
	;;#ASMEND
	s_nop 0
	;;#ASMSTART
	v_dot2_f32_f16 v65, v3, v77, v65
	;;#ASMEND
	;; [unrolled: 16-line block ×4, first 2 shown]
	;;#ASMSTART
	v_dot2_f32_f16 v68, v4, v70, v68
	;;#ASMEND
	s_nop 0
	;;#ASMSTART
	v_dot2_f32_f16 v68, v5, v71, v68
	;;#ASMEND
	s_nop 0
	;;#ASMSTART
	v_dot2_f32_f16 v68, v6, v72, v68
	;;#ASMEND
	s_nop 0
	;;#ASMSTART
	v_dot2_f32_f16 v68, v7, v73, v68
	;;#ASMEND
	;;#ASMSTART
	v_dot2_f32_f16 v69, v4, v74, v69
	;;#ASMEND
	s_nop 0
	;;#ASMSTART
	v_dot2_f32_f16 v69, v5, v75, v69
	;;#ASMEND
	s_nop 0
	;;#ASMSTART
	v_dot2_f32_f16 v69, v6, v76, v69
	;;#ASMEND
	s_nop 0
	;;#ASMSTART
	v_dot2_f32_f16 v69, v7, v77, v69
	;;#ASMEND
	;; [unrolled: 15-line block ×4, first 2 shown]
	ds_read_b128 v[0:3], v43 offset:64
	ds_read_b128 v[4:7], v43 offset:4672
	;; [unrolled: 1-line block ×6, first 2 shown]
	s_waitcnt lgkmcnt(3)
	;;#ASMSTART
	v_dot2_f32_f16 v64, v0, v70, v64
	;;#ASMEND
	s_nop 0
	;;#ASMSTART
	v_dot2_f32_f16 v64, v1, v71, v64
	;;#ASMEND
	s_nop 0
	;;#ASMSTART
	v_dot2_f32_f16 v64, v2, v72, v64
	;;#ASMEND
	s_nop 0
	;;#ASMSTART
	v_dot2_f32_f16 v64, v3, v73, v64
	;;#ASMEND
	s_waitcnt lgkmcnt(2)
	;;#ASMSTART
	v_dot2_f32_f16 v65, v0, v74, v65
	;;#ASMEND
	s_nop 0
	;;#ASMSTART
	v_dot2_f32_f16 v65, v1, v75, v65
	;;#ASMEND
	s_nop 0
	;;#ASMSTART
	v_dot2_f32_f16 v65, v2, v76, v65
	;;#ASMEND
	s_nop 0
	;;#ASMSTART
	v_dot2_f32_f16 v65, v3, v77, v65
	;;#ASMEND
	;; [unrolled: 16-line block ×4, first 2 shown]
	;;#ASMSTART
	v_dot2_f32_f16 v68, v4, v70, v68
	;;#ASMEND
	s_nop 0
	;;#ASMSTART
	v_dot2_f32_f16 v68, v5, v71, v68
	;;#ASMEND
	s_nop 0
	;;#ASMSTART
	v_dot2_f32_f16 v68, v6, v72, v68
	;;#ASMEND
	s_nop 0
	;;#ASMSTART
	v_dot2_f32_f16 v68, v7, v73, v68
	;;#ASMEND
	;;#ASMSTART
	v_dot2_f32_f16 v69, v4, v74, v69
	;;#ASMEND
	s_nop 0
	;;#ASMSTART
	v_dot2_f32_f16 v69, v5, v75, v69
	;;#ASMEND
	s_nop 0
	;;#ASMSTART
	v_dot2_f32_f16 v69, v6, v76, v69
	;;#ASMEND
	s_nop 0
	;;#ASMSTART
	v_dot2_f32_f16 v69, v7, v77, v69
	;;#ASMEND
	;; [unrolled: 15-line block ×4, first 2 shown]
	ds_read_b128 v[0:3], v43 offset:80
	ds_read_b128 v[4:7], v43 offset:4688
	;; [unrolled: 1-line block ×6, first 2 shown]
	s_waitcnt lgkmcnt(3)
	;;#ASMSTART
	v_dot2_f32_f16 v64, v0, v70, v64
	;;#ASMEND
	s_nop 0
	;;#ASMSTART
	v_dot2_f32_f16 v64, v1, v71, v64
	;;#ASMEND
	s_nop 0
	;;#ASMSTART
	v_dot2_f32_f16 v64, v2, v72, v64
	;;#ASMEND
	s_nop 0
	;;#ASMSTART
	v_dot2_f32_f16 v64, v3, v73, v64
	;;#ASMEND
	s_waitcnt lgkmcnt(2)
	;;#ASMSTART
	v_dot2_f32_f16 v65, v0, v74, v65
	;;#ASMEND
	s_nop 0
	;;#ASMSTART
	v_dot2_f32_f16 v65, v1, v75, v65
	;;#ASMEND
	s_nop 0
	;;#ASMSTART
	v_dot2_f32_f16 v65, v2, v76, v65
	;;#ASMEND
	s_nop 0
	;;#ASMSTART
	v_dot2_f32_f16 v65, v3, v77, v65
	;;#ASMEND
	s_waitcnt lgkmcnt(1)
	;;#ASMSTART
	v_dot2_f32_f16 v66, v0, v78, v66
	;;#ASMEND
	s_nop 0
	;;#ASMSTART
	v_dot2_f32_f16 v66, v1, v79, v66
	;;#ASMEND
	s_nop 0
	;;#ASMSTART
	v_dot2_f32_f16 v66, v2, v80, v66
	;;#ASMEND
	s_nop 0
	;;#ASMSTART
	v_dot2_f32_f16 v66, v3, v81, v66
	;;#ASMEND
	s_waitcnt lgkmcnt(0)
	;;#ASMSTART
	v_dot2_f32_f16 v67, v0, v82, v67
	;;#ASMEND
	s_nop 0
	;;#ASMSTART
	v_dot2_f32_f16 v67, v1, v83, v67
	;;#ASMEND
	s_nop 0
	;;#ASMSTART
	v_dot2_f32_f16 v67, v2, v84, v67
	;;#ASMEND
	s_nop 0
	;;#ASMSTART
	v_dot2_f32_f16 v67, v3, v85, v67
	;;#ASMEND
	;;#ASMSTART
	v_dot2_f32_f16 v68, v4, v70, v68
	;;#ASMEND
	s_nop 0
	;;#ASMSTART
	v_dot2_f32_f16 v68, v5, v71, v68
	;;#ASMEND
	s_nop 0
	;;#ASMSTART
	v_dot2_f32_f16 v68, v6, v72, v68
	;;#ASMEND
	s_nop 0
	;;#ASMSTART
	v_dot2_f32_f16 v68, v7, v73, v68
	;;#ASMEND
	;;#ASMSTART
	v_dot2_f32_f16 v69, v4, v74, v69
	;;#ASMEND
	s_nop 0
	;;#ASMSTART
	v_dot2_f32_f16 v69, v5, v75, v69
	;;#ASMEND
	s_nop 0
	;;#ASMSTART
	v_dot2_f32_f16 v69, v6, v76, v69
	;;#ASMEND
	s_nop 0
	;;#ASMSTART
	v_dot2_f32_f16 v69, v7, v77, v69
	;;#ASMEND
	;; [unrolled: 15-line block ×4, first 2 shown]
	ds_read_b128 v[0:3], v43 offset:96
	ds_read_b128 v[4:7], v43 offset:4704
	;; [unrolled: 1-line block ×6, first 2 shown]
	s_waitcnt lgkmcnt(3)
	;;#ASMSTART
	v_dot2_f32_f16 v64, v0, v70, v64
	;;#ASMEND
	s_nop 0
	;;#ASMSTART
	v_dot2_f32_f16 v64, v1, v71, v64
	;;#ASMEND
	s_nop 0
	;;#ASMSTART
	v_dot2_f32_f16 v64, v2, v72, v64
	;;#ASMEND
	s_nop 0
	;;#ASMSTART
	v_dot2_f32_f16 v64, v3, v73, v64
	;;#ASMEND
	s_waitcnt lgkmcnt(2)
	;;#ASMSTART
	v_dot2_f32_f16 v65, v0, v74, v65
	;;#ASMEND
	s_nop 0
	;;#ASMSTART
	v_dot2_f32_f16 v65, v1, v75, v65
	;;#ASMEND
	s_nop 0
	;;#ASMSTART
	v_dot2_f32_f16 v65, v2, v76, v65
	;;#ASMEND
	s_nop 0
	;;#ASMSTART
	v_dot2_f32_f16 v65, v3, v77, v65
	;;#ASMEND
	;; [unrolled: 16-line block ×4, first 2 shown]
	;;#ASMSTART
	v_dot2_f32_f16 v68, v4, v70, v68
	;;#ASMEND
	s_nop 0
	;;#ASMSTART
	v_dot2_f32_f16 v68, v5, v71, v68
	;;#ASMEND
	s_nop 0
	;;#ASMSTART
	v_dot2_f32_f16 v68, v6, v72, v68
	;;#ASMEND
	s_nop 0
	;;#ASMSTART
	v_dot2_f32_f16 v68, v7, v73, v68
	;;#ASMEND
	;;#ASMSTART
	v_dot2_f32_f16 v69, v4, v74, v69
	;;#ASMEND
	s_nop 0
	;;#ASMSTART
	v_dot2_f32_f16 v69, v5, v75, v69
	;;#ASMEND
	s_nop 0
	;;#ASMSTART
	v_dot2_f32_f16 v69, v6, v76, v69
	;;#ASMEND
	s_nop 0
	;;#ASMSTART
	v_dot2_f32_f16 v69, v7, v77, v69
	;;#ASMEND
	;; [unrolled: 15-line block ×4, first 2 shown]
	ds_read_b128 v[0:3], v43 offset:112
	ds_read_b128 v[4:7], v43 offset:4720
	;; [unrolled: 1-line block ×6, first 2 shown]
	s_waitcnt lgkmcnt(3)
	;;#ASMSTART
	v_dot2_f32_f16 v64, v0, v70, v64
	;;#ASMEND
	s_nop 0
	;;#ASMSTART
	v_dot2_f32_f16 v64, v1, v71, v64
	;;#ASMEND
	s_nop 0
	;;#ASMSTART
	v_dot2_f32_f16 v64, v2, v72, v64
	;;#ASMEND
	s_nop 0
	;;#ASMSTART
	v_dot2_f32_f16 v64, v3, v73, v64
	;;#ASMEND
	s_waitcnt lgkmcnt(2)
	;;#ASMSTART
	v_dot2_f32_f16 v65, v0, v74, v65
	;;#ASMEND
	s_nop 0
	;;#ASMSTART
	v_dot2_f32_f16 v65, v1, v75, v65
	;;#ASMEND
	s_nop 0
	;;#ASMSTART
	v_dot2_f32_f16 v65, v2, v76, v65
	;;#ASMEND
	s_nop 0
	;;#ASMSTART
	v_dot2_f32_f16 v65, v3, v77, v65
	;;#ASMEND
	;; [unrolled: 16-line block ×3, first 2 shown]
	s_waitcnt lgkmcnt(0)
	;;#ASMSTART
	v_dot2_f32_f16 v67, v0, v82, v67
	;;#ASMEND
	v_add_u32_e32 v0, s2, v28
	;;#ASMSTART
	v_dot2_f32_f16 v67, v1, v83, v67
	;;#ASMEND
	v_cndmask_b32_e32 v1, v29, v38, vcc
	;;#ASMSTART
	v_dot2_f32_f16 v67, v2, v84, v67
	;;#ASMEND
	v_cmp_lt_i32_e32 vcc, v39, v35
	;;#ASMSTART
	v_dot2_f32_f16 v67, v3, v85, v67
	;;#ASMEND
	;;#ASMSTART
	v_dot2_f32_f16 v68, v4, v70, v68
	;;#ASMEND
	v_lshlrev_b32_e32 v3, 2, v1
	;;#ASMSTART
	v_dot2_f32_f16 v68, v5, v71, v68
	;;#ASMEND
	s_nop 0
	;;#ASMSTART
	v_dot2_f32_f16 v68, v6, v72, v68
	;;#ASMEND
	v_cndmask_b32_e32 v1, v29, v39, vcc
	;;#ASMSTART
	v_dot2_f32_f16 v68, v7, v73, v68
	;;#ASMEND
	;;#ASMSTART
	v_dot2_f32_f16 v69, v4, v74, v69
	;;#ASMEND
	v_cmp_lt_i32_e32 vcc, v40, v35
	;;#ASMSTART
	v_dot2_f32_f16 v69, v5, v75, v69
	;;#ASMEND
	s_nop 0
	;;#ASMSTART
	v_dot2_f32_f16 v69, v6, v76, v69
	;;#ASMEND
	s_nop 0
	;;#ASMSTART
	v_dot2_f32_f16 v69, v7, v77, v69
	;;#ASMEND
	;;#ASMSTART
	v_dot2_f32_f16 v12, v4, v78, v12
	;;#ASMEND
	s_nop 0
	;;#ASMSTART
	v_dot2_f32_f16 v12, v5, v79, v12
	;;#ASMEND
	s_nop 0
	;; [unrolled: 4-line block ×3, first 2 shown]
	;;#ASMSTART
	v_dot2_f32_f16 v12, v7, v81, v12
	;;#ASMEND
	;;#ASMSTART
	v_dot2_f32_f16 v8, v4, v82, v8
	;;#ASMEND
	v_lshlrev_b32_e32 v4, 2, v1
	v_cndmask_b32_e32 v1, v29, v40, vcc
	v_cmp_lt_i32_e32 vcc, v37, v35
	;;#ASMSTART
	v_dot2_f32_f16 v8, v5, v83, v8
	;;#ASMEND
	v_lshlrev_b32_e32 v5, 2, v1
	;;#ASMSTART
	v_dot2_f32_f16 v8, v6, v84, v8
	;;#ASMEND
	s_nop 0
	v_cndmask_b32_e32 v1, v29, v37, vcc
	v_cmp_lt_i32_e32 vcc, v36, v35
	v_lshlrev_b32_e32 v6, 2, v1
	;;#ASMSTART
	v_dot2_f32_f16 v8, v7, v85, v8
	;;#ASMEND
	s_nop 0
	v_cndmask_b32_e32 v1, v29, v36, vcc
	v_lshlrev_b32_e32 v7, 2, v1
	v_ashrrev_i32_e32 v1, 31, v0
	v_lshl_add_u64 v[0:1], v[0:1], 1, s[34:35]
	global_load_ushort v2, v[0:1], off
	s_waitcnt vmcnt(0)
	v_cvt_f32_f16_e32 v9, v2
	global_load_ushort v0, v[0:1], off offset:64
	s_barrier
	v_add_f32_e32 v10, v64, v9
	v_add_f32_e32 v2, 0x40051340, v10
	;; [unrolled: 1-line block ×6, first 2 shown]
	s_waitcnt vmcnt(0)
	v_cvt_f32_f16_e32 v11, v0
	v_add_f32_e32 v13, v68, v11
	v_add_f32_e32 v0, 0x40051340, v13
	v_max3_f32 v0, v63, v2, v0
	ds_bpermute_b32 v1, v3, v0
	v_add_f32_e32 v15, v69, v11
	v_add_f32_e32 v2, 0x40051340, v15
	;; [unrolled: 1-line block ×4, first 2 shown]
	s_waitcnt lgkmcnt(0)
	v_max_f32_e32 v1, v1, v1
	v_max_f32_e32 v0, v0, v1
	ds_bpermute_b32 v1, v4, v0
	v_add_f32_e32 v12, 0x40051340, v65
	v_add_f32_e32 v8, 0x40051340, v11
	v_max3_f32 v8, v60, v9, v8
	s_waitcnt lgkmcnt(0)
	v_max_f32_e32 v1, v1, v1
	v_max_f32_e32 v0, v0, v1
	ds_bpermute_b32 v1, v5, v0
	s_waitcnt lgkmcnt(0)
	v_max_f32_e32 v1, v1, v1
	v_max_f32_e32 v0, v0, v1
	ds_bpermute_b32 v1, v6, v0
	;; [unrolled: 4-line block ×3, first 2 shown]
	s_waitcnt lgkmcnt(0)
	v_max_f32_e32 v1, v1, v1
	v_max_f32_e32 v0, v0, v1
	v_add_f32_e32 v1, 0x40051340, v14
	v_max3_f32 v1, v62, v1, v2
	ds_bpermute_b32 v2, v3, v1
	s_waitcnt lgkmcnt(0)
	v_max_f32_e32 v2, v2, v2
	v_max_f32_e32 v1, v1, v2
	ds_bpermute_b32 v2, v4, v1
	s_waitcnt lgkmcnt(0)
	v_max_f32_e32 v2, v2, v2
	v_max_f32_e32 v1, v1, v2
	;; [unrolled: 4-line block ×5, first 2 shown]
	v_add_f32_e32 v2, 0x40051340, v64
	v_max3_f32 v2, v61, v2, v12
	ds_bpermute_b32 v12, v3, v2
	ds_bpermute_b32 v3, v3, v8
	s_waitcnt lgkmcnt(1)
	v_max_f32_e32 v12, v12, v12
	s_waitcnt lgkmcnt(0)
	v_max_f32_e32 v3, v3, v3
	v_max_f32_e32 v2, v2, v12
	;; [unrolled: 1-line block ×3, first 2 shown]
	ds_bpermute_b32 v12, v4, v2
	ds_bpermute_b32 v4, v4, v3
	s_waitcnt lgkmcnt(1)
	v_max_f32_e32 v12, v12, v12
	s_waitcnt lgkmcnt(0)
	v_max_f32_e32 v4, v4, v4
	v_max_f32_e32 v3, v3, v4
	ds_bpermute_b32 v4, v5, v3
	v_max_f32_e32 v2, v2, v12
	ds_bpermute_b32 v12, v5, v2
	v_sub_f32_e32 v5, v63, v0
	s_waitcnt lgkmcnt(1)
	v_max_f32_e32 v4, v4, v4
	v_max_f32_e32 v3, v3, v4
	ds_bpermute_b32 v4, v6, v3
	s_waitcnt lgkmcnt(1)
	v_max_f32_e32 v12, v12, v12
	v_max_f32_e32 v2, v2, v12
	ds_bpermute_b32 v12, v6, v2
	;; [unrolled: 4-line block ×4, first 2 shown]
	s_waitcnt lgkmcnt(1)
	v_max_f32_e32 v4, v4, v4
	v_max_f32_e32 v3, v3, v4
	v_sub_f32_e32 v4, v10, v0
	v_mul_f32_e32 v6, 0x3fb8aa3b, v4
	v_fma_f32 v7, v4, s20, -v6
	v_rndne_f32_e32 v8, v6
	v_fmac_f32_e32 v7, 0x32a5705f, v4
	v_sub_f32_e32 v6, v6, v8
	v_add_f32_e32 v6, v6, v7
	v_exp_f32_e32 v6, v6
	v_cvt_i32_f32_e32 v7, v8
	v_cmp_ngt_f32_e32 vcc, s21, v4
	s_waitcnt lgkmcnt(0)
	v_max_f32_e32 v12, v12, v12
	v_max_f32_e32 v2, v2, v12
	v_ldexp_f32 v6, v6, v7
	v_cndmask_b32_e32 v6, 0, v6, vcc
	v_cmp_nlt_f32_e32 vcc, s24, v4
	v_sub_f32_e32 v11, v11, v3
	v_sub_f32_e32 v60, v60, v3
	v_cndmask_b32_e32 v4, v47, v6, vcc
	v_sub_f32_e32 v6, v13, v0
	v_mul_f32_e32 v7, 0x3fb8aa3b, v6
	v_fma_f32 v8, v6, s20, -v7
	v_rndne_f32_e32 v9, v7
	v_fmac_f32_e32 v8, 0x32a5705f, v6
	v_sub_f32_e32 v7, v7, v9
	v_add_f32_e32 v7, v7, v8
	v_exp_f32_e32 v7, v7
	v_cvt_i32_f32_e32 v8, v9
	v_cmp_ngt_f32_e32 vcc, s21, v6
	v_ldexp_f32 v7, v7, v8
	s_nop 0
	v_cndmask_b32_e32 v7, 0, v7, vcc
	v_cmp_nlt_f32_e32 vcc, s24, v6
	s_nop 1
	v_cndmask_b32_e32 v6, v47, v7, vcc
	v_mul_f32_e32 v7, 0x3fb8aa3b, v5
	v_fma_f32 v8, v5, s20, -v7
	v_rndne_f32_e32 v9, v7
	v_fmac_f32_e32 v8, 0x32a5705f, v5
	v_sub_f32_e32 v7, v7, v9
	v_add_f32_e32 v7, v7, v8
	v_exp_f32_e32 v7, v7
	v_cvt_i32_f32_e32 v8, v9
	v_cmp_ngt_f32_e32 vcc, s21, v5
	v_sub_f32_e32 v9, v62, v1
	v_ldexp_f32 v7, v7, v8
	v_cndmask_b32_e32 v7, 0, v7, vcc
	v_cmp_nlt_f32_e32 vcc, s24, v5
	s_nop 1
	v_cndmask_b32_e32 v12, v47, v7, vcc
	v_cvt_f16_f32_e32 v5, v12
	v_mul_u32_u24_e32 v8, 0x10001, v5
	v_sub_f32_e32 v5, v14, v1
	v_mul_f32_e32 v7, 0x3fb8aa3b, v5
	v_fma_f32 v10, v5, s20, -v7
	v_rndne_f32_e32 v13, v7
	v_fmac_f32_e32 v10, 0x32a5705f, v5
	v_sub_f32_e32 v7, v7, v13
	v_add_f32_e32 v7, v7, v10
	v_exp_f32_e32 v7, v7
	v_cvt_i32_f32_e32 v10, v13
	v_cmp_ngt_f32_e32 vcc, s21, v5
	v_ldexp_f32 v7, v7, v10
	s_nop 0
	v_cndmask_b32_e32 v7, 0, v7, vcc
	v_cmp_nlt_f32_e32 vcc, s24, v5
	s_nop 1
	v_cndmask_b32_e32 v5, v47, v7, vcc
	v_sub_f32_e32 v7, v15, v1
	v_mul_f32_e32 v10, 0x3fb8aa3b, v7
	v_fma_f32 v13, v7, s20, -v10
	v_rndne_f32_e32 v14, v10
	v_fmac_f32_e32 v13, 0x32a5705f, v7
	v_sub_f32_e32 v10, v10, v14
	v_add_f32_e32 v10, v10, v13
	v_exp_f32_e32 v10, v10
	v_cvt_i32_f32_e32 v13, v14
	v_cmp_ngt_f32_e32 vcc, s21, v7
	v_ldexp_f32 v10, v10, v13
	s_nop 0
	v_cndmask_b32_e32 v10, 0, v10, vcc
	v_cmp_nlt_f32_e32 vcc, s24, v7
	s_nop 1
	v_cndmask_b32_e32 v7, v47, v10, vcc
	v_mul_f32_e32 v10, 0x3fb8aa3b, v9
	v_fma_f32 v13, v9, s20, -v10
	v_rndne_f32_e32 v14, v10
	v_fmac_f32_e32 v13, 0x32a5705f, v9
	v_sub_f32_e32 v10, v10, v14
	v_add_f32_e32 v10, v10, v13
	v_exp_f32_e32 v10, v10
	v_cvt_i32_f32_e32 v13, v14
	v_cmp_ngt_f32_e32 vcc, s21, v9
	v_sub_f32_e32 v14, v64, v2
	v_mul_f32_e32 v15, 0x3fb8aa3b, v14
	v_ldexp_f32 v10, v10, v13
	v_cndmask_b32_e32 v10, 0, v10, vcc
	v_cmp_nlt_f32_e32 vcc, s24, v9
	v_rndne_f32_e32 v62, v15
	s_nop 0
	v_cndmask_b32_e32 v13, v47, v10, vcc
	v_sub_f32_e32 v10, v61, v2
	v_fma_f32 v61, v14, s20, -v15
	v_fmac_f32_e32 v61, 0x32a5705f, v14
	v_sub_f32_e32 v15, v15, v62
	v_add_f32_e32 v15, v15, v61
	v_exp_f32_e32 v15, v15
	v_cvt_i32_f32_e32 v61, v62
	v_cmp_ngt_f32_e32 vcc, s21, v14
	v_cvt_f16_f32_e32 v9, v13
	v_ldexp_f32 v15, v15, v61
	v_cndmask_b32_e32 v15, 0, v15, vcc
	v_cmp_nlt_f32_e32 vcc, s24, v14
	v_mul_u32_u24_e32 v9, 0x10001, v9
	s_nop 0
	v_cndmask_b32_e32 v14, v47, v15, vcc
	v_sub_f32_e32 v15, v65, v2
	v_mul_f32_e32 v61, 0x3fb8aa3b, v15
	v_fma_f32 v62, v15, s20, -v61
	v_rndne_f32_e32 v63, v61
	v_fmac_f32_e32 v62, 0x32a5705f, v15
	v_sub_f32_e32 v61, v61, v63
	v_add_f32_e32 v61, v61, v62
	v_exp_f32_e32 v61, v61
	v_cvt_i32_f32_e32 v62, v63
	v_cmp_ngt_f32_e32 vcc, s21, v15
	v_ldexp_f32 v61, v61, v62
	s_nop 0
	v_cndmask_b32_e32 v61, 0, v61, vcc
	v_cmp_nlt_f32_e32 vcc, s24, v15
	v_mul_f32_e32 v15, 0x3fb8aa3b, v10
	v_rndne_f32_e32 v63, v15
	v_cndmask_b32_e32 v62, v47, v61, vcc
	v_fma_f32 v61, v10, s20, -v15
	v_fmac_f32_e32 v61, 0x32a5705f, v10
	v_sub_f32_e32 v15, v15, v63
	v_add_f32_e32 v15, v15, v61
	v_exp_f32_e32 v15, v15
	v_cvt_i32_f32_e32 v61, v63
	v_cmp_ngt_f32_e32 vcc, s21, v10
	v_ldexp_f32 v15, v15, v61
	s_nop 0
	v_cndmask_b32_e32 v15, 0, v15, vcc
	v_cmp_nlt_f32_e32 vcc, s24, v10
	s_nop 1
	v_cndmask_b32_e32 v64, v47, v15, vcc
	v_sub_f32_e32 v15, v66, v3
	v_mul_f32_e32 v61, 0x3fb8aa3b, v15
	v_fma_f32 v63, v15, s20, -v61
	v_rndne_f32_e32 v65, v61
	v_fmac_f32_e32 v63, 0x32a5705f, v15
	v_sub_f32_e32 v61, v61, v65
	v_add_f32_e32 v61, v61, v63
	v_exp_f32_e32 v61, v61
	v_cvt_i32_f32_e32 v63, v65
	v_cmp_ngt_f32_e32 vcc, s21, v15
	v_cvt_f16_f32_e32 v10, v64
	v_ldexp_f32 v61, v61, v63
	v_cndmask_b32_e32 v61, 0, v61, vcc
	v_cmp_nlt_f32_e32 vcc, s24, v15
	v_mul_u32_u24_e32 v10, 0x10001, v10
	s_nop 0
	v_cndmask_b32_e32 v15, v47, v61, vcc
	v_mul_f32_e32 v61, 0x3fb8aa3b, v11
	v_fma_f32 v63, v11, s20, -v61
	v_rndne_f32_e32 v65, v61
	v_fmac_f32_e32 v63, 0x32a5705f, v11
	v_sub_f32_e32 v61, v61, v65
	v_add_f32_e32 v61, v61, v63
	v_exp_f32_e32 v61, v61
	v_cvt_i32_f32_e32 v63, v65
	v_cmp_ngt_f32_e32 vcc, s21, v11
	v_ldexp_f32 v61, v61, v63
	s_nop 0
	v_cndmask_b32_e32 v61, 0, v61, vcc
	v_cmp_nlt_f32_e32 vcc, s24, v11
	v_mul_f32_e32 v11, 0x3fb8aa3b, v60
	v_rndne_f32_e32 v65, v11
	v_cndmask_b32_e32 v63, v47, v61, vcc
	v_fma_f32 v61, v60, s20, -v11
	v_fmac_f32_e32 v61, 0x32a5705f, v60
	v_sub_f32_e32 v11, v11, v65
	v_add_f32_e32 v11, v11, v61
	v_exp_f32_e32 v11, v11
	v_cvt_i32_f32_e32 v61, v65
	v_cmp_ngt_f32_e32 vcc, s21, v60
	v_pk_add_f32 v[66:67], v[14:15], v[62:63]
	v_ldexp_f32 v11, v11, v61
	v_cndmask_b32_e32 v11, 0, v11, vcc
	v_cmp_nlt_f32_e32 vcc, s24, v60
	v_pk_add_f32 v[60:61], v[4:5], v[6:7]
	s_nop 0
	v_pk_fma_f32 v[20:21], v[20:21], v[12:13], v[60:61]
	v_cvt_pk_f16_f32 v13, v14, v15
	v_cvt_pk_f16_f32 v12, v4, v5
	;; [unrolled: 1-line block ×4, first 2 shown]
	ds_write2_b64 v48, v[12:13], v[4:5] offset1:32
	v_lshl_add_u64 v[4:5], v[30:31], 2, s[6:7]
	v_lshl_add_u64 v[6:7], v[32:33], 2, s[6:7]
	;; [unrolled: 1-line block ×4, first 2 shown]
	global_load_dwordx4 v[12:15], v[4:5], off
	v_cndmask_b32_e32 v65, v47, v11, vcc
	global_load_dwordx4 v[4:7], v[6:7], off
	v_cvt_f16_f32_e32 v11, v65
	v_pk_fma_f32 v[18:19], v[18:19], v[64:65], v[66:67]
	v_mul_u32_u24_e32 v11, 0x10001, v11
	v_pk_mul_f16 v11, v59, v11
	s_waitcnt vmcnt(1)
	ds_write_b128 v45, v[12:15]
	s_waitcnt vmcnt(0)
	ds_write_b128 v46, v[4:7]
	s_waitcnt lgkmcnt(0)
	s_barrier
	ds_read2_b32 v[68:69], v41 offset1:32
	ds_read_b128 v[4:7], v44
	ds_read_b128 v[12:15], v44 offset:16
	ds_read_b128 v[60:63], v44 offset:32
	;; [unrolled: 1-line block ×3, first 2 shown]
	s_waitcnt lgkmcnt(3)
	v_mul_u32_u24_sdwa v59, v4, s25 dst_sel:DWORD dst_unused:UNUSED_PAD src0_sel:WORD_0 src1_sel:DWORD
	v_mul_u32_u24_sdwa v4, v4, s25 dst_sel:DWORD dst_unused:UNUSED_PAD src0_sel:WORD_1 src1_sel:DWORD
	v_mul_u32_u24_sdwa v70, v5, s25 dst_sel:DWORD dst_unused:UNUSED_PAD src0_sel:WORD_0 src1_sel:DWORD
	v_pk_mul_f16 v4, v68, v4
	v_mul_u32_u24_sdwa v5, v5, s25 dst_sel:DWORD dst_unused:UNUSED_PAD src0_sel:WORD_1 src1_sel:DWORD
	v_pk_fma_f16 v4, v57, v9, v4
	v_pk_mul_f16 v9, v68, v70
	v_pk_fma_f16 v5, v68, v5, v11
	v_pk_fma_f16 v9, v56, v10, v9
	v_mul_u32_u24_sdwa v10, v6, s25 dst_sel:DWORD dst_unused:UNUSED_PAD src0_sel:WORD_0 src1_sel:DWORD
	v_mul_u32_u24_sdwa v6, v6, s25 dst_sel:DWORD dst_unused:UNUSED_PAD src0_sel:WORD_1 src1_sel:DWORD
	v_mul_u32_u24_sdwa v11, v7, s25 dst_sel:DWORD dst_unused:UNUSED_PAD src0_sel:WORD_0 src1_sel:DWORD
	v_mul_u32_u24_sdwa v7, v7, s25 dst_sel:DWORD dst_unused:UNUSED_PAD src0_sel:WORD_1 src1_sel:DWORD
	v_pk_fma_f16 v6, v69, v6, v4
	v_pk_fma_f16 v7, v69, v7, v5
	ds_read2_b32 v[4:5], v41 offset0:64 offset1:96
	v_pk_mul_f16 v59, v68, v59
	v_pk_fma_f16 v9, v69, v11, v9
	v_pk_fma_f16 v8, v58, v8, v59
	s_waitcnt lgkmcnt(3)
	v_mul_u32_u24_sdwa v11, v12, s25 dst_sel:DWORD dst_unused:UNUSED_PAD src0_sel:WORD_1 src1_sel:DWORD
	v_pk_fma_f16 v8, v69, v10, v8
	v_mul_u32_u24_sdwa v10, v12, s25 dst_sel:DWORD dst_unused:UNUSED_PAD src0_sel:WORD_0 src1_sel:DWORD
	v_mul_u32_u24_sdwa v12, v13, s25 dst_sel:DWORD dst_unused:UNUSED_PAD src0_sel:WORD_0 src1_sel:DWORD
	v_mul_u32_u24_sdwa v13, v13, s25 dst_sel:DWORD dst_unused:UNUSED_PAD src0_sel:WORD_1 src1_sel:DWORD
	s_waitcnt lgkmcnt(0)
	v_pk_fma_f16 v8, v4, v10, v8
	v_pk_fma_f16 v6, v4, v11, v6
	;; [unrolled: 1-line block ×4, first 2 shown]
	v_mul_u32_u24_sdwa v7, v14, s25 dst_sel:DWORD dst_unused:UNUSED_PAD src0_sel:WORD_0 src1_sel:DWORD
	v_mul_u32_u24_sdwa v10, v14, s25 dst_sel:DWORD dst_unused:UNUSED_PAD src0_sel:WORD_1 src1_sel:DWORD
	v_mul_u32_u24_sdwa v11, v15, s25 dst_sel:DWORD dst_unused:UNUSED_PAD src0_sel:WORD_0 src1_sel:DWORD
	v_mul_u32_u24_sdwa v12, v15, s25 dst_sel:DWORD dst_unused:UNUSED_PAD src0_sel:WORD_1 src1_sel:DWORD
	v_pk_fma_f16 v7, v5, v7, v8
	v_pk_fma_f16 v6, v5, v10, v6
	;; [unrolled: 1-line block ×4, first 2 shown]
	ds_read2_b32 v[4:5], v41 offset0:128 offset1:160
	v_mul_u32_u24_sdwa v10, v60, s25 dst_sel:DWORD dst_unused:UNUSED_PAD src0_sel:WORD_0 src1_sel:DWORD
	v_mul_u32_u24_sdwa v11, v60, s25 dst_sel:DWORD dst_unused:UNUSED_PAD src0_sel:WORD_1 src1_sel:DWORD
	v_mul_u32_u24_sdwa v12, v61, s25 dst_sel:DWORD dst_unused:UNUSED_PAD src0_sel:WORD_0 src1_sel:DWORD
	v_mul_u32_u24_sdwa v13, v61, s25 dst_sel:DWORD dst_unused:UNUSED_PAD src0_sel:WORD_1 src1_sel:DWORD
	s_waitcnt lgkmcnt(0)
	v_pk_fma_f16 v7, v4, v10, v7
	v_pk_fma_f16 v6, v4, v11, v6
	;; [unrolled: 1-line block ×4, first 2 shown]
	v_mul_u32_u24_sdwa v9, v62, s25 dst_sel:DWORD dst_unused:UNUSED_PAD src0_sel:WORD_0 src1_sel:DWORD
	v_mul_u32_u24_sdwa v10, v62, s25 dst_sel:DWORD dst_unused:UNUSED_PAD src0_sel:WORD_1 src1_sel:DWORD
	v_mul_u32_u24_sdwa v11, v63, s25 dst_sel:DWORD dst_unused:UNUSED_PAD src0_sel:WORD_0 src1_sel:DWORD
	v_mul_u32_u24_sdwa v12, v63, s25 dst_sel:DWORD dst_unused:UNUSED_PAD src0_sel:WORD_1 src1_sel:DWORD
	v_pk_fma_f16 v7, v5, v9, v7
	v_pk_fma_f16 v6, v5, v10, v6
	v_pk_fma_f16 v8, v5, v11, v8
	v_pk_fma_f16 v9, v5, v12, v4
	ds_read2_b32 v[4:5], v41 offset0:192 offset1:224
	v_mul_u32_u24_sdwa v10, v64, s25 dst_sel:DWORD dst_unused:UNUSED_PAD src0_sel:WORD_0 src1_sel:DWORD
	v_mul_u32_u24_sdwa v11, v64, s25 dst_sel:DWORD dst_unused:UNUSED_PAD src0_sel:WORD_1 src1_sel:DWORD
	v_mul_u32_u24_sdwa v12, v65, s25 dst_sel:DWORD dst_unused:UNUSED_PAD src0_sel:WORD_0 src1_sel:DWORD
	v_mul_u32_u24_sdwa v13, v65, s25 dst_sel:DWORD dst_unused:UNUSED_PAD src0_sel:WORD_1 src1_sel:DWORD
	s_waitcnt lgkmcnt(0)
	v_pk_fma_f16 v7, v4, v10, v7
	v_pk_fma_f16 v6, v4, v11, v6
	;; [unrolled: 1-line block ×4, first 2 shown]
	v_mul_u32_u24_sdwa v9, v66, s25 dst_sel:DWORD dst_unused:UNUSED_PAD src0_sel:WORD_0 src1_sel:DWORD
	v_mul_u32_u24_sdwa v10, v66, s25 dst_sel:DWORD dst_unused:UNUSED_PAD src0_sel:WORD_1 src1_sel:DWORD
	v_mul_u32_u24_sdwa v11, v67, s25 dst_sel:DWORD dst_unused:UNUSED_PAD src0_sel:WORD_0 src1_sel:DWORD
	v_mul_u32_u24_sdwa v12, v67, s25 dst_sel:DWORD dst_unused:UNUSED_PAD src0_sel:WORD_1 src1_sel:DWORD
	v_pk_fma_f16 v13, v5, v9, v7
	v_pk_fma_f16 v10, v5, v10, v6
	v_pk_fma_f16 v11, v5, v11, v8
	v_pk_fma_f16 v12, v5, v12, v4
	ds_read2_b32 v[8:9], v49 offset1:32
	ds_read_b128 v[4:7], v44 offset:64
	s_waitcnt lgkmcnt(0)
	v_mul_u32_u24_sdwa v14, v4, s25 dst_sel:DWORD dst_unused:UNUSED_PAD src0_sel:WORD_0 src1_sel:DWORD
	v_mul_u32_u24_sdwa v4, v4, s25 dst_sel:DWORD dst_unused:UNUSED_PAD src0_sel:WORD_1 src1_sel:DWORD
	v_mul_u32_u24_sdwa v15, v5, s25 dst_sel:DWORD dst_unused:UNUSED_PAD src0_sel:WORD_0 src1_sel:DWORD
	v_mul_u32_u24_sdwa v5, v5, s25 dst_sel:DWORD dst_unused:UNUSED_PAD src0_sel:WORD_1 src1_sel:DWORD
	v_pk_fma_f16 v13, v8, v14, v13
	v_pk_fma_f16 v4, v8, v4, v10
	v_pk_fma_f16 v10, v8, v15, v11
	v_pk_fma_f16 v5, v8, v5, v12
	v_mul_u32_u24_sdwa v8, v6, s25 dst_sel:DWORD dst_unused:UNUSED_PAD src0_sel:WORD_0 src1_sel:DWORD
	v_mul_u32_u24_sdwa v6, v6, s25 dst_sel:DWORD dst_unused:UNUSED_PAD src0_sel:WORD_1 src1_sel:DWORD
	v_mul_u32_u24_sdwa v11, v7, s25 dst_sel:DWORD dst_unused:UNUSED_PAD src0_sel:WORD_0 src1_sel:DWORD
	v_mul_u32_u24_sdwa v7, v7, s25 dst_sel:DWORD dst_unused:UNUSED_PAD src0_sel:WORD_1 src1_sel:DWORD
	v_pk_fma_f16 v12, v9, v8, v13
	v_pk_fma_f16 v13, v9, v6, v4
	v_pk_fma_f16 v10, v9, v11, v10
	v_pk_fma_f16 v11, v9, v7, v5
	ds_read2_b32 v[8:9], v49 offset0:64 offset1:96
	ds_read_b128 v[4:7], v44 offset:80
	s_waitcnt lgkmcnt(0)
	v_mul_u32_u24_sdwa v14, v4, s25 dst_sel:DWORD dst_unused:UNUSED_PAD src0_sel:WORD_0 src1_sel:DWORD
	v_mul_u32_u24_sdwa v4, v4, s25 dst_sel:DWORD dst_unused:UNUSED_PAD src0_sel:WORD_1 src1_sel:DWORD
	v_mul_u32_u24_sdwa v15, v5, s25 dst_sel:DWORD dst_unused:UNUSED_PAD src0_sel:WORD_0 src1_sel:DWORD
	v_mul_u32_u24_sdwa v5, v5, s25 dst_sel:DWORD dst_unused:UNUSED_PAD src0_sel:WORD_1 src1_sel:DWORD
	v_pk_fma_f16 v12, v8, v14, v12
	v_pk_fma_f16 v4, v8, v4, v13
	v_pk_fma_f16 v10, v8, v15, v10
	v_pk_fma_f16 v5, v8, v5, v11
	v_mul_u32_u24_sdwa v8, v6, s25 dst_sel:DWORD dst_unused:UNUSED_PAD src0_sel:WORD_0 src1_sel:DWORD
	v_mul_u32_u24_sdwa v6, v6, s25 dst_sel:DWORD dst_unused:UNUSED_PAD src0_sel:WORD_1 src1_sel:DWORD
	v_mul_u32_u24_sdwa v11, v7, s25 dst_sel:DWORD dst_unused:UNUSED_PAD src0_sel:WORD_0 src1_sel:DWORD
	v_mul_u32_u24_sdwa v7, v7, s25 dst_sel:DWORD dst_unused:UNUSED_PAD src0_sel:WORD_1 src1_sel:DWORD
	v_pk_fma_f16 v12, v9, v8, v12
	v_pk_fma_f16 v13, v9, v6, v4
	v_pk_fma_f16 v10, v9, v11, v10
	v_pk_fma_f16 v11, v9, v7, v5
	ds_read2_b32 v[8:9], v49 offset0:128 offset1:160
	;; [unrolled: 19-line block ×3, first 2 shown]
	ds_read_b128 v[4:7], v44 offset:112
	s_waitcnt lgkmcnt(0)
	v_mul_u32_u24_sdwa v14, v4, s25 dst_sel:DWORD dst_unused:UNUSED_PAD src0_sel:WORD_0 src1_sel:DWORD
	v_mul_u32_u24_sdwa v4, v4, s25 dst_sel:DWORD dst_unused:UNUSED_PAD src0_sel:WORD_1 src1_sel:DWORD
	v_mul_u32_u24_sdwa v15, v5, s25 dst_sel:DWORD dst_unused:UNUSED_PAD src0_sel:WORD_0 src1_sel:DWORD
	v_mul_u32_u24_sdwa v5, v5, s25 dst_sel:DWORD dst_unused:UNUSED_PAD src0_sel:WORD_1 src1_sel:DWORD
	v_pk_fma_f16 v12, v8, v14, v12
	v_pk_fma_f16 v4, v8, v4, v13
	;; [unrolled: 1-line block ×4, first 2 shown]
	v_mul_u32_u24_sdwa v8, v6, s25 dst_sel:DWORD dst_unused:UNUSED_PAD src0_sel:WORD_0 src1_sel:DWORD
	v_mul_u32_u24_sdwa v6, v6, s25 dst_sel:DWORD dst_unused:UNUSED_PAD src0_sel:WORD_1 src1_sel:DWORD
	v_mul_u32_u24_sdwa v11, v7, s25 dst_sel:DWORD dst_unused:UNUSED_PAD src0_sel:WORD_0 src1_sel:DWORD
	v_mul_u32_u24_sdwa v7, v7, s25 dst_sel:DWORD dst_unused:UNUSED_PAD src0_sel:WORD_1 src1_sel:DWORD
	v_pk_fma_f16 v12, v9, v8, v12
	v_pk_fma_f16 v13, v9, v6, v4
	;; [unrolled: 1-line block ×4, first 2 shown]
	ds_read2_b32 v[8:9], v50 offset1:32
	ds_read_b128 v[4:7], v44 offset:128
	s_waitcnt lgkmcnt(0)
	v_mul_u32_u24_sdwa v14, v4, s25 dst_sel:DWORD dst_unused:UNUSED_PAD src0_sel:WORD_0 src1_sel:DWORD
	v_mul_u32_u24_sdwa v4, v4, s25 dst_sel:DWORD dst_unused:UNUSED_PAD src0_sel:WORD_1 src1_sel:DWORD
	v_mul_u32_u24_sdwa v15, v5, s25 dst_sel:DWORD dst_unused:UNUSED_PAD src0_sel:WORD_0 src1_sel:DWORD
	v_mul_u32_u24_sdwa v5, v5, s25 dst_sel:DWORD dst_unused:UNUSED_PAD src0_sel:WORD_1 src1_sel:DWORD
	v_pk_fma_f16 v12, v8, v14, v12
	v_pk_fma_f16 v4, v8, v4, v13
	v_pk_fma_f16 v10, v8, v15, v10
	v_pk_fma_f16 v5, v8, v5, v11
	v_mul_u32_u24_sdwa v8, v6, s25 dst_sel:DWORD dst_unused:UNUSED_PAD src0_sel:WORD_0 src1_sel:DWORD
	v_mul_u32_u24_sdwa v6, v6, s25 dst_sel:DWORD dst_unused:UNUSED_PAD src0_sel:WORD_1 src1_sel:DWORD
	v_mul_u32_u24_sdwa v11, v7, s25 dst_sel:DWORD dst_unused:UNUSED_PAD src0_sel:WORD_0 src1_sel:DWORD
	v_mul_u32_u24_sdwa v7, v7, s25 dst_sel:DWORD dst_unused:UNUSED_PAD src0_sel:WORD_1 src1_sel:DWORD
	v_pk_fma_f16 v12, v9, v8, v12
	v_pk_fma_f16 v13, v9, v6, v4
	v_pk_fma_f16 v10, v9, v11, v10
	v_pk_fma_f16 v11, v9, v7, v5
	ds_read2_b32 v[8:9], v50 offset0:64 offset1:96
	ds_read_b128 v[4:7], v44 offset:144
	s_waitcnt lgkmcnt(0)
	v_mul_u32_u24_sdwa v14, v4, s25 dst_sel:DWORD dst_unused:UNUSED_PAD src0_sel:WORD_0 src1_sel:DWORD
	v_mul_u32_u24_sdwa v4, v4, s25 dst_sel:DWORD dst_unused:UNUSED_PAD src0_sel:WORD_1 src1_sel:DWORD
	v_mul_u32_u24_sdwa v15, v5, s25 dst_sel:DWORD dst_unused:UNUSED_PAD src0_sel:WORD_0 src1_sel:DWORD
	v_mul_u32_u24_sdwa v5, v5, s25 dst_sel:DWORD dst_unused:UNUSED_PAD src0_sel:WORD_1 src1_sel:DWORD
	v_pk_fma_f16 v12, v8, v14, v12
	v_pk_fma_f16 v4, v8, v4, v13
	v_pk_fma_f16 v10, v8, v15, v10
	v_pk_fma_f16 v5, v8, v5, v11
	v_mul_u32_u24_sdwa v8, v6, s25 dst_sel:DWORD dst_unused:UNUSED_PAD src0_sel:WORD_0 src1_sel:DWORD
	v_mul_u32_u24_sdwa v6, v6, s25 dst_sel:DWORD dst_unused:UNUSED_PAD src0_sel:WORD_1 src1_sel:DWORD
	v_mul_u32_u24_sdwa v11, v7, s25 dst_sel:DWORD dst_unused:UNUSED_PAD src0_sel:WORD_0 src1_sel:DWORD
	v_mul_u32_u24_sdwa v7, v7, s25 dst_sel:DWORD dst_unused:UNUSED_PAD src0_sel:WORD_1 src1_sel:DWORD
	v_pk_fma_f16 v12, v9, v8, v12
	v_pk_fma_f16 v13, v9, v6, v4
	v_pk_fma_f16 v10, v9, v11, v10
	v_pk_fma_f16 v11, v9, v7, v5
	ds_read2_b32 v[8:9], v50 offset0:128 offset1:160
	ds_read_b128 v[4:7], v44 offset:160
	s_waitcnt lgkmcnt(0)
	v_mul_u32_u24_sdwa v14, v4, s25 dst_sel:DWORD dst_unused:UNUSED_PAD src0_sel:WORD_0 src1_sel:DWORD
	v_mul_u32_u24_sdwa v4, v4, s25 dst_sel:DWORD dst_unused:UNUSED_PAD src0_sel:WORD_1 src1_sel:DWORD
	v_mul_u32_u24_sdwa v15, v5, s25 dst_sel:DWORD dst_unused:UNUSED_PAD src0_sel:WORD_0 src1_sel:DWORD
	v_mul_u32_u24_sdwa v5, v5, s25 dst_sel:DWORD dst_unused:UNUSED_PAD src0_sel:WORD_1 src1_sel:DWORD
	v_pk_fma_f16 v12, v8, v14, v12
	v_pk_fma_f16 v4, v8, v4, v13
	v_pk_fma_f16 v10, v8, v15, v10
	v_pk_fma_f16 v5, v8, v5, v11
	v_mul_u32_u24_sdwa v8, v6, s25 dst_sel:DWORD dst_unused:UNUSED_PAD src0_sel:WORD_0 src1_sel:DWORD
	v_mul_u32_u24_sdwa v6, v6, s25 dst_sel:DWORD dst_unused:UNUSED_PAD src0_sel:WORD_1 src1_sel:DWORD
	v_mul_u32_u24_sdwa v11, v7, s25 dst_sel:DWORD dst_unused:UNUSED_PAD src0_sel:WORD_0 src1_sel:DWORD
	v_mul_u32_u24_sdwa v7, v7, s25 dst_sel:DWORD dst_unused:UNUSED_PAD src0_sel:WORD_1 src1_sel:DWORD
	v_pk_fma_f16 v12, v9, v8, v12
	v_pk_fma_f16 v13, v9, v6, v4
	v_pk_fma_f16 v10, v9, v11, v10
	v_pk_fma_f16 v11, v9, v7, v5
	ds_read2_b32 v[8:9], v50 offset0:192 offset1:224
	ds_read_b128 v[4:7], v44 offset:176
	s_waitcnt lgkmcnt(0)
	v_mul_u32_u24_sdwa v14, v4, s25 dst_sel:DWORD dst_unused:UNUSED_PAD src0_sel:WORD_0 src1_sel:DWORD
	v_mul_u32_u24_sdwa v4, v4, s25 dst_sel:DWORD dst_unused:UNUSED_PAD src0_sel:WORD_1 src1_sel:DWORD
	v_mul_u32_u24_sdwa v15, v5, s25 dst_sel:DWORD dst_unused:UNUSED_PAD src0_sel:WORD_0 src1_sel:DWORD
	v_mul_u32_u24_sdwa v5, v5, s25 dst_sel:DWORD dst_unused:UNUSED_PAD src0_sel:WORD_1 src1_sel:DWORD
	v_pk_fma_f16 v12, v8, v14, v12
	v_pk_fma_f16 v4, v8, v4, v13
	;; [unrolled: 1-line block ×4, first 2 shown]
	v_mul_u32_u24_sdwa v8, v6, s25 dst_sel:DWORD dst_unused:UNUSED_PAD src0_sel:WORD_0 src1_sel:DWORD
	v_mul_u32_u24_sdwa v6, v6, s25 dst_sel:DWORD dst_unused:UNUSED_PAD src0_sel:WORD_1 src1_sel:DWORD
	v_mul_u32_u24_sdwa v11, v7, s25 dst_sel:DWORD dst_unused:UNUSED_PAD src0_sel:WORD_0 src1_sel:DWORD
	v_mul_u32_u24_sdwa v7, v7, s25 dst_sel:DWORD dst_unused:UNUSED_PAD src0_sel:WORD_1 src1_sel:DWORD
	v_pk_fma_f16 v12, v9, v8, v12
	v_pk_fma_f16 v13, v9, v6, v4
	;; [unrolled: 1-line block ×4, first 2 shown]
	ds_read2_b32 v[8:9], v51 offset1:32
	ds_read_b128 v[4:7], v44 offset:192
	s_waitcnt lgkmcnt(0)
	v_mul_u32_u24_sdwa v14, v4, s25 dst_sel:DWORD dst_unused:UNUSED_PAD src0_sel:WORD_0 src1_sel:DWORD
	v_mul_u32_u24_sdwa v4, v4, s25 dst_sel:DWORD dst_unused:UNUSED_PAD src0_sel:WORD_1 src1_sel:DWORD
	v_mul_u32_u24_sdwa v15, v5, s25 dst_sel:DWORD dst_unused:UNUSED_PAD src0_sel:WORD_0 src1_sel:DWORD
	v_mul_u32_u24_sdwa v5, v5, s25 dst_sel:DWORD dst_unused:UNUSED_PAD src0_sel:WORD_1 src1_sel:DWORD
	v_pk_fma_f16 v12, v8, v14, v12
	v_pk_fma_f16 v4, v8, v4, v13
	v_pk_fma_f16 v10, v8, v15, v10
	v_pk_fma_f16 v5, v8, v5, v11
	v_mul_u32_u24_sdwa v8, v6, s25 dst_sel:DWORD dst_unused:UNUSED_PAD src0_sel:WORD_0 src1_sel:DWORD
	v_mul_u32_u24_sdwa v6, v6, s25 dst_sel:DWORD dst_unused:UNUSED_PAD src0_sel:WORD_1 src1_sel:DWORD
	v_mul_u32_u24_sdwa v11, v7, s25 dst_sel:DWORD dst_unused:UNUSED_PAD src0_sel:WORD_0 src1_sel:DWORD
	v_mul_u32_u24_sdwa v7, v7, s25 dst_sel:DWORD dst_unused:UNUSED_PAD src0_sel:WORD_1 src1_sel:DWORD
	v_pk_fma_f16 v12, v9, v8, v12
	v_pk_fma_f16 v13, v9, v6, v4
	v_pk_fma_f16 v10, v9, v11, v10
	v_pk_fma_f16 v11, v9, v7, v5
	ds_read2_b32 v[8:9], v51 offset0:64 offset1:96
	ds_read_b128 v[4:7], v44 offset:208
	s_waitcnt lgkmcnt(0)
	v_mul_u32_u24_sdwa v14, v4, s25 dst_sel:DWORD dst_unused:UNUSED_PAD src0_sel:WORD_0 src1_sel:DWORD
	v_mul_u32_u24_sdwa v4, v4, s25 dst_sel:DWORD dst_unused:UNUSED_PAD src0_sel:WORD_1 src1_sel:DWORD
	v_mul_u32_u24_sdwa v15, v5, s25 dst_sel:DWORD dst_unused:UNUSED_PAD src0_sel:WORD_0 src1_sel:DWORD
	v_mul_u32_u24_sdwa v5, v5, s25 dst_sel:DWORD dst_unused:UNUSED_PAD src0_sel:WORD_1 src1_sel:DWORD
	v_pk_fma_f16 v12, v8, v14, v12
	v_pk_fma_f16 v4, v8, v4, v13
	v_pk_fma_f16 v10, v8, v15, v10
	v_pk_fma_f16 v5, v8, v5, v11
	v_mul_u32_u24_sdwa v8, v6, s25 dst_sel:DWORD dst_unused:UNUSED_PAD src0_sel:WORD_0 src1_sel:DWORD
	v_mul_u32_u24_sdwa v6, v6, s25 dst_sel:DWORD dst_unused:UNUSED_PAD src0_sel:WORD_1 src1_sel:DWORD
	v_mul_u32_u24_sdwa v11, v7, s25 dst_sel:DWORD dst_unused:UNUSED_PAD src0_sel:WORD_0 src1_sel:DWORD
	v_mul_u32_u24_sdwa v7, v7, s25 dst_sel:DWORD dst_unused:UNUSED_PAD src0_sel:WORD_1 src1_sel:DWORD
	v_pk_fma_f16 v12, v9, v8, v12
	v_pk_fma_f16 v13, v9, v6, v4
	v_pk_fma_f16 v10, v9, v11, v10
	v_pk_fma_f16 v11, v9, v7, v5
	ds_read2_b32 v[8:9], v51 offset0:128 offset1:160
	;; [unrolled: 19-line block ×3, first 2 shown]
	ds_read_b128 v[4:7], v44 offset:240
	s_waitcnt lgkmcnt(0)
	v_mul_u32_u24_sdwa v14, v4, s25 dst_sel:DWORD dst_unused:UNUSED_PAD src0_sel:WORD_0 src1_sel:DWORD
	v_mul_u32_u24_sdwa v4, v4, s25 dst_sel:DWORD dst_unused:UNUSED_PAD src0_sel:WORD_1 src1_sel:DWORD
	v_mul_u32_u24_sdwa v15, v5, s25 dst_sel:DWORD dst_unused:UNUSED_PAD src0_sel:WORD_0 src1_sel:DWORD
	v_mul_u32_u24_sdwa v5, v5, s25 dst_sel:DWORD dst_unused:UNUSED_PAD src0_sel:WORD_1 src1_sel:DWORD
	v_pk_fma_f16 v12, v8, v14, v12
	v_pk_fma_f16 v4, v8, v4, v13
	v_pk_fma_f16 v10, v8, v15, v10
	v_pk_fma_f16 v5, v8, v5, v11
	v_mul_u32_u24_sdwa v8, v6, s25 dst_sel:DWORD dst_unused:UNUSED_PAD src0_sel:WORD_0 src1_sel:DWORD
	v_mul_u32_u24_sdwa v6, v6, s25 dst_sel:DWORD dst_unused:UNUSED_PAD src0_sel:WORD_1 src1_sel:DWORD
	v_mul_u32_u24_sdwa v11, v7, s25 dst_sel:DWORD dst_unused:UNUSED_PAD src0_sel:WORD_0 src1_sel:DWORD
	v_mul_u32_u24_sdwa v7, v7, s25 dst_sel:DWORD dst_unused:UNUSED_PAD src0_sel:WORD_1 src1_sel:DWORD
	v_pk_fma_f16 v12, v9, v8, v12
	v_pk_fma_f16 v13, v9, v6, v4
	;; [unrolled: 1-line block ×4, first 2 shown]
	ds_read2_b32 v[8:9], v52 offset1:32
	ds_read_b128 v[4:7], v44 offset:256
	s_waitcnt lgkmcnt(0)
	v_mul_u32_u24_sdwa v14, v4, s25 dst_sel:DWORD dst_unused:UNUSED_PAD src0_sel:WORD_0 src1_sel:DWORD
	v_mul_u32_u24_sdwa v4, v4, s25 dst_sel:DWORD dst_unused:UNUSED_PAD src0_sel:WORD_1 src1_sel:DWORD
	v_mul_u32_u24_sdwa v15, v5, s25 dst_sel:DWORD dst_unused:UNUSED_PAD src0_sel:WORD_0 src1_sel:DWORD
	v_mul_u32_u24_sdwa v5, v5, s25 dst_sel:DWORD dst_unused:UNUSED_PAD src0_sel:WORD_1 src1_sel:DWORD
	v_pk_fma_f16 v12, v8, v14, v12
	v_pk_fma_f16 v4, v8, v4, v13
	v_pk_fma_f16 v10, v8, v15, v10
	v_pk_fma_f16 v5, v8, v5, v11
	v_mul_u32_u24_sdwa v8, v6, s25 dst_sel:DWORD dst_unused:UNUSED_PAD src0_sel:WORD_0 src1_sel:DWORD
	v_mul_u32_u24_sdwa v6, v6, s25 dst_sel:DWORD dst_unused:UNUSED_PAD src0_sel:WORD_1 src1_sel:DWORD
	v_mul_u32_u24_sdwa v11, v7, s25 dst_sel:DWORD dst_unused:UNUSED_PAD src0_sel:WORD_0 src1_sel:DWORD
	v_mul_u32_u24_sdwa v7, v7, s25 dst_sel:DWORD dst_unused:UNUSED_PAD src0_sel:WORD_1 src1_sel:DWORD
	v_pk_fma_f16 v12, v9, v8, v12
	v_pk_fma_f16 v13, v9, v6, v4
	v_pk_fma_f16 v10, v9, v11, v10
	v_pk_fma_f16 v11, v9, v7, v5
	ds_read2_b32 v[8:9], v52 offset0:64 offset1:96
	ds_read_b128 v[4:7], v44 offset:272
	s_waitcnt lgkmcnt(0)
	v_mul_u32_u24_sdwa v14, v4, s25 dst_sel:DWORD dst_unused:UNUSED_PAD src0_sel:WORD_0 src1_sel:DWORD
	v_mul_u32_u24_sdwa v4, v4, s25 dst_sel:DWORD dst_unused:UNUSED_PAD src0_sel:WORD_1 src1_sel:DWORD
	v_mul_u32_u24_sdwa v15, v5, s25 dst_sel:DWORD dst_unused:UNUSED_PAD src0_sel:WORD_0 src1_sel:DWORD
	v_mul_u32_u24_sdwa v5, v5, s25 dst_sel:DWORD dst_unused:UNUSED_PAD src0_sel:WORD_1 src1_sel:DWORD
	v_pk_fma_f16 v12, v8, v14, v12
	v_pk_fma_f16 v4, v8, v4, v13
	v_pk_fma_f16 v10, v8, v15, v10
	v_pk_fma_f16 v5, v8, v5, v11
	v_mul_u32_u24_sdwa v8, v6, s25 dst_sel:DWORD dst_unused:UNUSED_PAD src0_sel:WORD_0 src1_sel:DWORD
	v_mul_u32_u24_sdwa v6, v6, s25 dst_sel:DWORD dst_unused:UNUSED_PAD src0_sel:WORD_1 src1_sel:DWORD
	v_mul_u32_u24_sdwa v11, v7, s25 dst_sel:DWORD dst_unused:UNUSED_PAD src0_sel:WORD_0 src1_sel:DWORD
	v_mul_u32_u24_sdwa v7, v7, s25 dst_sel:DWORD dst_unused:UNUSED_PAD src0_sel:WORD_1 src1_sel:DWORD
	v_pk_fma_f16 v12, v9, v8, v12
	v_pk_fma_f16 v13, v9, v6, v4
	v_pk_fma_f16 v10, v9, v11, v10
	v_pk_fma_f16 v11, v9, v7, v5
	ds_read2_b32 v[8:9], v52 offset0:128 offset1:160
	;; [unrolled: 19-line block ×3, first 2 shown]
	ds_read_b128 v[4:7], v44 offset:304
	s_waitcnt lgkmcnt(0)
	v_mul_u32_u24_sdwa v14, v4, s25 dst_sel:DWORD dst_unused:UNUSED_PAD src0_sel:WORD_0 src1_sel:DWORD
	v_mul_u32_u24_sdwa v4, v4, s25 dst_sel:DWORD dst_unused:UNUSED_PAD src0_sel:WORD_1 src1_sel:DWORD
	v_mul_u32_u24_sdwa v15, v5, s25 dst_sel:DWORD dst_unused:UNUSED_PAD src0_sel:WORD_0 src1_sel:DWORD
	v_mul_u32_u24_sdwa v5, v5, s25 dst_sel:DWORD dst_unused:UNUSED_PAD src0_sel:WORD_1 src1_sel:DWORD
	v_pk_fma_f16 v12, v8, v14, v12
	v_pk_fma_f16 v4, v8, v4, v13
	;; [unrolled: 1-line block ×4, first 2 shown]
	v_mul_u32_u24_sdwa v8, v6, s25 dst_sel:DWORD dst_unused:UNUSED_PAD src0_sel:WORD_0 src1_sel:DWORD
	v_mul_u32_u24_sdwa v6, v6, s25 dst_sel:DWORD dst_unused:UNUSED_PAD src0_sel:WORD_1 src1_sel:DWORD
	v_mul_u32_u24_sdwa v11, v7, s25 dst_sel:DWORD dst_unused:UNUSED_PAD src0_sel:WORD_0 src1_sel:DWORD
	v_mul_u32_u24_sdwa v7, v7, s25 dst_sel:DWORD dst_unused:UNUSED_PAD src0_sel:WORD_1 src1_sel:DWORD
	v_pk_fma_f16 v12, v9, v8, v12
	v_pk_fma_f16 v13, v9, v6, v4
	;; [unrolled: 1-line block ×4, first 2 shown]
	ds_read2_b32 v[8:9], v53 offset1:32
	ds_read_b128 v[4:7], v44 offset:320
	s_waitcnt lgkmcnt(0)
	v_mul_u32_u24_sdwa v14, v4, s25 dst_sel:DWORD dst_unused:UNUSED_PAD src0_sel:WORD_0 src1_sel:DWORD
	v_mul_u32_u24_sdwa v4, v4, s25 dst_sel:DWORD dst_unused:UNUSED_PAD src0_sel:WORD_1 src1_sel:DWORD
	v_mul_u32_u24_sdwa v15, v5, s25 dst_sel:DWORD dst_unused:UNUSED_PAD src0_sel:WORD_0 src1_sel:DWORD
	v_mul_u32_u24_sdwa v5, v5, s25 dst_sel:DWORD dst_unused:UNUSED_PAD src0_sel:WORD_1 src1_sel:DWORD
	v_pk_fma_f16 v12, v8, v14, v12
	v_pk_fma_f16 v4, v8, v4, v13
	v_pk_fma_f16 v10, v8, v15, v10
	v_pk_fma_f16 v5, v8, v5, v11
	v_mul_u32_u24_sdwa v8, v6, s25 dst_sel:DWORD dst_unused:UNUSED_PAD src0_sel:WORD_0 src1_sel:DWORD
	v_mul_u32_u24_sdwa v6, v6, s25 dst_sel:DWORD dst_unused:UNUSED_PAD src0_sel:WORD_1 src1_sel:DWORD
	v_mul_u32_u24_sdwa v11, v7, s25 dst_sel:DWORD dst_unused:UNUSED_PAD src0_sel:WORD_0 src1_sel:DWORD
	v_mul_u32_u24_sdwa v7, v7, s25 dst_sel:DWORD dst_unused:UNUSED_PAD src0_sel:WORD_1 src1_sel:DWORD
	v_pk_fma_f16 v12, v9, v8, v12
	v_pk_fma_f16 v13, v9, v6, v4
	v_pk_fma_f16 v10, v9, v11, v10
	v_pk_fma_f16 v11, v9, v7, v5
	ds_read2_b32 v[8:9], v53 offset0:64 offset1:96
	ds_read_b128 v[4:7], v44 offset:336
	s_waitcnt lgkmcnt(0)
	v_mul_u32_u24_sdwa v14, v4, s25 dst_sel:DWORD dst_unused:UNUSED_PAD src0_sel:WORD_0 src1_sel:DWORD
	v_mul_u32_u24_sdwa v4, v4, s25 dst_sel:DWORD dst_unused:UNUSED_PAD src0_sel:WORD_1 src1_sel:DWORD
	v_mul_u32_u24_sdwa v15, v5, s25 dst_sel:DWORD dst_unused:UNUSED_PAD src0_sel:WORD_0 src1_sel:DWORD
	v_mul_u32_u24_sdwa v5, v5, s25 dst_sel:DWORD dst_unused:UNUSED_PAD src0_sel:WORD_1 src1_sel:DWORD
	v_pk_fma_f16 v12, v8, v14, v12
	v_pk_fma_f16 v4, v8, v4, v13
	v_pk_fma_f16 v10, v8, v15, v10
	v_pk_fma_f16 v5, v8, v5, v11
	v_mul_u32_u24_sdwa v8, v6, s25 dst_sel:DWORD dst_unused:UNUSED_PAD src0_sel:WORD_0 src1_sel:DWORD
	v_mul_u32_u24_sdwa v6, v6, s25 dst_sel:DWORD dst_unused:UNUSED_PAD src0_sel:WORD_1 src1_sel:DWORD
	v_mul_u32_u24_sdwa v11, v7, s25 dst_sel:DWORD dst_unused:UNUSED_PAD src0_sel:WORD_0 src1_sel:DWORD
	v_mul_u32_u24_sdwa v7, v7, s25 dst_sel:DWORD dst_unused:UNUSED_PAD src0_sel:WORD_1 src1_sel:DWORD
	v_pk_fma_f16 v12, v9, v8, v12
	v_pk_fma_f16 v13, v9, v6, v4
	v_pk_fma_f16 v10, v9, v11, v10
	v_pk_fma_f16 v11, v9, v7, v5
	ds_read2_b32 v[8:9], v53 offset0:128 offset1:160
	;; [unrolled: 19-line block ×3, first 2 shown]
	ds_read_b128 v[4:7], v44 offset:368
	s_waitcnt lgkmcnt(0)
	v_mul_u32_u24_sdwa v14, v4, s25 dst_sel:DWORD dst_unused:UNUSED_PAD src0_sel:WORD_0 src1_sel:DWORD
	v_mul_u32_u24_sdwa v4, v4, s25 dst_sel:DWORD dst_unused:UNUSED_PAD src0_sel:WORD_1 src1_sel:DWORD
	v_mul_u32_u24_sdwa v15, v5, s25 dst_sel:DWORD dst_unused:UNUSED_PAD src0_sel:WORD_0 src1_sel:DWORD
	v_mul_u32_u24_sdwa v5, v5, s25 dst_sel:DWORD dst_unused:UNUSED_PAD src0_sel:WORD_1 src1_sel:DWORD
	v_pk_fma_f16 v12, v8, v14, v12
	v_pk_fma_f16 v4, v8, v4, v13
	;; [unrolled: 1-line block ×4, first 2 shown]
	v_mul_u32_u24_sdwa v8, v6, s25 dst_sel:DWORD dst_unused:UNUSED_PAD src0_sel:WORD_0 src1_sel:DWORD
	v_mul_u32_u24_sdwa v6, v6, s25 dst_sel:DWORD dst_unused:UNUSED_PAD src0_sel:WORD_1 src1_sel:DWORD
	v_mul_u32_u24_sdwa v11, v7, s25 dst_sel:DWORD dst_unused:UNUSED_PAD src0_sel:WORD_0 src1_sel:DWORD
	v_mul_u32_u24_sdwa v7, v7, s25 dst_sel:DWORD dst_unused:UNUSED_PAD src0_sel:WORD_1 src1_sel:DWORD
	v_pk_fma_f16 v12, v9, v8, v12
	v_pk_fma_f16 v13, v9, v6, v4
	;; [unrolled: 1-line block ×4, first 2 shown]
	ds_read2_b32 v[8:9], v54 offset1:32
	ds_read_b128 v[4:7], v44 offset:384
	s_waitcnt lgkmcnt(0)
	v_mul_u32_u24_sdwa v14, v4, s25 dst_sel:DWORD dst_unused:UNUSED_PAD src0_sel:WORD_0 src1_sel:DWORD
	v_mul_u32_u24_sdwa v4, v4, s25 dst_sel:DWORD dst_unused:UNUSED_PAD src0_sel:WORD_1 src1_sel:DWORD
	v_mul_u32_u24_sdwa v15, v5, s25 dst_sel:DWORD dst_unused:UNUSED_PAD src0_sel:WORD_0 src1_sel:DWORD
	v_mul_u32_u24_sdwa v5, v5, s25 dst_sel:DWORD dst_unused:UNUSED_PAD src0_sel:WORD_1 src1_sel:DWORD
	v_pk_fma_f16 v12, v8, v14, v12
	v_pk_fma_f16 v4, v8, v4, v13
	v_pk_fma_f16 v10, v8, v15, v10
	v_pk_fma_f16 v5, v8, v5, v11
	v_mul_u32_u24_sdwa v8, v6, s25 dst_sel:DWORD dst_unused:UNUSED_PAD src0_sel:WORD_0 src1_sel:DWORD
	v_mul_u32_u24_sdwa v6, v6, s25 dst_sel:DWORD dst_unused:UNUSED_PAD src0_sel:WORD_1 src1_sel:DWORD
	v_mul_u32_u24_sdwa v11, v7, s25 dst_sel:DWORD dst_unused:UNUSED_PAD src0_sel:WORD_0 src1_sel:DWORD
	v_mul_u32_u24_sdwa v7, v7, s25 dst_sel:DWORD dst_unused:UNUSED_PAD src0_sel:WORD_1 src1_sel:DWORD
	v_pk_fma_f16 v12, v9, v8, v12
	v_pk_fma_f16 v13, v9, v6, v4
	v_pk_fma_f16 v10, v9, v11, v10
	v_pk_fma_f16 v11, v9, v7, v5
	ds_read2_b32 v[8:9], v54 offset0:64 offset1:96
	ds_read_b128 v[4:7], v44 offset:400
	s_waitcnt lgkmcnt(0)
	v_mul_u32_u24_sdwa v14, v4, s25 dst_sel:DWORD dst_unused:UNUSED_PAD src0_sel:WORD_0 src1_sel:DWORD
	v_mul_u32_u24_sdwa v4, v4, s25 dst_sel:DWORD dst_unused:UNUSED_PAD src0_sel:WORD_1 src1_sel:DWORD
	v_mul_u32_u24_sdwa v15, v5, s25 dst_sel:DWORD dst_unused:UNUSED_PAD src0_sel:WORD_0 src1_sel:DWORD
	v_mul_u32_u24_sdwa v5, v5, s25 dst_sel:DWORD dst_unused:UNUSED_PAD src0_sel:WORD_1 src1_sel:DWORD
	v_pk_fma_f16 v12, v8, v14, v12
	v_pk_fma_f16 v4, v8, v4, v13
	v_pk_fma_f16 v10, v8, v15, v10
	v_pk_fma_f16 v5, v8, v5, v11
	v_mul_u32_u24_sdwa v8, v6, s25 dst_sel:DWORD dst_unused:UNUSED_PAD src0_sel:WORD_0 src1_sel:DWORD
	v_mul_u32_u24_sdwa v6, v6, s25 dst_sel:DWORD dst_unused:UNUSED_PAD src0_sel:WORD_1 src1_sel:DWORD
	v_mul_u32_u24_sdwa v11, v7, s25 dst_sel:DWORD dst_unused:UNUSED_PAD src0_sel:WORD_0 src1_sel:DWORD
	v_mul_u32_u24_sdwa v7, v7, s25 dst_sel:DWORD dst_unused:UNUSED_PAD src0_sel:WORD_1 src1_sel:DWORD
	v_pk_fma_f16 v12, v9, v8, v12
	v_pk_fma_f16 v13, v9, v6, v4
	v_pk_fma_f16 v10, v9, v11, v10
	v_pk_fma_f16 v11, v9, v7, v5
	ds_read2_b32 v[8:9], v54 offset0:128 offset1:160
	;; [unrolled: 19-line block ×3, first 2 shown]
	ds_read_b128 v[4:7], v44 offset:432
	s_waitcnt lgkmcnt(0)
	v_mul_u32_u24_sdwa v14, v4, s25 dst_sel:DWORD dst_unused:UNUSED_PAD src0_sel:WORD_0 src1_sel:DWORD
	v_mul_u32_u24_sdwa v4, v4, s25 dst_sel:DWORD dst_unused:UNUSED_PAD src0_sel:WORD_1 src1_sel:DWORD
	v_mul_u32_u24_sdwa v15, v5, s25 dst_sel:DWORD dst_unused:UNUSED_PAD src0_sel:WORD_0 src1_sel:DWORD
	v_mul_u32_u24_sdwa v5, v5, s25 dst_sel:DWORD dst_unused:UNUSED_PAD src0_sel:WORD_1 src1_sel:DWORD
	v_pk_fma_f16 v12, v8, v14, v12
	v_pk_fma_f16 v4, v8, v4, v13
	;; [unrolled: 1-line block ×4, first 2 shown]
	v_mul_u32_u24_sdwa v8, v6, s25 dst_sel:DWORD dst_unused:UNUSED_PAD src0_sel:WORD_0 src1_sel:DWORD
	v_mul_u32_u24_sdwa v6, v6, s25 dst_sel:DWORD dst_unused:UNUSED_PAD src0_sel:WORD_1 src1_sel:DWORD
	v_mul_u32_u24_sdwa v11, v7, s25 dst_sel:DWORD dst_unused:UNUSED_PAD src0_sel:WORD_0 src1_sel:DWORD
	v_mul_u32_u24_sdwa v7, v7, s25 dst_sel:DWORD dst_unused:UNUSED_PAD src0_sel:WORD_1 src1_sel:DWORD
	v_pk_fma_f16 v12, v9, v8, v12
	v_pk_fma_f16 v13, v9, v6, v4
	;; [unrolled: 1-line block ×4, first 2 shown]
	ds_read2_b32 v[8:9], v55 offset1:32
	ds_read_b128 v[4:7], v44 offset:448
	s_waitcnt lgkmcnt(0)
	v_mul_u32_u24_sdwa v14, v4, s25 dst_sel:DWORD dst_unused:UNUSED_PAD src0_sel:WORD_0 src1_sel:DWORD
	v_mul_u32_u24_sdwa v4, v4, s25 dst_sel:DWORD dst_unused:UNUSED_PAD src0_sel:WORD_1 src1_sel:DWORD
	v_mul_u32_u24_sdwa v15, v5, s25 dst_sel:DWORD dst_unused:UNUSED_PAD src0_sel:WORD_0 src1_sel:DWORD
	v_mul_u32_u24_sdwa v5, v5, s25 dst_sel:DWORD dst_unused:UNUSED_PAD src0_sel:WORD_1 src1_sel:DWORD
	v_pk_fma_f16 v12, v8, v14, v12
	v_pk_fma_f16 v4, v8, v4, v13
	v_pk_fma_f16 v10, v8, v15, v10
	v_pk_fma_f16 v5, v8, v5, v11
	v_mul_u32_u24_sdwa v8, v6, s25 dst_sel:DWORD dst_unused:UNUSED_PAD src0_sel:WORD_0 src1_sel:DWORD
	v_mul_u32_u24_sdwa v6, v6, s25 dst_sel:DWORD dst_unused:UNUSED_PAD src0_sel:WORD_1 src1_sel:DWORD
	v_mul_u32_u24_sdwa v11, v7, s25 dst_sel:DWORD dst_unused:UNUSED_PAD src0_sel:WORD_0 src1_sel:DWORD
	v_mul_u32_u24_sdwa v7, v7, s25 dst_sel:DWORD dst_unused:UNUSED_PAD src0_sel:WORD_1 src1_sel:DWORD
	v_pk_fma_f16 v12, v9, v8, v12
	v_pk_fma_f16 v13, v9, v6, v4
	v_pk_fma_f16 v10, v9, v11, v10
	v_pk_fma_f16 v11, v9, v7, v5
	ds_read2_b32 v[8:9], v55 offset0:64 offset1:96
	ds_read_b128 v[4:7], v44 offset:464
	s_waitcnt lgkmcnt(0)
	v_mul_u32_u24_sdwa v14, v4, s25 dst_sel:DWORD dst_unused:UNUSED_PAD src0_sel:WORD_0 src1_sel:DWORD
	v_mul_u32_u24_sdwa v4, v4, s25 dst_sel:DWORD dst_unused:UNUSED_PAD src0_sel:WORD_1 src1_sel:DWORD
	v_mul_u32_u24_sdwa v15, v5, s25 dst_sel:DWORD dst_unused:UNUSED_PAD src0_sel:WORD_0 src1_sel:DWORD
	v_mul_u32_u24_sdwa v5, v5, s25 dst_sel:DWORD dst_unused:UNUSED_PAD src0_sel:WORD_1 src1_sel:DWORD
	v_pk_fma_f16 v12, v8, v14, v12
	v_pk_fma_f16 v4, v8, v4, v13
	v_pk_fma_f16 v10, v8, v15, v10
	v_pk_fma_f16 v5, v8, v5, v11
	v_mul_u32_u24_sdwa v8, v6, s25 dst_sel:DWORD dst_unused:UNUSED_PAD src0_sel:WORD_0 src1_sel:DWORD
	v_mul_u32_u24_sdwa v6, v6, s25 dst_sel:DWORD dst_unused:UNUSED_PAD src0_sel:WORD_1 src1_sel:DWORD
	v_mul_u32_u24_sdwa v11, v7, s25 dst_sel:DWORD dst_unused:UNUSED_PAD src0_sel:WORD_0 src1_sel:DWORD
	v_mul_u32_u24_sdwa v7, v7, s25 dst_sel:DWORD dst_unused:UNUSED_PAD src0_sel:WORD_1 src1_sel:DWORD
	v_pk_fma_f16 v12, v9, v8, v12
	v_pk_fma_f16 v13, v9, v6, v4
	v_pk_fma_f16 v10, v9, v11, v10
	v_pk_fma_f16 v11, v9, v7, v5
	ds_read2_b32 v[8:9], v55 offset0:128 offset1:160
	;; [unrolled: 19-line block ×3, first 2 shown]
	ds_read_b128 v[4:7], v44 offset:496
	s_waitcnt lgkmcnt(0)
	s_barrier
	s_load_dword s6, s[4:5], 0x4
	v_mul_u32_u24_sdwa v14, v4, s25 dst_sel:DWORD dst_unused:UNUSED_PAD src0_sel:WORD_0 src1_sel:DWORD
	v_mul_u32_u24_sdwa v4, v4, s25 dst_sel:DWORD dst_unused:UNUSED_PAD src0_sel:WORD_1 src1_sel:DWORD
	v_mul_u32_u24_sdwa v15, v5, s25 dst_sel:DWORD dst_unused:UNUSED_PAD src0_sel:WORD_0 src1_sel:DWORD
	v_mul_u32_u24_sdwa v5, v5, s25 dst_sel:DWORD dst_unused:UNUSED_PAD src0_sel:WORD_1 src1_sel:DWORD
	s_waitcnt lgkmcnt(0)
	s_lshl_b32 s6, s6, 6
	v_pk_fma_f16 v12, v8, v14, v12
	v_pk_fma_f16 v4, v8, v4, v13
	;; [unrolled: 1-line block ×4, first 2 shown]
	v_mul_u32_u24_sdwa v8, v6, s25 dst_sel:DWORD dst_unused:UNUSED_PAD src0_sel:WORD_0 src1_sel:DWORD
	v_mul_u32_u24_sdwa v6, v6, s25 dst_sel:DWORD dst_unused:UNUSED_PAD src0_sel:WORD_1 src1_sel:DWORD
	v_mul_u32_u24_sdwa v11, v7, s25 dst_sel:DWORD dst_unused:UNUSED_PAD src0_sel:WORD_0 src1_sel:DWORD
	v_mul_u32_u24_sdwa v7, v7, s25 dst_sel:DWORD dst_unused:UNUSED_PAD src0_sel:WORD_1 src1_sel:DWORD
	s_add_i32 s2, s6, s2
	v_pk_fma_f16 v58, v9, v8, v12
	v_pk_fma_f16 v57, v9, v6, v4
	;; [unrolled: 1-line block ×4, first 2 shown]
	s_cmp_ge_i32 s2, s30
	s_cbranch_scc0 .LBB21_9
.LBB21_10:
	v_cmp_lt_i32_e32 vcc, v38, v35
	s_cmp_lg_u64 s[12:13], 0
	s_cselect_b64 s[4:5], -1, 0
	v_cndmask_b32_e32 v4, v29, v38, vcc
	v_cmp_lt_i32_e32 vcc, v39, v35
	v_lshlrev_b32_e32 v7, 2, v4
	ds_bpermute_b32 v5, v7, v21
	v_cndmask_b32_e32 v4, v29, v39, vcc
	v_cmp_lt_i32_e32 vcc, v40, v35
	v_lshlrev_b32_e32 v10, 2, v4
	ds_bpermute_b32 v6, v7, v18
	v_cndmask_b32_e32 v4, v29, v40, vcc
	v_lshlrev_b32_e32 v14, 2, v4
	ds_bpermute_b32 v4, v7, v20
	ds_bpermute_b32 v7, v7, v19
	v_cmp_lt_i32_e32 vcc, v37, v35
	s_cmp_eq_u32 s3, 0
	s_cselect_b64 s[6:7], -1, 0
	s_waitcnt lgkmcnt(1)
	v_pk_add_f32 v[4:5], v[20:21], v[4:5]
	s_waitcnt lgkmcnt(0)
	v_pk_add_f32 v[6:7], v[18:19], v[6:7]
	ds_bpermute_b32 v8, v10, v4
	ds_bpermute_b32 v9, v10, v5
	;; [unrolled: 1-line block ×4, first 2 shown]
	v_cndmask_b32_e32 v15, v29, v37, vcc
	v_lshlrev_b32_e32 v10, 2, v15
	s_waitcnt lgkmcnt(2)
	v_pk_add_f32 v[4:5], v[4:5], v[8:9]
	ds_bpermute_b32 v8, v14, v4
	s_waitcnt lgkmcnt(1)
	v_pk_add_f32 v[6:7], v[6:7], v[12:13]
	ds_bpermute_b32 v9, v14, v5
	ds_bpermute_b32 v12, v14, v6
	;; [unrolled: 1-line block ×3, first 2 shown]
	v_cmp_lt_i32_e32 vcc, v36, v35
	s_and_b64 s[4:5], s[6:7], s[4:5]
	s_waitcnt lgkmcnt(2)
	v_pk_add_f32 v[4:5], v[4:5], v[8:9]
	ds_bpermute_b32 v8, v10, v4
	s_waitcnt lgkmcnt(1)
	v_pk_add_f32 v[6:7], v[6:7], v[12:13]
	ds_bpermute_b32 v9, v10, v5
	ds_bpermute_b32 v12, v10, v6
	ds_bpermute_b32 v13, v10, v7
	v_cndmask_b32_e32 v14, v29, v36, vcc
	v_lshlrev_b32_e32 v10, 2, v14
	s_waitcnt lgkmcnt(2)
	v_pk_add_f32 v[4:5], v[4:5], v[8:9]
	ds_bpermute_b32 v8, v10, v4
	s_waitcnt lgkmcnt(1)
	v_pk_add_f32 v[12:13], v[6:7], v[12:13]
	ds_bpermute_b32 v9, v10, v5
	ds_bpermute_b32 v14, v10, v12
	;; [unrolled: 1-line block ×3, first 2 shown]
	v_lshlrev_b32_e32 v11, 1, v16
	s_and_b64 vcc, exec, s[4:5]
	s_waitcnt lgkmcnt(2)
	v_pk_add_f32 v[6:7], v[4:5], v[8:9]
	s_waitcnt lgkmcnt(0)
	v_pk_add_f32 v[4:5], v[12:13], v[14:15]
	s_cbranch_vccz .LBB21_12
; %bb.11:
	s_ashr_i32 s29, s28, 31
	s_lshl_b64 s[4:5], s[28:29], 2
	s_add_u32 s4, s12, s4
	s_addc_u32 s5, s13, s5
	v_mov_b32_e32 v8, 0
	global_load_dwordx4 v[12:15], v8, s[4:5]
	v_max_f32_e32 v8, v0, v0
	v_max_f32_e32 v9, v1, v1
	;; [unrolled: 1-line block ×3, first 2 shown]
	s_mov_b32 s5, 0x3fb8aa3b
	s_mov_b32 s4, 0xc2ce8ed0
	;; [unrolled: 1-line block ×3, first 2 shown]
	v_mov_b32_e32 v10, 0x7f800000
	s_waitcnt vmcnt(0)
	v_max_f32_e32 v18, v12, v12
	v_max_f32_e32 v19, v13, v13
	;; [unrolled: 1-line block ×5, first 2 shown]
	v_sub_f32_e32 v0, v0, v18
	v_max_f32_e32 v20, v20, v21
	v_sub_f32_e32 v8, v12, v18
	v_sub_f32_e32 v9, v13, v19
	v_mul_f32_e32 v13, 0x3fb8aa3b, v0
	v_sub_f32_e32 v1, v1, v19
	v_sub_f32_e32 v12, v14, v20
	v_mul_f32_e32 v14, 0x3fb8aa3b, v8
	v_fma_f32 v25, v0, s5, -v13
	v_rndne_f32_e32 v26, v13
	v_mul_f32_e32 v21, 0x3fb8aa3b, v1
	v_fma_f32 v27, v8, s5, -v14
	v_rndne_f32_e32 v28, v14
	v_fmac_f32_e32 v25, 0x32a5705f, v0
	v_sub_f32_e32 v13, v13, v26
	v_sub_f32_e32 v2, v2, v20
	v_mul_f32_e32 v22, 0x3fb8aa3b, v9
	v_fma_f32 v29, v1, s5, -v21
	v_rndne_f32_e32 v30, v21
	v_fmac_f32_e32 v27, 0x32a5705f, v8
	v_sub_f32_e32 v14, v14, v28
	v_add_f32_e32 v13, v13, v25
	v_mul_f32_e32 v23, 0x3fb8aa3b, v2
	v_fma_f32 v31, v9, s5, -v22
	v_rndne_f32_e32 v32, v22
	v_cvt_i32_f32_e32 v26, v26
	v_fmac_f32_e32 v29, 0x32a5705f, v1
	v_sub_f32_e32 v21, v21, v30
	v_add_f32_e32 v14, v14, v27
	v_exp_f32_e32 v13, v13
	v_fma_f32 v33, v2, s5, -v23
	v_rndne_f32_e32 v34, v23
	v_cvt_i32_f32_e32 v28, v28
	v_fmac_f32_e32 v31, 0x32a5705f, v9
	v_sub_f32_e32 v22, v22, v32
	v_add_f32_e32 v21, v21, v29
	v_exp_f32_e32 v14, v14
	v_cvt_i32_f32_e32 v30, v30
	v_fmac_f32_e32 v33, 0x32a5705f, v2
	v_sub_f32_e32 v23, v23, v34
	v_add_f32_e32 v22, v22, v31
	v_exp_f32_e32 v21, v21
	v_cvt_i32_f32_e32 v32, v32
	v_add_f32_e32 v23, v23, v33
	v_exp_f32_e32 v22, v22
	v_cvt_i32_f32_e32 v34, v34
	v_exp_f32_e32 v23, v23
	v_ldexp_f32 v13, v13, v26
	v_cmp_ngt_f32_e32 vcc, s4, v0
	v_ldexp_f32 v14, v14, v28
	v_ldexp_f32 v21, v21, v30
	v_cndmask_b32_e32 v13, 0, v13, vcc
	v_cmp_ngt_f32_e32 vcc, s4, v8
	v_ldexp_f32 v22, v22, v32
	v_ldexp_f32 v23, v23, v34
	v_cndmask_b32_e32 v14, 0, v14, vcc
	v_cmp_ngt_f32_e32 vcc, s4, v1
	v_mul_f32_e32 v24, 0x3fb8aa3b, v12
	v_fma_f32 v35, v12, s5, -v24
	v_cndmask_b32_e32 v21, 0, v21, vcc
	v_cmp_ngt_f32_e32 vcc, s4, v9
	v_rndne_f32_e32 v36, v24
	v_fmac_f32_e32 v35, 0x32a5705f, v12
	v_cndmask_b32_e32 v22, 0, v22, vcc
	v_cmp_ngt_f32_e32 vcc, s4, v2
	v_sub_f32_e32 v24, v24, v36
	v_add_f32_e32 v24, v24, v35
	v_cndmask_b32_e32 v23, 0, v23, vcc
	v_cmp_nlt_f32_e32 vcc, s2, v0
	v_cvt_i32_f32_e32 v36, v36
	v_exp_f32_e32 v24, v24
	v_cndmask_b32_e32 v0, v10, v13, vcc
	v_cmp_nlt_f32_e32 vcc, s2, v8
	v_cvt_f16_f32_e32 v13, v0
	v_mul_u32_u24_e32 v13, 0x10001, v13
	v_cndmask_b32_e32 v8, v10, v14, vcc
	v_cmp_nlt_f32_e32 vcc, s2, v1
	v_pk_mul_f16 v58, v58, v13
	v_ldexp_f32 v13, v24, v36
	v_cndmask_b32_e32 v1, v10, v21, vcc
	v_cmp_nlt_f32_e32 vcc, s2, v9
	v_cvt_f16_f32_e32 v14, v1
	v_max_f32_e32 v21, v15, v15
	v_cndmask_b32_e32 v9, v10, v22, vcc
	v_max_f32_e32 v22, v3, v3
	v_max_f32_e32 v21, v22, v21
	v_sub_f32_e32 v3, v3, v21
	v_cmp_nlt_f32_e32 vcc, s2, v2
	v_mul_f32_e32 v22, 0x3fb8aa3b, v3
	v_mul_u32_u24_e32 v14, 0x10001, v14
	v_cndmask_b32_e32 v2, v10, v23, vcc
	v_fma_f32 v23, v3, s5, -v22
	v_rndne_f32_e32 v24, v22
	v_pk_mul_f16 v57, v57, v14
	v_cvt_f16_f32_e32 v14, v2
	v_fmac_f32_e32 v23, 0x32a5705f, v3
	v_sub_f32_e32 v22, v22, v24
	v_add_f32_e32 v22, v22, v23
	v_cmp_ngt_f32_e32 vcc, s4, v12
	v_exp_f32_e32 v22, v22
	v_cvt_i32_f32_e32 v23, v24
	v_cndmask_b32_e32 v13, 0, v13, vcc
	v_cmp_nlt_f32_e32 vcc, s2, v12
	v_pk_fma_f32 v[6:7], v[6:7], v[0:1], v[8:9]
	s_nop 0
	v_cndmask_b32_e32 v12, v10, v13, vcc
	v_mul_u32_u24_e32 v13, 0x10001, v14
	v_sub_f32_e32 v14, v15, v21
	v_mul_f32_e32 v15, 0x3fb8aa3b, v14
	v_pk_mul_f16 v56, v56, v13
	v_ldexp_f32 v13, v22, v23
	v_fma_f32 v22, v14, s5, -v15
	v_rndne_f32_e32 v23, v15
	v_fmac_f32_e32 v22, 0x32a5705f, v14
	v_sub_f32_e32 v15, v15, v23
	v_add_f32_e32 v15, v15, v22
	v_exp_f32_e32 v15, v15
	v_cvt_i32_f32_e32 v22, v23
	v_cmp_ngt_f32_e32 vcc, s4, v3
	s_nop 1
	v_cndmask_b32_e32 v13, 0, v13, vcc
	v_cmp_nlt_f32_e32 vcc, s2, v3
	s_nop 1
	v_cndmask_b32_e32 v3, v10, v13, vcc
	v_ldexp_f32 v13, v15, v22
	v_cvt_f16_f32_e32 v15, v3
	v_cmp_ngt_f32_e32 vcc, s4, v14
	v_mul_u32_u24_e32 v0, 0x10001, v15
	s_nop 0
	v_cndmask_b32_e32 v13, 0, v13, vcc
	v_cmp_nlt_f32_e32 vcc, s2, v14
	v_pk_mul_f16 v59, v59, v0
	s_nop 0
	v_cndmask_b32_e32 v13, v10, v13, vcc
	v_pk_fma_f32 v[4:5], v[4:5], v[2:3], v[12:13]
	v_mov_b64_e32 v[0:1], v[18:19]
	v_mov_b64_e32 v[2:3], v[20:21]
.LBB21_12:
	v_cmp_gt_i32_e32 vcc, s22, v17
	s_and_saveexec_b64 s[4:5], vcc
	s_cbranch_execz .LBB21_29
; %bb.13:
	s_load_dword s8, s[0:1], 0xd4
	v_mov_b32_e32 v10, 1.0
	s_waitcnt lgkmcnt(0)
	s_cmp_lg_u32 s8, 1
	s_cselect_b64 s[0:1], -1, 0
	s_cmp_eq_u32 s8, 1
	s_cselect_b64 s[6:7], -1, 0
	s_and_b64 vcc, exec, s[0:1]
	s_cbranch_vccnz .LBB21_15
; %bb.14:
	v_div_scale_f32 v8, s[4:5], v6, v6, 1.0
	v_rcp_f32_e32 v9, v8
	v_div_scale_f32 v10, vcc, 1.0, v6, 1.0
	v_fma_f32 v12, -v8, v9, 1.0
	v_fmac_f32_e32 v9, v12, v9
	v_mul_f32_e32 v12, v10, v9
	v_fma_f32 v13, -v8, v12, v10
	v_fmac_f32_e32 v12, v13, v9
	v_fma_f32 v8, -v8, v12, v10
	v_div_fmas_f32 v8, v8, v9, v12
	v_div_fixup_f32 v10, v8, v6, 1.0
.LBB21_15:
	s_mul_i32 s33, s33, s22
	v_add_u32_e32 v8, s33, v17
	v_mul_lo_u32 v8, v8, s23
	v_add_u32_e32 v8, s28, v8
	v_cvt_f32_f16_sdwa v13, v58 dst_sel:DWORD dst_unused:UNUSED_PAD src0_sel:WORD_1
	v_cvt_f32_f16_e32 v12, v58
	v_mul_lo_u32 v8, s8, v8
	v_add_u32_e32 v8, s3, v8
	v_cmp_eq_u32_e32 vcc, 0, v16
	v_lshl_add_u32 v14, v8, 6, v11
	v_mov_b32_e32 v15, 0
	s_and_b64 s[4:5], vcc, s[0:1]
	v_lshl_add_u64 v[14:15], v[14:15], 2, s[16:17]
	v_pk_mul_f32 v[12:13], v[10:11], v[12:13] op_sel_hi:[0,1]
	global_store_dwordx2 v[14:15], v[12:13], off
	s_and_saveexec_b64 s[0:1], s[4:5]
	s_cbranch_execz .LBB21_17
; %bb.16:
	v_ashrrev_i32_e32 v9, 31, v8
	v_lshl_add_u64 v[12:13], v[8:9], 3, s[18:19]
	v_mov_b32_e32 v14, v0
	v_mov_b32_e32 v15, v6
	global_store_dwordx2 v[12:13], v[14:15], off
.LBB21_17:
	s_or_b64 exec, exec, s[0:1]
	v_cndmask_b32_e64 v0, 0, 1, s[6:7]
	v_cmp_ne_u32_e64 s[0:1], 1, v0
	s_andn2_b64 vcc, exec, s[6:7]
	v_mov_b32_e32 v0, 1.0
	s_cbranch_vccnz .LBB21_19
; %bb.18:
	v_div_scale_f32 v0, s[2:3], v7, v7, 1.0
	v_rcp_f32_e32 v6, v0
	v_div_scale_f32 v9, vcc, 1.0, v7, 1.0
	v_fma_f32 v10, -v0, v6, 1.0
	v_fmac_f32_e32 v6, v10, v6
	v_mul_f32_e32 v10, v9, v6
	v_fma_f32 v12, -v0, v10, v9
	v_fmac_f32_e32 v10, v12, v6
	v_fma_f32 v0, -v0, v10, v9
	v_div_fmas_f32 v0, v0, v6, v10
	v_div_fixup_f32 v0, v0, v7, 1.0
.LBB21_19:
	v_cvt_f32_f16_sdwa v13, v57 dst_sel:DWORD dst_unused:UNUSED_PAD src0_sel:WORD_1
	v_cvt_f32_f16_e32 v12, v57
	v_add_u32_e32 v8, s8, v8
	v_lshl_add_u32 v14, v8, 6, v11
	v_mov_b32_e32 v15, 0
	v_lshl_add_u64 v[14:15], v[14:15], 2, s[16:17]
	v_pk_mul_f32 v[12:13], v[0:1], v[12:13] op_sel_hi:[0,1]
	global_store_dwordx2 v[14:15], v[12:13], off
	s_and_saveexec_b64 s[2:3], s[4:5]
	s_cbranch_execz .LBB21_21
; %bb.20:
	v_ashrrev_i32_e32 v9, 31, v8
	v_lshl_add_u64 v[12:13], v[8:9], 3, s[18:19]
	v_mov_b32_e32 v6, v1
	global_store_dwordx2 v[12:13], v[6:7], off
.LBB21_21:
	s_or_b64 exec, exec, s[2:3]
	s_and_b64 vcc, exec, s[0:1]
	v_mov_b32_e32 v6, 1.0
	s_cbranch_vccnz .LBB21_23
; %bb.22:
	v_div_scale_f32 v0, s[2:3], v4, v4, 1.0
	v_rcp_f32_e32 v1, v0
	v_div_scale_f32 v6, vcc, 1.0, v4, 1.0
	v_fma_f32 v7, -v0, v1, 1.0
	v_fmac_f32_e32 v1, v7, v1
	v_mul_f32_e32 v7, v6, v1
	v_fma_f32 v9, -v0, v7, v6
	v_fmac_f32_e32 v7, v9, v1
	v_fma_f32 v0, -v0, v7, v6
	v_div_fmas_f32 v0, v0, v1, v7
	v_div_fixup_f32 v6, v0, v4, 1.0
.LBB21_23:
	v_add_u32_e32 v0, s8, v8
	v_cvt_f32_f16_sdwa v9, v56 dst_sel:DWORD dst_unused:UNUSED_PAD src0_sel:WORD_1
	v_cvt_f32_f16_e32 v8, v56
	v_lshl_add_u32 v12, v0, 6, v11
	v_mov_b32_e32 v13, 0
	v_lshl_add_u64 v[12:13], v[12:13], 2, s[16:17]
	v_pk_mul_f32 v[6:7], v[6:7], v[8:9] op_sel_hi:[0,1]
	global_store_dwordx2 v[12:13], v[6:7], off
	s_and_saveexec_b64 s[2:3], s[4:5]
	s_cbranch_execz .LBB21_25
; %bb.24:
	v_ashrrev_i32_e32 v1, 31, v0
	v_lshl_add_u64 v[6:7], v[0:1], 3, s[18:19]
	v_mov_b32_e32 v8, v2
	v_mov_b32_e32 v9, v4
	global_store_dwordx2 v[6:7], v[8:9], off
.LBB21_25:
	s_or_b64 exec, exec, s[2:3]
	s_and_b64 vcc, exec, s[0:1]
	v_mov_b32_e32 v2, 1.0
	s_cbranch_vccnz .LBB21_27
; %bb.26:
	v_div_scale_f32 v1, s[0:1], v5, v5, 1.0
	v_rcp_f32_e32 v2, v1
	v_div_scale_f32 v4, vcc, 1.0, v5, 1.0
	v_fma_f32 v6, -v1, v2, 1.0
	v_fmac_f32_e32 v2, v6, v2
	v_mul_f32_e32 v6, v4, v2
	v_fma_f32 v7, -v1, v6, v4
	v_fmac_f32_e32 v6, v7, v2
	v_fma_f32 v1, -v1, v6, v4
	v_div_fmas_f32 v1, v1, v2, v6
	v_div_fixup_f32 v2, v1, v5, 1.0
.LBB21_27:
	v_cvt_f32_f16_sdwa v7, v59 dst_sel:DWORD dst_unused:UNUSED_PAD src0_sel:WORD_1
	v_cvt_f32_f16_e32 v6, v59
	v_add_u32_e32 v0, s8, v0
	v_lshl_add_u32 v8, v0, 6, v11
	v_mov_b32_e32 v9, 0
	v_lshl_add_u64 v[8:9], v[8:9], 2, s[16:17]
	v_pk_mul_f32 v[6:7], v[2:3], v[6:7] op_sel_hi:[0,1]
	global_store_dwordx2 v[8:9], v[6:7], off
	s_and_b64 exec, exec, s[4:5]
	s_cbranch_execz .LBB21_29
; %bb.28:
	v_ashrrev_i32_e32 v1, 31, v0
	v_lshl_add_u64 v[0:1], v[0:1], 3, s[18:19]
	v_mov_b32_e32 v4, v3
	global_store_dwordx2 v[0:1], v[4:5], off
.LBB21_29:
	s_endpgm
	.section	.rodata,"a",@progbits
	.p2align	6, 0x0
	.amdhsa_kernel _ZL15flash_attn_tileILi64ELi64ELi8ELi4ELb0EEvPKcS1_S1_S1_S1_PKiPfP15HIP_vector_typeIfLj2EEffffjfiS5_IjLj3EEiiiiiiiiiiiliiliiiiil
		.amdhsa_group_segment_fixed_size 17408
		.amdhsa_private_segment_fixed_size 0
		.amdhsa_kernarg_size 464
		.amdhsa_user_sgpr_count 2
		.amdhsa_user_sgpr_dispatch_ptr 0
		.amdhsa_user_sgpr_queue_ptr 0
		.amdhsa_user_sgpr_kernarg_segment_ptr 1
		.amdhsa_user_sgpr_dispatch_id 0
		.amdhsa_user_sgpr_kernarg_preload_length 0
		.amdhsa_user_sgpr_kernarg_preload_offset 0
		.amdhsa_user_sgpr_private_segment_size 0
		.amdhsa_uses_dynamic_stack 0
		.amdhsa_enable_private_segment 0
		.amdhsa_system_sgpr_workgroup_id_x 1
		.amdhsa_system_sgpr_workgroup_id_y 1
		.amdhsa_system_sgpr_workgroup_id_z 1
		.amdhsa_system_sgpr_workgroup_info 0
		.amdhsa_system_vgpr_workitem_id 1
		.amdhsa_next_free_vgpr 86
		.amdhsa_next_free_sgpr 42
		.amdhsa_accum_offset 88
		.amdhsa_reserve_vcc 1
		.amdhsa_float_round_mode_32 0
		.amdhsa_float_round_mode_16_64 0
		.amdhsa_float_denorm_mode_32 3
		.amdhsa_float_denorm_mode_16_64 3
		.amdhsa_dx10_clamp 1
		.amdhsa_ieee_mode 1
		.amdhsa_fp16_overflow 0
		.amdhsa_tg_split 0
		.amdhsa_exception_fp_ieee_invalid_op 0
		.amdhsa_exception_fp_denorm_src 0
		.amdhsa_exception_fp_ieee_div_zero 0
		.amdhsa_exception_fp_ieee_overflow 0
		.amdhsa_exception_fp_ieee_underflow 0
		.amdhsa_exception_fp_ieee_inexact 0
		.amdhsa_exception_int_div_zero 0
	.end_amdhsa_kernel
	.section	.text._ZL15flash_attn_tileILi64ELi64ELi8ELi4ELb0EEvPKcS1_S1_S1_S1_PKiPfP15HIP_vector_typeIfLj2EEffffjfiS5_IjLj3EEiiiiiiiiiiiliiliiiiil,"axG",@progbits,_ZL15flash_attn_tileILi64ELi64ELi8ELi4ELb0EEvPKcS1_S1_S1_S1_PKiPfP15HIP_vector_typeIfLj2EEffffjfiS5_IjLj3EEiiiiiiiiiiiliiliiiiil,comdat
.Lfunc_end21:
	.size	_ZL15flash_attn_tileILi64ELi64ELi8ELi4ELb0EEvPKcS1_S1_S1_S1_PKiPfP15HIP_vector_typeIfLj2EEffffjfiS5_IjLj3EEiiiiiiiiiiiliiliiiiil, .Lfunc_end21-_ZL15flash_attn_tileILi64ELi64ELi8ELi4ELb0EEvPKcS1_S1_S1_S1_PKiPfP15HIP_vector_typeIfLj2EEffffjfiS5_IjLj3EEiiiiiiiiiiiliiliiiiil
                                        ; -- End function
	.set _ZL15flash_attn_tileILi64ELi64ELi8ELi4ELb0EEvPKcS1_S1_S1_S1_PKiPfP15HIP_vector_typeIfLj2EEffffjfiS5_IjLj3EEiiiiiiiiiiiliiliiiiil.num_vgpr, 86
	.set _ZL15flash_attn_tileILi64ELi64ELi8ELi4ELb0EEvPKcS1_S1_S1_S1_PKiPfP15HIP_vector_typeIfLj2EEffffjfiS5_IjLj3EEiiiiiiiiiiiliiliiiiil.num_agpr, 0
	.set _ZL15flash_attn_tileILi64ELi64ELi8ELi4ELb0EEvPKcS1_S1_S1_S1_PKiPfP15HIP_vector_typeIfLj2EEffffjfiS5_IjLj3EEiiiiiiiiiiiliiliiiiil.numbered_sgpr, 42
	.set _ZL15flash_attn_tileILi64ELi64ELi8ELi4ELb0EEvPKcS1_S1_S1_S1_PKiPfP15HIP_vector_typeIfLj2EEffffjfiS5_IjLj3EEiiiiiiiiiiiliiliiiiil.num_named_barrier, 0
	.set _ZL15flash_attn_tileILi64ELi64ELi8ELi4ELb0EEvPKcS1_S1_S1_S1_PKiPfP15HIP_vector_typeIfLj2EEffffjfiS5_IjLj3EEiiiiiiiiiiiliiliiiiil.private_seg_size, 0
	.set _ZL15flash_attn_tileILi64ELi64ELi8ELi4ELb0EEvPKcS1_S1_S1_S1_PKiPfP15HIP_vector_typeIfLj2EEffffjfiS5_IjLj3EEiiiiiiiiiiiliiliiiiil.uses_vcc, 1
	.set _ZL15flash_attn_tileILi64ELi64ELi8ELi4ELb0EEvPKcS1_S1_S1_S1_PKiPfP15HIP_vector_typeIfLj2EEffffjfiS5_IjLj3EEiiiiiiiiiiiliiliiiiil.uses_flat_scratch, 0
	.set _ZL15flash_attn_tileILi64ELi64ELi8ELi4ELb0EEvPKcS1_S1_S1_S1_PKiPfP15HIP_vector_typeIfLj2EEffffjfiS5_IjLj3EEiiiiiiiiiiiliiliiiiil.has_dyn_sized_stack, 0
	.set _ZL15flash_attn_tileILi64ELi64ELi8ELi4ELb0EEvPKcS1_S1_S1_S1_PKiPfP15HIP_vector_typeIfLj2EEffffjfiS5_IjLj3EEiiiiiiiiiiiliiliiiiil.has_recursion, 0
	.set _ZL15flash_attn_tileILi64ELi64ELi8ELi4ELb0EEvPKcS1_S1_S1_S1_PKiPfP15HIP_vector_typeIfLj2EEffffjfiS5_IjLj3EEiiiiiiiiiiiliiliiiiil.has_indirect_call, 0
	.section	.AMDGPU.csdata,"",@progbits
; Kernel info:
; codeLenInByte = 15700
; TotalNumSgprs: 48
; NumVgprs: 86
; NumAgprs: 0
; TotalNumVgprs: 86
; ScratchSize: 0
; MemoryBound: 0
; FloatMode: 240
; IeeeMode: 1
; LDSByteSize: 17408 bytes/workgroup (compile time only)
; SGPRBlocks: 5
; VGPRBlocks: 10
; NumSGPRsForWavesPerEU: 48
; NumVGPRsForWavesPerEU: 86
; AccumOffset: 88
; Occupancy: 5
; WaveLimiterHint : 1
; COMPUTE_PGM_RSRC2:SCRATCH_EN: 0
; COMPUTE_PGM_RSRC2:USER_SGPR: 2
; COMPUTE_PGM_RSRC2:TRAP_HANDLER: 0
; COMPUTE_PGM_RSRC2:TGID_X_EN: 1
; COMPUTE_PGM_RSRC2:TGID_Y_EN: 1
; COMPUTE_PGM_RSRC2:TGID_Z_EN: 1
; COMPUTE_PGM_RSRC2:TIDIG_COMP_CNT: 1
; COMPUTE_PGM_RSRC3_GFX90A:ACCUM_OFFSET: 21
; COMPUTE_PGM_RSRC3_GFX90A:TG_SPLIT: 0
	.section	.text._ZL33flash_attn_stream_k_fixup_uniformILi64ELi8ELi4EEvPfPK15HIP_vector_typeIfLj2EEiiiiiiS1_IjLj3EES5_S5_,"axG",@progbits,_ZL33flash_attn_stream_k_fixup_uniformILi64ELi8ELi4EEvPfPK15HIP_vector_typeIfLj2EEiiiiiiS1_IjLj3EES5_S5_,comdat
	.globl	_ZL33flash_attn_stream_k_fixup_uniformILi64ELi8ELi4EEvPfPK15HIP_vector_typeIfLj2EEiiiiiiS1_IjLj3EES5_S5_ ; -- Begin function _ZL33flash_attn_stream_k_fixup_uniformILi64ELi8ELi4EEvPfPK15HIP_vector_typeIfLj2EEiiiiiiS1_IjLj3EES5_S5_
	.p2align	8
	.type	_ZL33flash_attn_stream_k_fixup_uniformILi64ELi8ELi4EEvPfPK15HIP_vector_typeIfLj2EEiiiiiiS1_IjLj3EES5_S5_,@function
_ZL33flash_attn_stream_k_fixup_uniformILi64ELi8ELi4EEvPfPK15HIP_vector_typeIfLj2EEiiiiiiS1_IjLj3EES5_S5_: ; @_ZL33flash_attn_stream_k_fixup_uniformILi64ELi8ELi4EEvPfPK15HIP_vector_typeIfLj2EEiiiiiiS1_IjLj3EES5_S5_
; %bb.0:
	s_load_dwordx8 s[8:15], s[0:1], 0x1c
	s_load_dwordx2 s[6:7], s[0:1], 0x10
	s_load_dwordx4 s[20:23], s[0:1], 0x3c
	s_waitcnt lgkmcnt(0)
	s_mul_hi_u32 s5, s11, s2
	s_add_i32 s5, s2, s5
	s_lshr_b32 s5, s5, s12
	s_mul_i32 s11, s5, s13
	s_sub_i32 s11, s2, s11
	s_mul_hi_u32 s12, s11, s14
	s_add_i32 s12, s11, s12
	s_lshr_b32 s16, s12, s15
	s_mul_i32 s12, s16, s20
	s_sub_i32 s11, s11, s12
	;; [unrolled: 5-line block ×3, first 2 shown]
	s_lshl_b32 s11, s12, 2
	s_lshl_b32 s12, s17, 3
	s_add_i32 s12, s12, s3
	s_cmp_lt_i32 s12, s6
	s_cselect_b64 s[12:13], -1, 0
	s_add_i32 s14, s11, s4
	s_cmp_lt_i32 s14, s9
	s_cselect_b64 s[14:15], -1, 0
	s_and_b64 s[12:13], s[12:13], s[14:15]
	s_andn2_b64 vcc, exec, s[12:13]
	s_cbranch_vccnz .LBB22_6
; %bb.1:
	s_load_dwordx4 s[12:15], s[0:1], 0x0
	s_mul_i32 s0, s5, s6
	s_add_i32 s0, s0, s3
	s_mul_i32 s0, s0, s7
	s_mul_i32 s16, s16, s9
	s_add_i32 s0, s0, s4
	s_add_i32 s0, s0, s16
	s_mul_i32 s1, s7, s17
	s_add_i32 s0, s0, s11
	s_lshl_b32 s1, s1, 9
	s_lshl_b32 s0, s0, 6
	s_add_i32 s1, s1, s0
	v_or_b32_e32 v4, s1, v0
	s_waitcnt lgkmcnt(0)
	v_mov_b32_e32 v2, s12
	v_mov_b32_e32 v3, s13
	v_ashrrev_i32_e32 v5, 31, v4
	v_lshl_add_u64 v[2:3], v[4:5], 2, v[2:3]
	global_load_dword v5, v[2:3], off
	s_mul_i32 s5, s10, s2
	s_lshl_b32 s11, s3, 2
	s_add_i32 s9, s5, s10
	s_add_i32 s0, s11, s4
	s_lshl_b32 s1, s9, 5
	s_add_i32 s0, s0, s1
	s_sub_i32 s0, s0, 32
	s_ashr_i32 s1, s0, 31
	s_lshl_b64 s[0:1], s[0:1], 3
	s_add_u32 s0, s14, s0
	s_addc_u32 s1, s15, s1
	s_load_dword s12, s[0:1], 0x4
	s_add_i32 s6, s9, -2
	s_cmp_lt_i32 s6, s5
	s_cbranch_scc1 .LBB22_4
; %bb.2:
	s_lshl_b32 s6, s8, 7
	s_ashr_i32 s7, s6, 31
	s_lshl_b64 s[6:7], s[6:7], 2
	s_add_u32 s6, s14, s6
	s_addc_u32 s7, s15, s7
	s_add_i32 s2, s2, 1
	s_load_dword s0, s[0:1], 0x0
	s_mul_i32 s1, s10, s2
	s_lshl_b32 s3, s3, 8
	s_lshl_b32 s10, s4, 6
	;; [unrolled: 1-line block ×3, first 2 shown]
	s_add_i32 s3, s10, s3
	s_lshl_b32 s1, s1, 5
	s_add_i32 s3, s3, s2
	s_add_i32 s1, s4, s1
	s_lshl_b32 s2, s8, 5
	s_add_i32 s1, s1, s2
	v_or_b32_e32 v0, s3, v0
	s_add_i32 s1, s1, s11
	s_add_i32 s9, s9, -1
	v_add_u32_e32 v0, 0xfffff000, v0
	s_sub_i32 s2, s1, 64
	s_waitcnt lgkmcnt(0)
	v_mov_b32_e32 v7, s0
	v_mov_b32_e32 v4, s12
	s_mov_b32 s4, 0x3fb8aa3b
	s_mov_b32 s8, 0xc2ce8ed0
	;; [unrolled: 1-line block ×3, first 2 shown]
	v_mov_b32_e32 v6, 0x7f800000
	s_mov_b32 s11, 0xc1a00000
.LBB22_3:                               ; =>This Inner Loop Header: Depth=1
	v_ashrrev_i32_e32 v1, 31, v0
	v_lshl_add_u64 v[8:9], v[0:1], 2, s[6:7]
	global_load_dword v9, v[8:9], off
	s_ashr_i32 s3, s2, 31
	s_lshl_b64 s[0:1], s[2:3], 3
	s_add_u32 s0, s14, s0
	s_addc_u32 s1, s15, s1
	s_load_dwordx2 s[0:1], s[0:1], 0x0
	v_max_f32_e32 v1, v7, v7
	s_add_i32 s9, s9, -1
	s_sub_i32 s2, s2, 32
	v_add_u32_e32 v0, 0xfffff800, v0
	s_waitcnt lgkmcnt(0)
	v_max_f32_e64 v10, s0, s0
	v_max_f32_e32 v1, v1, v10
	v_sub_f32_e32 v11, s0, v1
	v_sub_f32_e32 v10, v7, v1
	v_mul_f32_e32 v12, 0x3fb8aa3b, v11
	v_mov_b32_e32 v7, v1
	v_mul_f32_e32 v1, 0x3fb8aa3b, v10
	v_fma_f32 v15, v11, s4, -v12
	v_rndne_f32_e32 v16, v12
	v_fma_f32 v13, v10, s4, -v1
	v_rndne_f32_e32 v14, v1
	v_fmac_f32_e32 v15, 0x32a5705f, v11
	v_sub_f32_e32 v12, v12, v16
	v_fmac_f32_e32 v13, 0x32a5705f, v10
	v_sub_f32_e32 v1, v1, v14
	v_add_f32_e32 v12, v12, v15
	v_cvt_i32_f32_e32 v16, v16
	v_add_f32_e32 v1, v1, v13
	v_exp_f32_e32 v12, v12
	v_cvt_i32_f32_e32 v14, v14
	v_exp_f32_e32 v1, v1
	v_cmp_ngt_f32_e32 vcc, s8, v11
	v_ldexp_f32 v12, v12, v16
	v_mov_b32_e32 v8, s1
	v_ldexp_f32 v1, v1, v14
	v_cmp_ngt_f32_e64 s[0:1], s8, v10
	v_cndmask_b32_e32 v12, 0, v12, vcc
	v_cmp_nlt_f32_e32 vcc, s10, v11
	v_cndmask_b32_e64 v1, 0, v1, s[0:1]
	v_cmp_nlt_f32_e64 s[0:1], s10, v10
	v_cndmask_b32_e32 v12, v6, v12, vcc
	v_cmp_le_f32_e32 vcc, s11, v11
	v_cndmask_b32_e64 v1, v6, v1, s[0:1]
	v_cmp_le_f32_e64 s[0:1], s11, v10
	v_cndmask_b32_e32 v12, 0, v12, vcc
	s_cmp_le_i32 s9, s5
	v_cndmask_b32_e64 v10, 0, v1, s[0:1]
	s_waitcnt vmcnt(0)
	v_pk_mul_f32 v[8:9], v[8:9], v[12:13] op_sel_hi:[1,0]
	s_nop 0
	v_pk_fma_f32 v[4:5], v[4:5], v[10:11], v[8:9] op_sel_hi:[1,0,1]
	s_cbranch_scc0 .LBB22_3
	s_branch .LBB22_5
.LBB22_4:
	s_waitcnt lgkmcnt(0)
	v_mov_b32_e32 v4, s12
.LBB22_5:
	s_waitcnt vmcnt(0)
	v_div_scale_f32 v0, s[0:1], v4, v4, v5
	v_rcp_f32_e32 v1, v0
	v_div_scale_f32 v6, vcc, v5, v4, v5
	v_fma_f32 v7, -v0, v1, 1.0
	v_fmac_f32_e32 v1, v7, v1
	v_mul_f32_e32 v7, v6, v1
	v_fma_f32 v8, -v0, v7, v6
	v_fmac_f32_e32 v7, v8, v1
	v_fma_f32 v0, -v0, v7, v6
	v_div_fmas_f32 v0, v0, v1, v7
	v_div_fixup_f32 v0, v0, v4, v5
	global_store_dword v[2:3], v0, off
.LBB22_6:
	s_endpgm
	.section	.rodata,"a",@progbits
	.p2align	6, 0x0
	.amdhsa_kernel _ZL33flash_attn_stream_k_fixup_uniformILi64ELi8ELi4EEvPfPK15HIP_vector_typeIfLj2EEiiiiiiS1_IjLj3EES5_S5_
		.amdhsa_group_segment_fixed_size 0
		.amdhsa_private_segment_fixed_size 0
		.amdhsa_kernarg_size 76
		.amdhsa_user_sgpr_count 2
		.amdhsa_user_sgpr_dispatch_ptr 0
		.amdhsa_user_sgpr_queue_ptr 0
		.amdhsa_user_sgpr_kernarg_segment_ptr 1
		.amdhsa_user_sgpr_dispatch_id 0
		.amdhsa_user_sgpr_kernarg_preload_length 0
		.amdhsa_user_sgpr_kernarg_preload_offset 0
		.amdhsa_user_sgpr_private_segment_size 0
		.amdhsa_uses_dynamic_stack 0
		.amdhsa_enable_private_segment 0
		.amdhsa_system_sgpr_workgroup_id_x 1
		.amdhsa_system_sgpr_workgroup_id_y 1
		.amdhsa_system_sgpr_workgroup_id_z 1
		.amdhsa_system_sgpr_workgroup_info 0
		.amdhsa_system_vgpr_workitem_id 0
		.amdhsa_next_free_vgpr 17
		.amdhsa_next_free_sgpr 24
		.amdhsa_accum_offset 20
		.amdhsa_reserve_vcc 1
		.amdhsa_float_round_mode_32 0
		.amdhsa_float_round_mode_16_64 0
		.amdhsa_float_denorm_mode_32 3
		.amdhsa_float_denorm_mode_16_64 3
		.amdhsa_dx10_clamp 1
		.amdhsa_ieee_mode 1
		.amdhsa_fp16_overflow 0
		.amdhsa_tg_split 0
		.amdhsa_exception_fp_ieee_invalid_op 0
		.amdhsa_exception_fp_denorm_src 0
		.amdhsa_exception_fp_ieee_div_zero 0
		.amdhsa_exception_fp_ieee_overflow 0
		.amdhsa_exception_fp_ieee_underflow 0
		.amdhsa_exception_fp_ieee_inexact 0
		.amdhsa_exception_int_div_zero 0
	.end_amdhsa_kernel
	.section	.text._ZL33flash_attn_stream_k_fixup_uniformILi64ELi8ELi4EEvPfPK15HIP_vector_typeIfLj2EEiiiiiiS1_IjLj3EES5_S5_,"axG",@progbits,_ZL33flash_attn_stream_k_fixup_uniformILi64ELi8ELi4EEvPfPK15HIP_vector_typeIfLj2EEiiiiiiS1_IjLj3EES5_S5_,comdat
.Lfunc_end22:
	.size	_ZL33flash_attn_stream_k_fixup_uniformILi64ELi8ELi4EEvPfPK15HIP_vector_typeIfLj2EEiiiiiiS1_IjLj3EES5_S5_, .Lfunc_end22-_ZL33flash_attn_stream_k_fixup_uniformILi64ELi8ELi4EEvPfPK15HIP_vector_typeIfLj2EEiiiiiiS1_IjLj3EES5_S5_
                                        ; -- End function
	.set _ZL33flash_attn_stream_k_fixup_uniformILi64ELi8ELi4EEvPfPK15HIP_vector_typeIfLj2EEiiiiiiS1_IjLj3EES5_S5_.num_vgpr, 17
	.set _ZL33flash_attn_stream_k_fixup_uniformILi64ELi8ELi4EEvPfPK15HIP_vector_typeIfLj2EEiiiiiiS1_IjLj3EES5_S5_.num_agpr, 0
	.set _ZL33flash_attn_stream_k_fixup_uniformILi64ELi8ELi4EEvPfPK15HIP_vector_typeIfLj2EEiiiiiiS1_IjLj3EES5_S5_.numbered_sgpr, 24
	.set _ZL33flash_attn_stream_k_fixup_uniformILi64ELi8ELi4EEvPfPK15HIP_vector_typeIfLj2EEiiiiiiS1_IjLj3EES5_S5_.num_named_barrier, 0
	.set _ZL33flash_attn_stream_k_fixup_uniformILi64ELi8ELi4EEvPfPK15HIP_vector_typeIfLj2EEiiiiiiS1_IjLj3EES5_S5_.private_seg_size, 0
	.set _ZL33flash_attn_stream_k_fixup_uniformILi64ELi8ELi4EEvPfPK15HIP_vector_typeIfLj2EEiiiiiiS1_IjLj3EES5_S5_.uses_vcc, 1
	.set _ZL33flash_attn_stream_k_fixup_uniformILi64ELi8ELi4EEvPfPK15HIP_vector_typeIfLj2EEiiiiiiS1_IjLj3EES5_S5_.uses_flat_scratch, 0
	.set _ZL33flash_attn_stream_k_fixup_uniformILi64ELi8ELi4EEvPfPK15HIP_vector_typeIfLj2EEiiiiiiS1_IjLj3EES5_S5_.has_dyn_sized_stack, 0
	.set _ZL33flash_attn_stream_k_fixup_uniformILi64ELi8ELi4EEvPfPK15HIP_vector_typeIfLj2EEiiiiiiS1_IjLj3EES5_S5_.has_recursion, 0
	.set _ZL33flash_attn_stream_k_fixup_uniformILi64ELi8ELi4EEvPfPK15HIP_vector_typeIfLj2EEiiiiiiS1_IjLj3EES5_S5_.has_indirect_call, 0
	.section	.AMDGPU.csdata,"",@progbits
; Kernel info:
; codeLenInByte = 836
; TotalNumSgprs: 30
; NumVgprs: 17
; NumAgprs: 0
; TotalNumVgprs: 17
; ScratchSize: 0
; MemoryBound: 0
; FloatMode: 240
; IeeeMode: 1
; LDSByteSize: 0 bytes/workgroup (compile time only)
; SGPRBlocks: 3
; VGPRBlocks: 2
; NumSGPRsForWavesPerEU: 30
; NumVGPRsForWavesPerEU: 17
; AccumOffset: 20
; Occupancy: 8
; WaveLimiterHint : 0
; COMPUTE_PGM_RSRC2:SCRATCH_EN: 0
; COMPUTE_PGM_RSRC2:USER_SGPR: 2
; COMPUTE_PGM_RSRC2:TRAP_HANDLER: 0
; COMPUTE_PGM_RSRC2:TGID_X_EN: 1
; COMPUTE_PGM_RSRC2:TGID_Y_EN: 1
; COMPUTE_PGM_RSRC2:TGID_Z_EN: 1
; COMPUTE_PGM_RSRC2:TIDIG_COMP_CNT: 0
; COMPUTE_PGM_RSRC3_GFX90A:ACCUM_OFFSET: 4
; COMPUTE_PGM_RSRC3_GFX90A:TG_SPLIT: 0
	.section	.text._ZL33flash_attn_stream_k_fixup_generalILi64ELi8ELi4EEvPfPK15HIP_vector_typeIfLj2EEiiiiS1_IjLj3EES5_S5_S5_,"axG",@progbits,_ZL33flash_attn_stream_k_fixup_generalILi64ELi8ELi4EEvPfPK15HIP_vector_typeIfLj2EEiiiiS1_IjLj3EES5_S5_S5_,comdat
	.globl	_ZL33flash_attn_stream_k_fixup_generalILi64ELi8ELi4EEvPfPK15HIP_vector_typeIfLj2EEiiiiS1_IjLj3EES5_S5_S5_ ; -- Begin function _ZL33flash_attn_stream_k_fixup_generalILi64ELi8ELi4EEvPfPK15HIP_vector_typeIfLj2EEiiiiS1_IjLj3EES5_S5_S5_
	.p2align	8
	.type	_ZL33flash_attn_stream_k_fixup_generalILi64ELi8ELi4EEvPfPK15HIP_vector_typeIfLj2EEiiiiS1_IjLj3EES5_S5_S5_,@function
_ZL33flash_attn_stream_k_fixup_generalILi64ELi8ELi4EEvPfPK15HIP_vector_typeIfLj2EEiiiiS1_IjLj3EES5_S5_S5_: ; @_ZL33flash_attn_stream_k_fixup_generalILi64ELi8ELi4EEvPfPK15HIP_vector_typeIfLj2EEiiiiS1_IjLj3EES5_S5_S5_
; %bb.0:
	s_load_dwordx4 s[8:11], s[0:1], 0x10
	s_load_dword s22, s[0:1], 0x50
	s_mov_b32 s12, 0
	s_waitcnt lgkmcnt(0)
	s_mul_hi_i32 s13, s11, s2
	s_cmp_lg_u64 s[12:13], 0
	s_mul_i32 s5, s11, s2
	s_cbranch_scc0 .LBB23_20
; %bb.1:
	s_add_u32 s6, s22, 0
	s_addc_u32 s7, 0, 0
	s_xor_b64 s[6:7], s[6:7], 0
	v_cvt_f32_u32_e32 v1, s6
	v_cvt_f32_u32_e32 v2, s7
	s_sub_u32 s12, 0, s6
	s_subb_u32 s18, 0, s7
	v_fmamk_f32 v1, v2, 0x4f800000, v1
	v_rcp_f32_e32 v1, v1
	s_nop 0
	v_mul_f32_e32 v1, 0x5f7ffffc, v1
	v_mul_f32_e32 v2, 0x2f800000, v1
	v_trunc_f32_e32 v2, v2
	v_fmamk_f32 v1, v2, 0xcf800000, v1
	v_cvt_u32_f32_e32 v2, v2
	v_cvt_u32_f32_e32 v1, v1
	v_readfirstlane_b32 s19, v2
	v_readfirstlane_b32 s14, v1
	s_mul_i32 s15, s12, s19
	s_mul_hi_u32 s21, s12, s14
	s_mul_i32 s20, s18, s14
	s_add_i32 s15, s21, s15
	s_add_i32 s15, s15, s20
	s_mul_i32 s23, s12, s14
	s_mul_i32 s21, s14, s15
	s_mul_hi_u32 s24, s14, s23
	s_mul_hi_u32 s20, s14, s15
	s_add_u32 s21, s24, s21
	s_addc_u32 s20, 0, s20
	s_mul_hi_u32 s25, s19, s23
	s_mul_i32 s23, s19, s23
	s_add_u32 s21, s21, s23
	s_mul_hi_u32 s24, s19, s15
	s_addc_u32 s20, s20, s25
	s_addc_u32 s21, s24, 0
	s_mul_i32 s15, s19, s15
	s_add_u32 s15, s20, s15
	s_addc_u32 s20, 0, s21
	s_add_u32 s21, s14, s15
	s_cselect_b64 s[14:15], -1, 0
	s_cmp_lg_u64 s[14:15], 0
	s_addc_u32 s19, s19, s20
	s_mul_i32 s14, s12, s19
	s_mul_hi_u32 s15, s12, s21
	s_add_i32 s14, s15, s14
	s_mul_i32 s18, s18, s21
	s_add_i32 s14, s14, s18
	s_mul_i32 s12, s12, s21
	s_mul_hi_u32 s18, s19, s12
	s_mul_i32 s20, s19, s12
	s_mul_i32 s24, s21, s14
	s_mul_hi_u32 s12, s21, s12
	s_mul_hi_u32 s23, s21, s14
	s_add_u32 s12, s12, s24
	s_addc_u32 s23, 0, s23
	s_add_u32 s12, s12, s20
	s_mul_hi_u32 s15, s19, s14
	s_addc_u32 s12, s23, s18
	s_addc_u32 s15, s15, 0
	s_mul_i32 s14, s19, s14
	s_add_u32 s12, s12, s14
	s_addc_u32 s18, 0, s15
	s_add_u32 s20, s21, s12
	s_cselect_b64 s[14:15], -1, 0
	s_cmp_lg_u64 s[14:15], 0
	s_addc_u32 s18, s19, s18
	s_ashr_i32 s14, s13, 31
	s_add_u32 s12, s5, s14
	s_mov_b32 s15, s14
	s_addc_u32 s13, s13, s14
	s_xor_b64 s[12:13], s[12:13], s[14:15]
	s_mul_i32 s21, s12, s18
	s_mul_hi_u32 s23, s12, s20
	s_mul_hi_u32 s19, s12, s18
	s_add_u32 s21, s23, s21
	s_addc_u32 s19, 0, s19
	s_mul_hi_u32 s24, s13, s20
	s_mul_i32 s20, s13, s20
	s_add_u32 s20, s21, s20
	s_mul_hi_u32 s23, s13, s18
	s_addc_u32 s19, s19, s24
	s_addc_u32 s20, s23, 0
	s_mul_i32 s18, s13, s18
	s_add_u32 s23, s19, s18
	s_addc_u32 s24, 0, s20
	s_mul_i32 s18, s6, s24
	s_mul_hi_u32 s19, s6, s23
	s_add_i32 s18, s19, s18
	s_mul_i32 s19, s7, s23
	s_add_i32 s25, s18, s19
	s_sub_i32 s20, s13, s25
	s_mul_i32 s18, s6, s23
	s_sub_u32 s12, s12, s18
	s_cselect_b64 s[18:19], -1, 0
	s_cmp_lg_u64 s[18:19], 0
	s_subb_u32 s26, s20, s7
	s_sub_u32 s27, s12, s6
	s_cselect_b64 s[20:21], -1, 0
	s_cmp_lg_u64 s[20:21], 0
	s_subb_u32 s20, s26, 0
	s_cmp_ge_u32 s20, s7
	s_cselect_b32 s21, -1, 0
	s_cmp_ge_u32 s27, s6
	s_cselect_b32 s26, -1, 0
	s_cmp_eq_u32 s20, s7
	s_cselect_b32 s20, s26, s21
	s_add_u32 s21, s23, 1
	s_addc_u32 s26, s24, 0
	s_add_u32 s27, s23, 2
	s_addc_u32 s28, s24, 0
	s_cmp_lg_u32 s20, 0
	s_cselect_b32 s20, s27, s21
	s_cselect_b32 s21, s28, s26
	s_cmp_lg_u64 s[18:19], 0
	s_subb_u32 s13, s13, s25
	s_cmp_ge_u32 s13, s7
	s_cselect_b32 s18, -1, 0
	s_cmp_ge_u32 s12, s6
	s_cselect_b32 s6, -1, 0
	s_cmp_eq_u32 s13, s7
	s_cselect_b32 s6, s6, s18
	s_cmp_lg_u32 s6, 0
	s_cselect_b32 s7, s21, s24
	s_cselect_b32 s6, s20, s23
	s_xor_b64 s[12:13], s[14:15], 0
	s_xor_b64 s[6:7], s[6:7], s[12:13]
	s_sub_u32 s6, s6, s12
	s_load_dwordx4 s[12:15], s[0:1], 0x44
	s_cbranch_execnz .LBB23_3
.LBB23_2:
	v_cvt_f32_u32_e32 v1, s22
	s_sub_i32 s6, 0, s22
	v_rcp_iflag_f32_e32 v1, v1
	s_nop 0
	v_mul_f32_e32 v1, 0x4f7ffffe, v1
	v_cvt_u32_f32_e32 v1, v1
	s_nop 0
	v_readfirstlane_b32 s7, v1
	s_mul_i32 s6, s6, s7
	s_mul_hi_u32 s6, s7, s6
	s_add_i32 s7, s7, s6
	s_mul_hi_u32 s6, s5, s7
	s_waitcnt lgkmcnt(0)
	s_mul_i32 s15, s6, s22
	s_sub_i32 s5, s5, s15
	s_add_i32 s7, s6, 1
	s_sub_i32 s15, s5, s22
	s_cmp_ge_u32 s5, s22
	s_cselect_b32 s6, s7, s6
	s_cselect_b32 s5, s15, s5
	s_add_i32 s7, s6, 1
	s_cmp_ge_u32 s5, s22
	s_cselect_b32 s6, s7, s6
.LBB23_3:
	s_add_i32 s5, s2, 1
	s_mul_hi_i32 s21, s11, s5
	s_mov_b32 s20, 0
	s_cmp_lg_u64 s[20:21], 0
	s_mul_i32 s5, s11, s5
	s_cbranch_scc0 .LBB23_21
; %bb.4:
	s_add_u32 s16, s22, 0
	s_addc_u32 s17, 0, 0
	s_xor_b64 s[18:19], s[16:17], 0
	v_cvt_f32_u32_e32 v1, s18
	v_cvt_f32_u32_e32 v2, s19
	s_sub_u32 s7, 0, s18
	s_waitcnt lgkmcnt(0)
	s_subb_u32 s15, 0, s19
	v_fmamk_f32 v1, v2, 0x4f800000, v1
	v_rcp_f32_e32 v1, v1
	s_nop 0
	v_mul_f32_e32 v1, 0x5f7ffffc, v1
	v_mul_f32_e32 v2, 0x2f800000, v1
	v_trunc_f32_e32 v2, v2
	v_fmamk_f32 v1, v2, 0xcf800000, v1
	v_cvt_u32_f32_e32 v2, v2
	v_cvt_u32_f32_e32 v1, v1
	v_readfirstlane_b32 s20, v2
	v_readfirstlane_b32 s23, v1
	s_mul_i32 s24, s7, s20
	s_mul_hi_u32 s26, s7, s23
	s_mul_i32 s25, s15, s23
	s_add_i32 s24, s26, s24
	s_add_i32 s24, s24, s25
	s_mul_i32 s27, s7, s23
	s_mul_i32 s26, s23, s24
	s_mul_hi_u32 s28, s23, s27
	s_mul_hi_u32 s25, s23, s24
	s_add_u32 s26, s28, s26
	s_addc_u32 s25, 0, s25
	s_mul_hi_u32 s29, s20, s27
	s_mul_i32 s27, s20, s27
	s_add_u32 s26, s26, s27
	s_mul_hi_u32 s28, s20, s24
	s_addc_u32 s25, s25, s29
	s_addc_u32 s26, s28, 0
	s_mul_i32 s24, s20, s24
	s_add_u32 s24, s25, s24
	s_addc_u32 s26, 0, s26
	s_add_u32 s23, s23, s24
	s_cselect_b64 s[24:25], -1, 0
	s_cmp_lg_u64 s[24:25], 0
	s_addc_u32 s20, s20, s26
	s_mul_i32 s24, s7, s20
	s_mul_hi_u32 s25, s7, s23
	s_add_i32 s24, s25, s24
	s_mul_i32 s15, s15, s23
	s_add_i32 s24, s24, s15
	s_mul_i32 s7, s7, s23
	s_mul_hi_u32 s25, s20, s7
	s_mul_i32 s26, s20, s7
	s_mul_i32 s28, s23, s24
	s_mul_hi_u32 s7, s23, s7
	s_mul_hi_u32 s27, s23, s24
	s_add_u32 s7, s7, s28
	s_addc_u32 s27, 0, s27
	s_add_u32 s7, s7, s26
	s_mul_hi_u32 s15, s20, s24
	s_addc_u32 s7, s27, s25
	s_addc_u32 s15, s15, 0
	s_mul_i32 s24, s20, s24
	s_add_u32 s7, s7, s24
	s_addc_u32 s15, 0, s15
	s_add_u32 s7, s23, s7
	s_cselect_b64 s[24:25], -1, 0
	s_cmp_lg_u64 s[24:25], 0
	s_addc_u32 s15, s20, s15
	s_ashr_i32 s24, s21, 31
	s_add_u32 s20, s5, s24
	s_mov_b32 s25, s24
	s_addc_u32 s21, s21, s24
	s_xor_b64 s[20:21], s[20:21], s[24:25]
	s_mul_i32 s26, s20, s15
	s_mul_hi_u32 s27, s20, s7
	s_mul_hi_u32 s23, s20, s15
	s_add_u32 s26, s27, s26
	s_addc_u32 s23, 0, s23
	s_mul_hi_u32 s28, s21, s7
	s_mul_i32 s7, s21, s7
	s_add_u32 s7, s26, s7
	s_mul_hi_u32 s27, s21, s15
	s_addc_u32 s7, s23, s28
	s_addc_u32 s23, s27, 0
	s_mul_i32 s15, s21, s15
	s_add_u32 s7, s7, s15
	s_addc_u32 s15, 0, s23
	s_mul_i32 s23, s18, s15
	s_mul_hi_u32 s26, s18, s7
	s_add_i32 s23, s26, s23
	s_mul_i32 s26, s19, s7
	s_add_i32 s23, s23, s26
	s_sub_i32 s28, s21, s23
	s_mul_i32 s26, s18, s7
	s_sub_u32 s20, s20, s26
	s_cselect_b64 s[26:27], -1, 0
	s_cmp_lg_u64 s[26:27], 0
	s_subb_u32 s30, s28, s19
	s_sub_u32 s31, s20, s18
	s_cselect_b64 s[28:29], -1, 0
	s_cmp_lg_u64 s[28:29], 0
	s_subb_u32 s28, s30, 0
	s_cmp_ge_u32 s28, s19
	s_cselect_b32 s29, -1, 0
	s_cmp_ge_u32 s31, s18
	s_cselect_b32 s30, -1, 0
	s_cmp_eq_u32 s28, s19
	s_cselect_b32 s28, s30, s29
	s_add_u32 s29, s7, 1
	s_addc_u32 s30, s15, 0
	s_add_u32 s31, s7, 2
	s_addc_u32 s33, s15, 0
	s_cmp_lg_u32 s28, 0
	s_cselect_b32 s28, s31, s29
	s_cselect_b32 s29, s33, s30
	s_cmp_lg_u64 s[26:27], 0
	s_subb_u32 s21, s21, s23
	s_cmp_ge_u32 s21, s19
	s_cselect_b32 s23, -1, 0
	s_cmp_ge_u32 s20, s18
	s_cselect_b32 s18, -1, 0
	s_cmp_eq_u32 s21, s19
	s_cselect_b32 s18, s18, s23
	s_cmp_lg_u32 s18, 0
	s_cselect_b32 s19, s29, s15
	s_cselect_b32 s18, s28, s7
	s_xor_b64 s[20:21], s[24:25], 0
	s_xor_b64 s[18:19], s[18:19], s[20:21]
	s_sub_u32 s18, s18, s20
	s_cbranch_execnz .LBB23_6
.LBB23_5:
	v_cvt_f32_u32_e32 v1, s22
	s_sub_i32 s7, 0, s22
	v_rcp_iflag_f32_e32 v1, v1
	s_nop 0
	v_mul_f32_e32 v1, 0x4f7ffffe, v1
	v_cvt_u32_f32_e32 v1, v1
	s_waitcnt lgkmcnt(0)
	v_readfirstlane_b32 s15, v1
	s_mul_i32 s7, s7, s15
	s_mul_hi_u32 s7, s15, s7
	s_add_i32 s15, s15, s7
	s_mul_hi_u32 s7, s5, s15
	s_mul_i32 s16, s7, s22
	s_sub_i32 s5, s5, s16
	s_add_i32 s15, s7, 1
	s_sub_i32 s16, s5, s22
	s_cmp_ge_u32 s5, s22
	s_cselect_b32 s7, s15, s7
	s_cselect_b32 s5, s16, s5
	s_add_i32 s15, s7, 1
	s_cmp_ge_u32 s5, s22
	s_cselect_b32 s18, s15, s7
.LBB23_6:
	s_cmp_eq_u32 s6, s18
	s_waitcnt lgkmcnt(0)
	s_mul_hi_u32 s5, s6, s12
	s_cselect_b64 s[16:17], -1, 0
	s_add_i32 s5, s5, s6
	s_lshr_b32 s7, s5, s13
	s_mul_i32 s5, s7, s14
	s_cmp_eq_u32 s5, s6
	s_mul_hi_u32 s5, s18, s12
	s_cselect_b64 s[20:21], -1, 0
	s_add_i32 s5, s5, s18
	s_lshr_b32 s5, s5, s13
	s_cmp_eq_u32 s7, s5
	s_mul_i32 s5, s5, s14
	s_cselect_b64 s[24:25], -1, 0
	s_cmp_lg_u32 s5, s18
	s_cselect_b64 s[18:19], -1, 0
	s_and_b64 s[18:19], s[24:25], s[18:19]
	s_or_b64 s[16:17], s[16:17], s[20:21]
	s_or_b64 s[16:17], s[16:17], s[18:19]
	s_and_b64 vcc, exec, s[16:17]
	s_cbranch_vccnz .LBB23_23
; %bb.7:
	s_load_dwordx8 s[24:31], s[0:1], 0x20
	s_load_dword s15, s[0:1], 0x40
	s_waitcnt lgkmcnt(0)
	s_mul_hi_u32 s5, s6, s24
	s_add_i32 s5, s5, s6
	s_lshr_b32 s5, s5, s25
	s_mul_i32 s16, s5, s26
	s_sub_i32 s16, s6, s16
	s_mul_hi_u32 s17, s16, s27
	s_add_i32 s17, s16, s17
	s_lshr_b32 s20, s17, s28
	s_mul_i32 s17, s20, s29
	s_sub_i32 s16, s16, s17
	;; [unrolled: 5-line block ×3, first 2 shown]
	s_mul_hi_u32 s16, s15, s12
	s_add_i32 s15, s15, s16
	s_lshr_b32 s23, s15, s13
	s_lshl_b32 s15, s23, 3
	s_lshl_b32 s21, s17, 2
	s_add_i32 s15, s15, s3
	s_cmp_lt_i32 s15, s8
	s_cselect_b64 s[16:17], -1, 0
	s_add_i32 s15, s21, s4
	s_cmp_lt_i32 s15, s10
	s_cselect_b64 s[18:19], -1, 0
	s_and_b64 s[16:17], s[16:17], s[18:19]
	s_andn2_b64 vcc, exec, s[16:17]
	s_cbranch_vccnz .LBB23_23
; %bb.8:
	s_load_dwordx4 s[16:19], s[0:1], 0x0
	s_mov_b32 s0, 0
	s_lshl_b32 s15, s3, 2
	s_lshl_b32 s24, s22, 7
	s_mov_b32 s25, s0
	s_add_i32 s15, s15, s4
	s_waitcnt lgkmcnt(0)
	v_mov_b32_e32 v2, s16
	v_mov_b32_e32 v3, s17
	s_lshl_b64 s[16:17], s[24:25], 2
	s_add_u32 s16, s18, s16
	s_mul_i32 s1, s5, s8
	s_addc_u32 s17, s19, s17
	s_add_i32 s1, s1, s3
	s_mul_i32 s1, s1, s9
	s_mul_i32 s20, s20, s10
	s_add_i32 s1, s1, s4
	s_add_i32 s1, s1, s20
	s_mul_i32 s5, s9, s23
	s_add_i32 s1, s1, s21
	s_lshl_b32 s5, s5, 9
	s_lshl_b32 s1, s1, 6
	s_add_i32 s5, s5, s1
	v_or_b32_e32 v4, s5, v0
	v_ashrrev_i32_e32 v5, 31, v4
	v_lshl_add_u64 v[2:3], v[4:5], 2, v[2:3]
	global_load_dword v1, v[2:3], off
	v_cvt_f32_u32_e32 v4, s22
	s_lshl_b32 s1, s2, 5
	s_add_i32 s4, s15, s1
	s_ashr_i32 s5, s4, 31
	s_lshl_b64 s[4:5], s[4:5], 3
	v_rcp_iflag_f32_e32 v4, v4
	s_add_u32 s4, s18, s4
	s_addc_u32 s5, s19, s5
	s_load_dwordx2 s[4:5], s[4:5], 0x0
	v_mul_f32_e32 v4, 0x4f7ffffe, v4
	v_cvt_u32_f32_e32 v7, v4
	s_add_i32 s24, s2, -1
	v_lshl_or_b32 v6, s15, 6, v0
	s_waitcnt lgkmcnt(0)
	v_mov_b32_e32 v0, s5
	v_mov_b32_e32 v9, s4
	s_mov_b32 s10, 0x3fb8aa3b
	s_mov_b32 s20, 0xc2ce8ed0
	;; [unrolled: 1-line block ×4, first 2 shown]
	v_mov_b32_e32 v8, 0x7f800000
	s_mul_hi_i32 s1, s24, s11
	s_cmp_lg_u64 s[0:1], 0
	s_mul_i32 s8, s24, s11
	s_cbranch_scc0 .LBB23_19
.LBB23_9:
	s_add_u32 s2, s22, 0
	s_addc_u32 s3, 0, 0
	s_xor_b64 s[2:3], s[2:3], 0
	v_cvt_f32_u32_e32 v4, s2
	v_cvt_f32_u32_e32 v5, s3
	s_sub_u32 s9, 0, s2
	s_subb_u32 s25, 0, s3
	v_fmac_f32_e32 v4, 0x4f800000, v5
	v_rcp_f32_e32 v4, v4
	s_nop 0
	v_mul_f32_e32 v4, 0x5f7ffffc, v4
	v_mul_f32_e32 v5, 0x2f800000, v4
	v_trunc_f32_e32 v5, v5
	v_fmac_f32_e32 v4, 0xcf800000, v5
	v_cvt_u32_f32_e32 v5, v5
	v_cvt_u32_f32_e32 v4, v4
	v_readfirstlane_b32 s26, v5
	v_readfirstlane_b32 s4, v4
	s_mul_i32 s5, s9, s26
	s_mul_hi_u32 s28, s9, s4
	s_mul_i32 s27, s25, s4
	s_add_i32 s5, s28, s5
	s_mul_i32 s29, s9, s4
	s_add_i32 s5, s5, s27
	s_mul_i32 s28, s4, s5
	s_mul_hi_u32 s30, s4, s29
	s_mul_hi_u32 s27, s4, s5
	s_add_u32 s28, s30, s28
	s_addc_u32 s27, 0, s27
	s_mul_hi_u32 s31, s26, s29
	s_mul_i32 s29, s26, s29
	s_add_u32 s28, s28, s29
	s_mul_hi_u32 s30, s26, s5
	s_addc_u32 s27, s27, s31
	s_addc_u32 s28, s30, 0
	s_mul_i32 s5, s26, s5
	s_add_u32 s5, s27, s5
	s_addc_u32 s27, 0, s28
	s_add_u32 s28, s4, s5
	s_cselect_b64 s[4:5], -1, 0
	s_cmp_lg_u64 s[4:5], 0
	s_addc_u32 s26, s26, s27
	s_mul_i32 s4, s9, s26
	s_mul_hi_u32 s5, s9, s28
	s_add_i32 s4, s5, s4
	s_mul_i32 s25, s25, s28
	s_add_i32 s4, s4, s25
	s_mul_i32 s9, s9, s28
	s_mul_hi_u32 s25, s26, s9
	s_mul_i32 s27, s26, s9
	s_mul_i32 s30, s28, s4
	s_mul_hi_u32 s9, s28, s9
	s_mul_hi_u32 s29, s28, s4
	s_add_u32 s9, s9, s30
	s_addc_u32 s29, 0, s29
	s_add_u32 s9, s9, s27
	s_mul_hi_u32 s5, s26, s4
	s_addc_u32 s9, s29, s25
	s_addc_u32 s5, s5, 0
	s_mul_i32 s4, s26, s4
	s_add_u32 s4, s9, s4
	s_addc_u32 s9, 0, s5
	s_add_u32 s25, s28, s4
	s_cselect_b64 s[4:5], -1, 0
	s_cmp_lg_u64 s[4:5], 0
	s_addc_u32 s9, s26, s9
	s_ashr_i32 s4, s1, 31
	s_add_u32 s26, s8, s4
	s_mov_b32 s5, s4
	s_addc_u32 s27, s1, s4
	s_xor_b64 s[26:27], s[26:27], s[4:5]
	s_mul_i32 s28, s26, s9
	s_mul_hi_u32 s29, s26, s25
	s_mul_hi_u32 s1, s26, s9
	s_add_u32 s28, s29, s28
	s_addc_u32 s1, 0, s1
	s_mul_hi_u32 s30, s27, s25
	s_mul_i32 s25, s27, s25
	s_add_u32 s25, s28, s25
	s_mul_hi_u32 s29, s27, s9
	s_addc_u32 s1, s1, s30
	s_addc_u32 s25, s29, 0
	s_mul_i32 s9, s27, s9
	s_add_u32 s1, s1, s9
	s_addc_u32 s9, 0, s25
	s_mul_i32 s25, s2, s9
	s_mul_hi_u32 s28, s2, s1
	s_add_i32 s25, s28, s25
	s_mul_i32 s28, s3, s1
	s_add_i32 s25, s25, s28
	s_sub_i32 s30, s27, s25
	s_mul_i32 s28, s2, s1
	s_sub_u32 s26, s26, s28
	s_cselect_b64 s[28:29], -1, 0
	s_cmp_lg_u64 s[28:29], 0
	s_subb_u32 s33, s30, s3
	s_sub_u32 s34, s26, s2
	s_cselect_b64 s[30:31], -1, 0
	s_cmp_lg_u64 s[30:31], 0
	s_subb_u32 s30, s33, 0
	s_cmp_ge_u32 s30, s3
	s_cselect_b32 s31, -1, 0
	s_cmp_ge_u32 s34, s2
	s_cselect_b32 s33, -1, 0
	s_cmp_eq_u32 s30, s3
	s_cselect_b32 s30, s33, s31
	s_add_u32 s31, s1, 1
	s_addc_u32 s33, s9, 0
	s_add_u32 s34, s1, 2
	s_addc_u32 s35, s9, 0
	s_cmp_lg_u32 s30, 0
	s_cselect_b32 s30, s34, s31
	s_cselect_b32 s31, s35, s33
	s_cmp_lg_u64 s[28:29], 0
	s_subb_u32 s25, s27, s25
	s_cmp_ge_u32 s25, s3
	s_cselect_b32 s27, -1, 0
	s_cmp_ge_u32 s26, s2
	s_cselect_b32 s2, -1, 0
	s_cmp_eq_u32 s25, s3
	s_cselect_b32 s2, s2, s27
	s_cmp_lg_u32 s2, 0
	s_cselect_b32 s3, s31, s9
	s_cselect_b32 s2, s30, s1
	s_xor_b64 s[4:5], s[4:5], 0
	s_xor_b64 s[2:3], s[2:3], s[4:5]
	s_sub_u32 s4, s2, s4
	s_cbranch_execnz .LBB23_11
.LBB23_10:
	s_sub_i32 s1, 0, s22
	v_readfirstlane_b32 s2, v7
	s_mul_i32 s1, s1, s2
	s_mul_hi_u32 s1, s2, s1
	s_add_i32 s2, s2, s1
	s_mul_hi_u32 s1, s8, s2
	s_mul_i32 s3, s1, s22
	s_sub_i32 s3, s8, s3
	s_add_i32 s2, s1, 1
	s_sub_i32 s4, s3, s22
	s_cmp_ge_u32 s3, s22
	s_cselect_b32 s1, s2, s1
	s_cselect_b32 s3, s4, s3
	s_add_i32 s2, s1, 1
	s_cmp_ge_u32 s3, s22
	s_cselect_b32 s4, s2, s1
.LBB23_11:
	s_cmp_lg_u32 s6, s4
	s_cbranch_scc0 .LBB23_15
; %bb.12:
	s_add_i32 s1, s24, s22
	s_lshl_b32 s1, s1, 5
	s_add_i32 s2, s1, s15
	s_mov_b32 s3, s0
	s_lshl_b64 s[2:3], s[2:3], 3
	s_add_u32 s8, s18, s2
	s_mul_hi_u32 s1, s4, s12
	s_addc_u32 s9, s19, s3
	s_add_i32 s1, s1, s4
	s_lshr_b32 s1, s1, s13
	s_mul_i32 s2, s1, s14
	s_cmp_eq_u32 s2, s4
	s_cselect_b64 s[2:3], -1, 0
	s_cmp_lt_u32 s1, s7
	s_cselect_b64 s[26:27], -1, 0
	s_or_b64 s[26:27], s[26:27], s[2:3]
	s_mov_b64 s[2:3], -1
	s_and_b64 vcc, exec, s[26:27]
	s_mov_b32 s1, s24
	s_mov_b32 s25, s6
	s_cbranch_vccnz .LBB23_14
; %bb.13:
	s_add_i32 s1, s24, -1
	s_mov_b64 s[2:3], 0
	s_mov_b32 s25, s4
.LBB23_14:
	v_lshl_add_u32 v4, s24, 11, v6
	v_ashrrev_i32_e32 v5, 31, v4
	v_lshl_add_u64 v[4:5], v[4:5], 2, s[16:17]
	global_load_dword v5, v[4:5], off
	s_load_dwordx2 s[4:5], s[8:9], 0x0
	v_max_f32_e32 v4, v9, v9
	s_waitcnt lgkmcnt(0)
	v_max_f32_e64 v10, s4, s4
	v_max_f32_e32 v10, v4, v10
	v_sub_f32_e32 v11, v9, v10
	v_sub_f32_e32 v13, s4, v10
	v_mul_f32_e32 v4, 0x3fb8aa3b, v11
	v_mul_f32_e32 v12, 0x3fb8aa3b, v13
	v_fma_f32 v14, v11, s10, -v4
	v_rndne_f32_e32 v15, v4
	v_fma_f32 v16, v13, s10, -v12
	v_rndne_f32_e32 v17, v12
	v_fmac_f32_e32 v14, 0x32a5705f, v11
	v_sub_f32_e32 v4, v4, v15
	v_fmac_f32_e32 v16, 0x32a5705f, v13
	v_sub_f32_e32 v12, v12, v17
	v_add_f32_e32 v4, v4, v14
	v_cvt_i32_f32_e32 v15, v15
	v_add_f32_e32 v12, v12, v16
	v_exp_f32_e32 v14, v4
	v_cvt_i32_f32_e32 v17, v17
	v_exp_f32_e32 v12, v12
	v_cmp_ngt_f32_e32 vcc, s20, v11
	v_ldexp_f32 v14, v14, v15
	v_mov_b32_e32 v4, s5
	v_ldexp_f32 v12, v12, v17
	v_cndmask_b32_e32 v14, 0, v14, vcc
	v_cmp_ngt_f32_e32 vcc, s20, v13
	s_nop 1
	v_cndmask_b32_e32 v12, 0, v12, vcc
	v_cmp_nlt_f32_e32 vcc, s21, v11
	s_nop 1
	v_cndmask_b32_e32 v14, v8, v14, vcc
	v_cmp_nlt_f32_e32 vcc, s21, v13
	s_nop 1
	v_cndmask_b32_e32 v15, v8, v12, vcc
	v_cmp_le_f32_e32 vcc, s23, v11
	s_nop 1
	v_cndmask_b32_e32 v12, 0, v14, vcc
	v_cmp_le_f32_e32 vcc, s23, v13
	s_nop 1
	v_cndmask_b32_e32 v14, 0, v15, vcc
	s_waitcnt vmcnt(0)
	v_pk_mul_f32 v[4:5], v[4:5], v[14:15] op_sel_hi:[1,0]
	s_nop 0
	v_pk_fma_f32 v[4:5], v[0:1], v[12:13], v[4:5] op_sel_hi:[1,0,1]
	s_cbranch_execz .LBB23_16
	s_branch .LBB23_17
.LBB23_15:
                                        ; implicit-def: $vgpr4_vgpr5
                                        ; implicit-def: $sgpr2_sgpr3
                                        ; implicit-def: $vgpr10
                                        ; implicit-def: $sgpr1
                                        ; implicit-def: $sgpr25
.LBB23_16:
	s_add_i32 s1, s24, -1
	s_mov_b64 s[2:3], 0
	s_mov_b32 s25, s6
	v_mov_b32_e32 v10, v9
	s_waitcnt vmcnt(0)
	v_mov_b64_e32 v[4:5], v[0:1]
.LBB23_17:
	s_andn2_b64 vcc, exec, s[2:3]
	s_cbranch_vccz .LBB23_22
; %bb.18:
	s_mov_b32 s6, s25
	s_mov_b32 s24, s1
	v_mov_b32_e32 v9, v10
	s_waitcnt vmcnt(0)
	v_mov_b64_e32 v[0:1], v[4:5]
	s_mul_hi_i32 s1, s24, s11
	s_cmp_lg_u64 s[0:1], 0
	s_mul_i32 s8, s24, s11
	s_cbranch_scc1 .LBB23_9
.LBB23_19:
                                        ; implicit-def: $sgpr4_sgpr5
	s_branch .LBB23_10
.LBB23_20:
                                        ; implicit-def: $sgpr6_sgpr7
	s_load_dwordx4 s[12:15], s[0:1], 0x44
	s_branch .LBB23_2
.LBB23_21:
                                        ; implicit-def: $sgpr18_sgpr19
	s_branch .LBB23_5
.LBB23_22:
	v_div_scale_f32 v0, s[0:1], v4, v4, v5
	s_waitcnt vmcnt(0)
	v_rcp_f32_e32 v1, v0
	v_div_scale_f32 v6, vcc, v5, v4, v5
	v_fma_f32 v7, -v0, v1, 1.0
	v_fmac_f32_e32 v1, v7, v1
	v_mul_f32_e32 v7, v6, v1
	v_fma_f32 v8, -v0, v7, v6
	v_fmac_f32_e32 v7, v8, v1
	v_fma_f32 v0, -v0, v7, v6
	v_div_fmas_f32 v0, v0, v1, v7
	v_div_fixup_f32 v0, v0, v4, v5
	global_store_dword v[2:3], v0, off
.LBB23_23:
	s_endpgm
	.section	.rodata,"a",@progbits
	.p2align	6, 0x0
	.amdhsa_kernel _ZL33flash_attn_stream_k_fixup_generalILi64ELi8ELi4EEvPfPK15HIP_vector_typeIfLj2EEiiiiS1_IjLj3EES5_S5_S5_
		.amdhsa_group_segment_fixed_size 0
		.amdhsa_private_segment_fixed_size 0
		.amdhsa_kernarg_size 336
		.amdhsa_user_sgpr_count 2
		.amdhsa_user_sgpr_dispatch_ptr 0
		.amdhsa_user_sgpr_queue_ptr 0
		.amdhsa_user_sgpr_kernarg_segment_ptr 1
		.amdhsa_user_sgpr_dispatch_id 0
		.amdhsa_user_sgpr_kernarg_preload_length 0
		.amdhsa_user_sgpr_kernarg_preload_offset 0
		.amdhsa_user_sgpr_private_segment_size 0
		.amdhsa_uses_dynamic_stack 0
		.amdhsa_enable_private_segment 0
		.amdhsa_system_sgpr_workgroup_id_x 1
		.amdhsa_system_sgpr_workgroup_id_y 1
		.amdhsa_system_sgpr_workgroup_id_z 1
		.amdhsa_system_sgpr_workgroup_info 0
		.amdhsa_system_vgpr_workitem_id 0
		.amdhsa_next_free_vgpr 18
		.amdhsa_next_free_sgpr 36
		.amdhsa_accum_offset 20
		.amdhsa_reserve_vcc 1
		.amdhsa_float_round_mode_32 0
		.amdhsa_float_round_mode_16_64 0
		.amdhsa_float_denorm_mode_32 3
		.amdhsa_float_denorm_mode_16_64 3
		.amdhsa_dx10_clamp 1
		.amdhsa_ieee_mode 1
		.amdhsa_fp16_overflow 0
		.amdhsa_tg_split 0
		.amdhsa_exception_fp_ieee_invalid_op 0
		.amdhsa_exception_fp_denorm_src 0
		.amdhsa_exception_fp_ieee_div_zero 0
		.amdhsa_exception_fp_ieee_overflow 0
		.amdhsa_exception_fp_ieee_underflow 0
		.amdhsa_exception_fp_ieee_inexact 0
		.amdhsa_exception_int_div_zero 0
	.end_amdhsa_kernel
	.section	.text._ZL33flash_attn_stream_k_fixup_generalILi64ELi8ELi4EEvPfPK15HIP_vector_typeIfLj2EEiiiiS1_IjLj3EES5_S5_S5_,"axG",@progbits,_ZL33flash_attn_stream_k_fixup_generalILi64ELi8ELi4EEvPfPK15HIP_vector_typeIfLj2EEiiiiS1_IjLj3EES5_S5_S5_,comdat
.Lfunc_end23:
	.size	_ZL33flash_attn_stream_k_fixup_generalILi64ELi8ELi4EEvPfPK15HIP_vector_typeIfLj2EEiiiiS1_IjLj3EES5_S5_S5_, .Lfunc_end23-_ZL33flash_attn_stream_k_fixup_generalILi64ELi8ELi4EEvPfPK15HIP_vector_typeIfLj2EEiiiiS1_IjLj3EES5_S5_S5_
                                        ; -- End function
	.set _ZL33flash_attn_stream_k_fixup_generalILi64ELi8ELi4EEvPfPK15HIP_vector_typeIfLj2EEiiiiS1_IjLj3EES5_S5_S5_.num_vgpr, 18
	.set _ZL33flash_attn_stream_k_fixup_generalILi64ELi8ELi4EEvPfPK15HIP_vector_typeIfLj2EEiiiiS1_IjLj3EES5_S5_S5_.num_agpr, 0
	.set _ZL33flash_attn_stream_k_fixup_generalILi64ELi8ELi4EEvPfPK15HIP_vector_typeIfLj2EEiiiiS1_IjLj3EES5_S5_S5_.numbered_sgpr, 36
	.set _ZL33flash_attn_stream_k_fixup_generalILi64ELi8ELi4EEvPfPK15HIP_vector_typeIfLj2EEiiiiS1_IjLj3EES5_S5_S5_.num_named_barrier, 0
	.set _ZL33flash_attn_stream_k_fixup_generalILi64ELi8ELi4EEvPfPK15HIP_vector_typeIfLj2EEiiiiS1_IjLj3EES5_S5_S5_.private_seg_size, 0
	.set _ZL33flash_attn_stream_k_fixup_generalILi64ELi8ELi4EEvPfPK15HIP_vector_typeIfLj2EEiiiiS1_IjLj3EES5_S5_S5_.uses_vcc, 1
	.set _ZL33flash_attn_stream_k_fixup_generalILi64ELi8ELi4EEvPfPK15HIP_vector_typeIfLj2EEiiiiS1_IjLj3EES5_S5_S5_.uses_flat_scratch, 0
	.set _ZL33flash_attn_stream_k_fixup_generalILi64ELi8ELi4EEvPfPK15HIP_vector_typeIfLj2EEiiiiS1_IjLj3EES5_S5_S5_.has_dyn_sized_stack, 0
	.set _ZL33flash_attn_stream_k_fixup_generalILi64ELi8ELi4EEvPfPK15HIP_vector_typeIfLj2EEiiiiS1_IjLj3EES5_S5_S5_.has_recursion, 0
	.set _ZL33flash_attn_stream_k_fixup_generalILi64ELi8ELi4EEvPfPK15HIP_vector_typeIfLj2EEiiiiS1_IjLj3EES5_S5_S5_.has_indirect_call, 0
	.section	.AMDGPU.csdata,"",@progbits
; Kernel info:
; codeLenInByte = 2940
; TotalNumSgprs: 42
; NumVgprs: 18
; NumAgprs: 0
; TotalNumVgprs: 18
; ScratchSize: 0
; MemoryBound: 0
; FloatMode: 240
; IeeeMode: 1
; LDSByteSize: 0 bytes/workgroup (compile time only)
; SGPRBlocks: 5
; VGPRBlocks: 2
; NumSGPRsForWavesPerEU: 42
; NumVGPRsForWavesPerEU: 18
; AccumOffset: 20
; Occupancy: 8
; WaveLimiterHint : 0
; COMPUTE_PGM_RSRC2:SCRATCH_EN: 0
; COMPUTE_PGM_RSRC2:USER_SGPR: 2
; COMPUTE_PGM_RSRC2:TRAP_HANDLER: 0
; COMPUTE_PGM_RSRC2:TGID_X_EN: 1
; COMPUTE_PGM_RSRC2:TGID_Y_EN: 1
; COMPUTE_PGM_RSRC2:TGID_Z_EN: 1
; COMPUTE_PGM_RSRC2:TIDIG_COMP_CNT: 0
; COMPUTE_PGM_RSRC3_GFX90A:ACCUM_OFFSET: 4
; COMPUTE_PGM_RSRC3_GFX90A:TG_SPLIT: 0
	.section	.text._ZL15flash_attn_tileILi64ELi64ELi4ELi4ELb0EEvPKcS1_S1_S1_S1_PKiPfP15HIP_vector_typeIfLj2EEffffjfiS5_IjLj3EEiiiiiiiiiiiliiliiiiil,"axG",@progbits,_ZL15flash_attn_tileILi64ELi64ELi4ELi4ELb0EEvPKcS1_S1_S1_S1_PKiPfP15HIP_vector_typeIfLj2EEffffjfiS5_IjLj3EEiiiiiiiiiiiliiliiiiil,comdat
	.globl	_ZL15flash_attn_tileILi64ELi64ELi4ELi4ELb0EEvPKcS1_S1_S1_S1_PKiPfP15HIP_vector_typeIfLj2EEffffjfiS5_IjLj3EEiiiiiiiiiiiliiliiiiil ; -- Begin function _ZL15flash_attn_tileILi64ELi64ELi4ELi4ELb0EEvPKcS1_S1_S1_S1_PKiPfP15HIP_vector_typeIfLj2EEffffjfiS5_IjLj3EEiiiiiiiiiiiliiliiiiil
	.p2align	8
	.type	_ZL15flash_attn_tileILi64ELi64ELi4ELi4ELb0EEvPKcS1_S1_S1_S1_PKiPfP15HIP_vector_typeIfLj2EEffffjfiS5_IjLj3EEiiiiiiiiiiiliiliiiiil,@function
_ZL15flash_attn_tileILi64ELi64ELi4ELi4ELb0EEvPKcS1_S1_S1_S1_PKiPfP15HIP_vector_typeIfLj2EEffffjfiS5_IjLj3EEiiiiiiiiiiiliiliiiiil: ; @_ZL15flash_attn_tileILi64ELi64ELi4ELi4ELb0EEvPKcS1_S1_S1_S1_PKiPfP15HIP_vector_typeIfLj2EEffffjfiS5_IjLj3EEiiiiiiiiiiiliiliiiiil
; %bb.0:
	s_load_dwordx4 s[20:23], s[0:1], 0x5c
	s_load_dwordx2 s[24:25], s[0:1], 0x80
	s_load_dwordx2 s[28:29], s[0:1], 0xb8
	s_mov_b64 s[26:27], 0
	s_waitcnt lgkmcnt(0)
	s_ashr_i32 s5, s23, 31
	s_lshr_b32 s5, s5, 30
	s_add_i32 s5, s23, s5
	s_ashr_i32 s5, s5, 2
	v_cvt_f32_u32_e32 v1, s5
	s_sub_i32 s6, 0, s5
	v_rcp_iflag_f32_e32 v1, v1
	s_nop 0
	v_mul_f32_e32 v1, 0x4f7ffffe, v1
	v_cvt_u32_f32_e32 v1, v1
	s_nop 0
	v_readfirstlane_b32 s7, v1
	s_mul_i32 s6, s6, s7
	s_mul_hi_u32 s6, s7, s6
	s_add_i32 s7, s7, s6
	s_mul_hi_u32 s6, s4, s7
	s_mul_i32 s7, s6, s5
	s_sub_i32 s7, s4, s7
	s_add_i32 s8, s6, 1
	s_sub_i32 s9, s7, s5
	s_cmp_ge_u32 s7, s5
	s_cselect_b32 s6, s8, s6
	s_cselect_b32 s7, s9, s7
	s_add_i32 s8, s6, 1
	s_cmp_ge_u32 s7, s5
	s_cselect_b32 s30, s8, s6
	s_abs_i32 s5, s25
	v_cvt_f32_u32_e32 v1, s5
	s_lshl_b32 s4, s4, 2
	s_mul_i32 s8, s30, s23
	s_xor_b32 s6, s23, s25
	v_rcp_iflag_f32_e32 v1, v1
	s_sub_i32 s9, 0, s5
	s_sub_i32 s25, s4, s8
	s_abs_i32 s7, s23
	v_mul_f32_e32 v1, 0x4f7ffffe, v1
	v_cvt_u32_f32_e32 v1, v1
	s_ashr_i32 s6, s6, 31
	v_readfirstlane_b32 s4, v1
	s_mul_i32 s9, s9, s4
	s_mul_hi_u32 s8, s4, s9
	s_add_i32 s4, s4, s8
	s_mul_hi_u32 s4, s7, s4
	s_mul_i32 s8, s4, s5
	s_sub_i32 s7, s7, s8
	s_add_i32 s9, s4, 1
	s_sub_i32 s8, s7, s5
	s_cmp_ge_u32 s7, s5
	s_cselect_b32 s4, s9, s4
	s_cselect_b32 s7, s8, s7
	s_add_i32 s8, s4, 1
	s_cmp_ge_u32 s7, s5
	s_cselect_b32 s4, s8, s4
	s_xor_b32 s4, s4, s6
	s_sub_i32 s33, s4, s6
	s_abs_i32 s31, s33
	v_cvt_f32_u32_e32 v1, s31
	s_load_dwordx16 s[4:19], s[0:1], 0x0
	v_rcp_iflag_f32_e32 v1, v1
	s_waitcnt lgkmcnt(0)
	s_cmp_eq_u64 s[10:11], 0
	v_mul_f32_e32 v1, 0x4f7ffffe, v1
	v_cvt_u32_f32_e32 v1, v1
	s_nop 0
	v_readfirstlane_b32 s34, v1
	s_cbranch_scc1 .LBB24_2
; %bb.1:
	s_abs_i32 s28, s28
	v_cvt_f32_u32_e32 v1, s28
	s_sub_i32 s37, 0, s28
	s_abs_i32 s36, s30
	s_ashr_i32 s35, s30, 31
	v_rcp_iflag_f32_e32 v1, v1
	s_load_dwordx2 s[26:27], s[0:1], 0xc8
	v_mul_f32_e32 v1, 0x4f7ffffe, v1
	v_cvt_u32_f32_e32 v1, v1
	s_nop 0
	v_readfirstlane_b32 s38, v1
	s_mul_i32 s37, s37, s38
	s_mul_hi_u32 s37, s38, s37
	s_add_i32 s38, s38, s37
	s_mul_hi_u32 s37, s36, s38
	s_mul_i32 s37, s37, s28
	s_sub_i32 s36, s36, s37
	s_sub_i32 s37, s36, s28
	s_cmp_ge_u32 s36, s28
	s_cselect_b32 s36, s37, s36
	s_sub_i32 s37, s36, s28
	s_cmp_ge_u32 s36, s28
	s_cselect_b32 s28, s37, s36
	s_xor_b32 s28, s28, s35
	s_sub_i32 s28, s28, s35
	s_ashr_i32 s35, s28, 31
	s_waitcnt lgkmcnt(0)
	s_mul_hi_u32 s36, s26, s28
	s_mul_i32 s35, s26, s35
	s_mul_i32 s27, s27, s28
	s_add_i32 s35, s36, s35
	s_add_i32 s35, s35, s27
	s_mul_i32 s26, s26, s28
	s_add_u32 s26, s10, s26
	s_addc_u32 s27, s11, s35
.LBB24_2:
	s_load_dwordx4 s[36:39], s[0:1], 0x70
	v_lshrrev_b32_e32 v2, 10, v0
	v_bfe_u32 v2, v2, 1, 9
	v_lshl_add_u32 v17, s2, 2, v2
	v_mul_hi_u32 v2, s20, v17
	s_waitcnt lgkmcnt(0)
	s_mul_i32 s10, s30, s38
	s_ashr_i32 s28, s10, 31
	s_mul_i32 s11, s25, s37
	s_add_u32 s4, s4, s10
	s_addc_u32 s5, s5, s28
	s_ashr_i32 s10, s11, 31
	v_add_u32_e32 v2, v17, v2
	s_add_u32 s4, s4, s11
	v_lshrrev_b32_e32 v2, s21, v2
	s_addc_u32 s5, s5, s10
	s_ashr_i32 s11, s37, 31
	s_mov_b32 s10, s37
	v_mul_lo_u32 v2, v2, s22
	s_ashr_i32 s37, s36, 31
	v_sub_u32_e32 v2, v17, v2
	s_lshr_b64 s[20:21], s[36:37], 2
	v_mad_u64_u32 v[4:5], s[20:21], s20, v2, 0
	s_lshr_b64 s[38:39], s[10:11], 2
	v_mov_b32_e32 v6, v5
	s_lshr_b32 s10, s37, 2
	v_bfe_u32 v1, v0, 10, 10
	v_mad_u64_u32 v[6:7], s[20:21], s10, v2, v[6:7]
	v_lshlrev_b32_e32 v3, 1, v1
	v_mov_b32_e32 v5, v6
	v_and_b32_e32 v16, 0x3ff, v0
	v_lshl_add_u64 v[4:5], v[4:5], 2, s[4:5]
	v_lshlrev_b32_e32 v6, 3, v16
	v_mov_b32_e32 v7, 0
	v_and_b32_e32 v40, 2, v3
	s_lshr_b32 s10, s11, 2
	v_bitop3_b32 v10, v3, 3, 1 bitop3:0xc8
	v_lshl_add_u64 v[4:5], v[4:5], 0, v[6:7]
	v_mul_lo_u32 v0, s10, v40
	v_mad_u64_u32 v[6:7], s[4:5], s38, v40, 0
	v_mad_u64_u32 v[8:9], s[4:5], s38, v10, 0
	v_or_b32_e32 v7, v7, v0
	v_mov_b32_e32 v0, v9
	v_mad_u64_u32 v[10:11], s[4:5], s10, v10, v[0:1]
	v_lshl_add_u64 v[6:7], v[6:7], 2, v[4:5]
	v_mov_b32_e32 v9, v10
	global_load_dwordx2 v[6:7], v[6:7], off
	v_lshl_add_u64 v[4:5], v[8:9], 2, v[4:5]
	global_load_dwordx2 v[4:5], v[4:5], off
	s_load_dword s4, s[0:1], 0x40
	v_mov_b32_e32 v0, 0x5800
	v_lshl_add_u32 v8, v16, 2, v0
	v_lshlrev_b32_e32 v0, 8, v1
	v_add_u32_e32 v9, v8, v0
	v_or_b32_e32 v3, 1, v3
	s_cmp_eq_u64 s[14:15], 0
	v_lshl_add_u32 v3, v3, 7, v8
	s_waitcnt vmcnt(1) lgkmcnt(0)
	v_fma_mixlo_f16 v7, s4, v7, 0
	v_fma_mixlo_f16 v6, s4, v6, 0
	s_waitcnt vmcnt(0)
	v_fma_mixlo_f16 v5, s4, v5, 0
	v_lshlrev_b32_e32 v7, 16, v7
	v_fma_mixlo_f16 v4, s4, v4, 0
	v_lshlrev_b32_e32 v5, 16, v5
	v_or_b32_sdwa v6, v7, v6 dst_sel:DWORD dst_unused:UNUSED_PAD src0_sel:DWORD src1_sel:WORD_0
	v_or_b32_sdwa v4, v5, v4 dst_sel:DWORD dst_unused:UNUSED_PAD src0_sel:DWORD src1_sel:WORD_0
	ds_write_b32 v9, v6
	ds_write_b32 v3, v4
	s_waitcnt lgkmcnt(0)
	s_barrier
	s_cbranch_scc1 .LBB24_4
; %bb.3:
	s_load_dword s4, s[0:1], 0xd0
	s_mov_b32 s5, 0
	s_waitcnt lgkmcnt(0)
	s_mul_i32 s4, s4, s30
	s_add_i32 s4, s4, s2
	s_lshl_b64 s[4:5], s[4:5], 2
	s_add_u32 s4, s14, s4
	s_addc_u32 s5, s15, s5
	s_load_dword s24, s[4:5], 0x0
.LBB24_4:
	s_lshl_b32 s2, s3, 7
	s_waitcnt lgkmcnt(0)
	s_cmp_lt_i32 s2, s24
	v_mbcnt_lo_u32_b32 v3, -1, 0
	s_cbranch_scc1 .LBB24_7
; %bb.5:
	v_mbcnt_hi_u32_b32 v31, -1, v3
	v_and_b32_e32 v4, 0x60, v31
	v_add_u32_e32 v41, 32, v4
	v_xor_b32_e32 v46, 16, v31
	v_xor_b32_e32 v45, 8, v31
	v_xor_b32_e32 v44, 4, v31
	v_xor_b32_e32 v43, 2, v31
	v_xor_b32_e32 v42, 1, v31
	s_cbranch_execz .LBB24_8
; %bb.6:
	v_mov_b32_e32 v27, 0
	v_mov_b32_e32 v1, 0xfeffffff
	v_mov_b32_e32 v77, 0
	v_mov_b32_e32 v0, v1
	v_mov_b32_e32 v26, v27
	v_mov_b32_e32 v76, 0
	s_branch .LBB24_10
.LBB24_7:
                                        ; implicit-def: $vgpr31
                                        ; implicit-def: $vgpr41
                                        ; implicit-def: $vgpr46
                                        ; implicit-def: $vgpr45
                                        ; implicit-def: $vgpr44
                                        ; implicit-def: $vgpr43
                                        ; implicit-def: $vgpr42
.LBB24_8:
	s_sub_i32 s4, 0, s31
	s_mul_i32 s4, s4, s34
	s_mul_hi_u32 s4, s34, s4
	s_add_i32 s34, s34, s4
	s_load_dwordx2 s[4:5], s[0:1], 0x8c
	s_load_dwordx4 s[36:39], s[0:1], 0x98
	s_abs_i32 s14, s25
	s_mul_hi_u32 s15, s14, s34
	s_ashr_i32 s28, s25, 31
	s_waitcnt lgkmcnt(0)
	s_ashr_i32 s11, s4, 2
	s_ashr_i32 s4, s30, 31
	s_mul_hi_u32 s34, s36, s30
	s_mul_i32 s35, s36, s4
	s_add_i32 s34, s34, s35
	s_mul_i32 s35, s37, s30
	s_ashr_i32 s33, s33, 31
	s_ashr_i32 s10, s38, 2
	;; [unrolled: 1-line block ×3, first 2 shown]
	s_add_i32 s34, s34, s35
	s_mul_i32 s35, s36, s30
	s_add_u32 s6, s6, s35
	s_addc_u32 s7, s7, s34
	s_xor_b32 s28, s28, s33
	s_mul_i32 s33, s15, s31
	s_sub_i32 s14, s14, s33
	s_add_i32 s33, s15, 1
	s_sub_i32 s34, s14, s31
	s_cmp_ge_u32 s14, s31
	s_cselect_b32 s15, s33, s15
	s_cselect_b32 s14, s34, s14
	s_add_i32 s33, s15, 1
	s_cmp_ge_u32 s14, s31
	s_load_dwordx2 s[20:21], s[0:1], 0xa8
	s_cselect_b32 s14, s33, s15
	s_xor_b32 s14, s14, s28
	s_sub_i32 s28, s14, s28
	s_mul_i32 s5, s28, s5
	s_ashr_i32 s15, s5, 31
	s_add_u32 s14, s6, s5
	s_waitcnt lgkmcnt(0)
	s_mul_hi_u32 s5, s20, s30
	s_mul_i32 s4, s20, s4
	s_addc_u32 s15, s7, s15
	s_add_i32 s4, s5, s4
	s_mul_i32 s5, s21, s30
	s_add_i32 s4, s4, s5
	s_mul_i32 s5, s20, s30
	s_add_u32 s5, s8, s5
	s_mul_i32 s28, s28, s39
	s_addc_u32 s4, s9, s4
	s_ashr_i32 s6, s28, 31
	v_lshrrev_b32_e32 v4, 3, v16
	v_lshlrev_b32_e32 v47, 2, v16
	s_add_u32 s8, s5, s28
	v_lshl_add_u32 v5, v1, 2, v4
	v_and_b32_e32 v4, 28, v47
	s_addc_u32 s9, s4, s6
	v_lshlrev_b32_e32 v6, 2, v4
	s_movk_i32 s4, 0x90
	v_mad_u32_u24 v48, v5, s4, v6
	v_mul_lo_u32 v20, s11, v5
	s_lshl_b32 s4, s11, 5
	v_add_u32_e32 v22, s4, v20
	v_add_u32_e32 v24, s4, v22
	;; [unrolled: 1-line block ×3, first 2 shown]
	v_mad_u64_u32 v[30:31], s[4:5], v2, s29, v[16:17]
	v_mul_lo_u32 v32, s10, v5
	s_lshl_b32 s4, s10, 5
	v_add_u32_e32 v34, s4, v32
	v_add_u32_e32 v52, 0x5800, v0
	v_mov_b32_e32 v0, 0x4800
	v_add_u32_e32 v36, s4, v34
	v_mbcnt_hi_u32_b32 v31, -1, v3
	v_mov_b32_e32 v19, 0
	v_lshl_add_u32 v54, v1, 9, v0
	v_lshl_or_b32 v55, v5, 7, v6
	v_add_u32_e32 v38, s4, v36
	s_add_u32 s4, s0, 0xd0
	v_mov_b32_e32 v0, 0xfeffffff
	v_and_b32_e32 v1, 0x60, v31
	v_ashrrev_i32_e32 v21, 31, v20
	v_add_u32_e32 v49, 0x1200, v48
	v_ashrrev_i32_e32 v23, 31, v22
	v_add_u32_e32 v50, 0x2400, v48
	;; [unrolled: 2-line block ×3, first 2 shown]
	v_ashrrev_i32_e32 v29, 31, v28
	v_mul_u32_u24_e32 v53, 0x90, v16
	v_ashrrev_i32_e32 v33, 31, v32
	v_add_u32_e32 v56, 0x1000, v55
	v_ashrrev_i32_e32 v35, 31, v34
	v_add_u32_e32 v57, 0x2000, v55
	;; [unrolled: 2-line block ×3, first 2 shown]
	v_ashrrev_i32_e32 v39, 31, v38
	s_addc_u32 s5, s1, 0
	v_lshlrev_b32_e32 v18, 2, v4
	v_add_u32_e32 v41, 32, v1
	v_xor_b32_e32 v46, 16, v31
	v_xor_b32_e32 v45, 8, v31
	;; [unrolled: 1-line block ×5, first 2 shown]
	s_mov_b32 s20, 0x3fb8aa3b
	s_mov_b32 s21, 0xc2ce8ed0
	;; [unrolled: 1-line block ×3, first 2 shown]
	v_mov_b32_e32 v59, 0x7f800000
	s_mov_b32 s29, 0x10001
	v_add_u32_e32 v60, v54, v47
	v_add_u32_e32 v61, 0x400, v47
	;; [unrolled: 1-line block ×16, first 2 shown]
	v_mov_b32_e32 v76, v19
	v_mov_b32_e32 v77, v19
	;; [unrolled: 1-line block ×5, first 2 shown]
.LBB24_9:                               ; =>This Inner Loop Header: Depth=1
	s_mul_hi_i32 s7, s2, s11
	s_mul_i32 s6, s2, s11
	s_lshl_b64 s[6:7], s[6:7], 2
	s_add_u32 s6, s14, s6
	s_addc_u32 s7, s15, s7
	v_mov_b32_e32 v78, v1
	v_mov_b32_e32 v79, v0
	v_lshl_add_u64 v[0:1], v[20:21], 2, s[6:7]
	v_lshl_add_u64 v[0:1], v[0:1], 0, v[18:19]
	global_load_dwordx4 v[0:3], v[0:1], off
	v_mov_b32_e32 v80, 0
	v_mov_b32_e32 v81, 0
	v_cmp_lt_i32_e32 vcc, v46, v41
	s_waitcnt vmcnt(0)
	ds_write_b128 v48, v[0:3]
	v_lshl_add_u64 v[0:1], v[22:23], 2, s[6:7]
	v_lshl_add_u64 v[0:1], v[0:1], 0, v[18:19]
	global_load_dwordx4 v[0:3], v[0:1], off
	s_waitcnt vmcnt(0)
	ds_write_b128 v49, v[0:3]
	v_lshl_add_u64 v[0:1], v[24:25], 2, s[6:7]
	v_lshl_add_u64 v[0:1], v[0:1], 0, v[18:19]
	global_load_dwordx4 v[0:3], v[0:1], off
	;; [unrolled: 5-line block ×3, first 2 shown]
	s_mul_hi_i32 s7, s2, s10
	s_mul_i32 s6, s2, s10
	s_lshl_b64 s[6:7], s[6:7], 2
	s_add_u32 s6, s8, s6
	s_addc_u32 s7, s9, s7
	s_waitcnt vmcnt(0)
	ds_write_b128 v51, v[0:3]
	s_waitcnt lgkmcnt(0)
	s_barrier
	ds_read_b128 v[82:85], v53
	ds_read_b128 v[86:89], v53 offset:4608
	ds_read_b128 v[12:15], v53 offset:9216
	ds_read_b128 v[0:3], v53 offset:13824
	ds_read_b128 v[8:11], v52
	ds_read_b128 v[4:7], v52 offset:128
	s_waitcnt lgkmcnt(1)
	;;#ASMSTART
	v_dot2_f32_f16 v80, v82, v8, v80
	;;#ASMEND
	s_nop 0
	;;#ASMSTART
	v_dot2_f32_f16 v80, v83, v9, v80
	;;#ASMEND
	s_nop 0
	;; [unrolled: 4-line block ×3, first 2 shown]
	;;#ASMSTART
	v_dot2_f32_f16 v80, v85, v11, v80
	;;#ASMEND
	s_waitcnt lgkmcnt(0)
	;;#ASMSTART
	v_dot2_f32_f16 v81, v82, v4, v81
	;;#ASMEND
	v_mov_b32_e32 v82, 0
	;;#ASMSTART
	v_dot2_f32_f16 v81, v83, v5, v81
	;;#ASMEND
	v_mov_b32_e32 v83, 0
	;; [unrolled: 4-line block ×3, first 2 shown]
	;;#ASMSTART
	v_dot2_f32_f16 v81, v85, v7, v81
	;;#ASMEND
	;;#ASMSTART
	v_dot2_f32_f16 v83, v86, v8, v83
	;;#ASMEND
	v_mov_b32_e32 v85, 0
	;;#ASMSTART
	v_dot2_f32_f16 v83, v87, v9, v83
	;;#ASMEND
	s_nop 0
	;;#ASMSTART
	v_dot2_f32_f16 v83, v88, v10, v83
	;;#ASMEND
	s_nop 0
	;;#ASMSTART
	v_dot2_f32_f16 v83, v89, v11, v83
	;;#ASMEND
	;;#ASMSTART
	v_dot2_f32_f16 v82, v86, v4, v82
	;;#ASMEND
	s_nop 0
	;;#ASMSTART
	v_dot2_f32_f16 v82, v87, v5, v82
	;;#ASMEND
	s_nop 0
	;; [unrolled: 4-line block ×3, first 2 shown]
	;;#ASMSTART
	v_dot2_f32_f16 v82, v89, v7, v82
	;;#ASMEND
	;;#ASMSTART
	v_dot2_f32_f16 v85, v12, v8, v85
	;;#ASMEND
	s_nop 0
	;;#ASMSTART
	v_dot2_f32_f16 v85, v13, v9, v85
	;;#ASMEND
	s_nop 0
	;; [unrolled: 4-line block ×3, first 2 shown]
	;;#ASMSTART
	v_dot2_f32_f16 v85, v15, v11, v85
	;;#ASMEND
	;;#ASMSTART
	v_dot2_f32_f16 v84, v12, v4, v84
	;;#ASMEND
	v_mov_b32_e32 v12, 0
	;;#ASMSTART
	v_dot2_f32_f16 v84, v13, v5, v84
	;;#ASMEND
	s_nop 0
	;;#ASMSTART
	v_dot2_f32_f16 v84, v14, v6, v84
	;;#ASMEND
	s_nop 0
	;;#ASMSTART
	v_dot2_f32_f16 v84, v15, v7, v84
	;;#ASMEND
	;;#ASMSTART
	v_dot2_f32_f16 v12, v0, v8, v12
	;;#ASMEND
	v_mov_b32_e32 v8, 0
	;;#ASMSTART
	v_dot2_f32_f16 v12, v1, v9, v12
	;;#ASMEND
	s_nop 0
	;;#ASMSTART
	v_dot2_f32_f16 v12, v2, v10, v12
	;;#ASMEND
	s_nop 0
	;;#ASMSTART
	v_dot2_f32_f16 v12, v3, v11, v12
	;;#ASMEND
	;;#ASMSTART
	v_dot2_f32_f16 v8, v0, v4, v8
	;;#ASMEND
	s_nop 0
	;;#ASMSTART
	v_dot2_f32_f16 v8, v1, v5, v8
	;;#ASMEND
	s_nop 0
	;; [unrolled: 4-line block ×3, first 2 shown]
	;;#ASMSTART
	v_dot2_f32_f16 v8, v3, v7, v8
	;;#ASMEND
	ds_read_b128 v[0:3], v53 offset:16
	ds_read_b128 v[4:7], v53 offset:4624
	;; [unrolled: 1-line block ×6, first 2 shown]
	s_waitcnt lgkmcnt(1)
	;;#ASMSTART
	v_dot2_f32_f16 v80, v0, v94, v80
	;;#ASMEND
	s_nop 0
	;;#ASMSTART
	v_dot2_f32_f16 v80, v1, v95, v80
	;;#ASMEND
	s_nop 0
	;; [unrolled: 4-line block ×3, first 2 shown]
	;;#ASMSTART
	v_dot2_f32_f16 v80, v3, v97, v80
	;;#ASMEND
	s_waitcnt lgkmcnt(0)
	;;#ASMSTART
	v_dot2_f32_f16 v81, v0, v98, v81
	;;#ASMEND
	s_nop 0
	;;#ASMSTART
	v_dot2_f32_f16 v81, v1, v99, v81
	;;#ASMEND
	s_nop 0
	;;#ASMSTART
	v_dot2_f32_f16 v81, v2, v100, v81
	;;#ASMEND
	s_nop 0
	;;#ASMSTART
	v_dot2_f32_f16 v81, v3, v101, v81
	;;#ASMEND
	;;#ASMSTART
	v_dot2_f32_f16 v83, v4, v94, v83
	;;#ASMEND
	s_nop 0
	;;#ASMSTART
	v_dot2_f32_f16 v83, v5, v95, v83
	;;#ASMEND
	s_nop 0
	;;#ASMSTART
	v_dot2_f32_f16 v83, v6, v96, v83
	;;#ASMEND
	s_nop 0
	;;#ASMSTART
	v_dot2_f32_f16 v83, v7, v97, v83
	;;#ASMEND
	;; [unrolled: 15-line block ×7, first 2 shown]
	ds_read_b128 v[0:3], v53 offset:32
	ds_read_b128 v[4:7], v53 offset:4640
	;; [unrolled: 1-line block ×6, first 2 shown]
	s_waitcnt lgkmcnt(1)
	;;#ASMSTART
	v_dot2_f32_f16 v80, v0, v94, v80
	;;#ASMEND
	s_nop 0
	;;#ASMSTART
	v_dot2_f32_f16 v80, v1, v95, v80
	;;#ASMEND
	s_nop 0
	;; [unrolled: 4-line block ×3, first 2 shown]
	;;#ASMSTART
	v_dot2_f32_f16 v80, v3, v97, v80
	;;#ASMEND
	s_waitcnt lgkmcnt(0)
	;;#ASMSTART
	v_dot2_f32_f16 v81, v0, v98, v81
	;;#ASMEND
	s_nop 0
	;;#ASMSTART
	v_dot2_f32_f16 v81, v1, v99, v81
	;;#ASMEND
	s_nop 0
	;;#ASMSTART
	v_dot2_f32_f16 v81, v2, v100, v81
	;;#ASMEND
	s_nop 0
	;;#ASMSTART
	v_dot2_f32_f16 v81, v3, v101, v81
	;;#ASMEND
	;;#ASMSTART
	v_dot2_f32_f16 v83, v4, v94, v83
	;;#ASMEND
	s_nop 0
	;;#ASMSTART
	v_dot2_f32_f16 v83, v5, v95, v83
	;;#ASMEND
	s_nop 0
	;;#ASMSTART
	v_dot2_f32_f16 v83, v6, v96, v83
	;;#ASMEND
	s_nop 0
	;;#ASMSTART
	v_dot2_f32_f16 v83, v7, v97, v83
	;;#ASMEND
	;; [unrolled: 15-line block ×7, first 2 shown]
	ds_read_b128 v[0:3], v53 offset:48
	ds_read_b128 v[4:7], v53 offset:4656
	;; [unrolled: 1-line block ×6, first 2 shown]
	s_waitcnt lgkmcnt(1)
	;;#ASMSTART
	v_dot2_f32_f16 v80, v0, v94, v80
	;;#ASMEND
	s_nop 0
	;;#ASMSTART
	v_dot2_f32_f16 v80, v1, v95, v80
	;;#ASMEND
	s_nop 0
	;; [unrolled: 4-line block ×3, first 2 shown]
	;;#ASMSTART
	v_dot2_f32_f16 v80, v3, v97, v80
	;;#ASMEND
	s_waitcnt lgkmcnt(0)
	;;#ASMSTART
	v_dot2_f32_f16 v81, v0, v98, v81
	;;#ASMEND
	s_nop 0
	;;#ASMSTART
	v_dot2_f32_f16 v81, v1, v99, v81
	;;#ASMEND
	s_nop 0
	;;#ASMSTART
	v_dot2_f32_f16 v81, v2, v100, v81
	;;#ASMEND
	s_nop 0
	;;#ASMSTART
	v_dot2_f32_f16 v81, v3, v101, v81
	;;#ASMEND
	;;#ASMSTART
	v_dot2_f32_f16 v83, v4, v94, v83
	;;#ASMEND
	s_nop 0
	;;#ASMSTART
	v_dot2_f32_f16 v83, v5, v95, v83
	;;#ASMEND
	s_nop 0
	;;#ASMSTART
	v_dot2_f32_f16 v83, v6, v96, v83
	;;#ASMEND
	s_nop 0
	;;#ASMSTART
	v_dot2_f32_f16 v83, v7, v97, v83
	;;#ASMEND
	;; [unrolled: 15-line block ×7, first 2 shown]
	ds_read_b128 v[0:3], v53 offset:64
	ds_read_b128 v[4:7], v53 offset:4672
	;; [unrolled: 1-line block ×6, first 2 shown]
	s_waitcnt lgkmcnt(1)
	;;#ASMSTART
	v_dot2_f32_f16 v80, v0, v94, v80
	;;#ASMEND
	s_nop 0
	;;#ASMSTART
	v_dot2_f32_f16 v80, v1, v95, v80
	;;#ASMEND
	s_nop 0
	;; [unrolled: 4-line block ×3, first 2 shown]
	;;#ASMSTART
	v_dot2_f32_f16 v80, v3, v97, v80
	;;#ASMEND
	s_waitcnt lgkmcnt(0)
	;;#ASMSTART
	v_dot2_f32_f16 v81, v0, v98, v81
	;;#ASMEND
	s_nop 0
	;;#ASMSTART
	v_dot2_f32_f16 v81, v1, v99, v81
	;;#ASMEND
	s_nop 0
	;;#ASMSTART
	v_dot2_f32_f16 v81, v2, v100, v81
	;;#ASMEND
	s_nop 0
	;;#ASMSTART
	v_dot2_f32_f16 v81, v3, v101, v81
	;;#ASMEND
	;;#ASMSTART
	v_dot2_f32_f16 v83, v4, v94, v83
	;;#ASMEND
	s_nop 0
	;;#ASMSTART
	v_dot2_f32_f16 v83, v5, v95, v83
	;;#ASMEND
	s_nop 0
	;;#ASMSTART
	v_dot2_f32_f16 v83, v6, v96, v83
	;;#ASMEND
	s_nop 0
	;;#ASMSTART
	v_dot2_f32_f16 v83, v7, v97, v83
	;;#ASMEND
	;; [unrolled: 15-line block ×7, first 2 shown]
	ds_read_b128 v[0:3], v53 offset:80
	ds_read_b128 v[4:7], v53 offset:4688
	;; [unrolled: 1-line block ×6, first 2 shown]
	s_waitcnt lgkmcnt(1)
	;;#ASMSTART
	v_dot2_f32_f16 v80, v0, v94, v80
	;;#ASMEND
	s_nop 0
	;;#ASMSTART
	v_dot2_f32_f16 v80, v1, v95, v80
	;;#ASMEND
	s_nop 0
	;;#ASMSTART
	v_dot2_f32_f16 v80, v2, v96, v80
	;;#ASMEND
	s_nop 0
	;;#ASMSTART
	v_dot2_f32_f16 v80, v3, v97, v80
	;;#ASMEND
	s_waitcnt lgkmcnt(0)
	;;#ASMSTART
	v_dot2_f32_f16 v81, v0, v98, v81
	;;#ASMEND
	s_nop 0
	;;#ASMSTART
	v_dot2_f32_f16 v81, v1, v99, v81
	;;#ASMEND
	s_nop 0
	;;#ASMSTART
	v_dot2_f32_f16 v81, v2, v100, v81
	;;#ASMEND
	s_nop 0
	;;#ASMSTART
	v_dot2_f32_f16 v81, v3, v101, v81
	;;#ASMEND
	;;#ASMSTART
	v_dot2_f32_f16 v83, v4, v94, v83
	;;#ASMEND
	s_nop 0
	;;#ASMSTART
	v_dot2_f32_f16 v83, v5, v95, v83
	;;#ASMEND
	s_nop 0
	;;#ASMSTART
	v_dot2_f32_f16 v83, v6, v96, v83
	;;#ASMEND
	s_nop 0
	;;#ASMSTART
	v_dot2_f32_f16 v83, v7, v97, v83
	;;#ASMEND
	;; [unrolled: 15-line block ×7, first 2 shown]
	ds_read_b128 v[0:3], v53 offset:96
	ds_read_b128 v[4:7], v53 offset:4704
	;; [unrolled: 1-line block ×6, first 2 shown]
	s_waitcnt lgkmcnt(1)
	;;#ASMSTART
	v_dot2_f32_f16 v80, v0, v94, v80
	;;#ASMEND
	s_nop 0
	;;#ASMSTART
	v_dot2_f32_f16 v80, v1, v95, v80
	;;#ASMEND
	s_nop 0
	;; [unrolled: 4-line block ×3, first 2 shown]
	;;#ASMSTART
	v_dot2_f32_f16 v80, v3, v97, v80
	;;#ASMEND
	s_waitcnt lgkmcnt(0)
	;;#ASMSTART
	v_dot2_f32_f16 v81, v0, v98, v81
	;;#ASMEND
	s_nop 0
	;;#ASMSTART
	v_dot2_f32_f16 v81, v1, v99, v81
	;;#ASMEND
	s_nop 0
	;;#ASMSTART
	v_dot2_f32_f16 v81, v2, v100, v81
	;;#ASMEND
	s_nop 0
	;;#ASMSTART
	v_dot2_f32_f16 v81, v3, v101, v81
	;;#ASMEND
	;;#ASMSTART
	v_dot2_f32_f16 v83, v4, v94, v83
	;;#ASMEND
	s_nop 0
	;;#ASMSTART
	v_dot2_f32_f16 v83, v5, v95, v83
	;;#ASMEND
	s_nop 0
	;;#ASMSTART
	v_dot2_f32_f16 v83, v6, v96, v83
	;;#ASMEND
	s_nop 0
	;;#ASMSTART
	v_dot2_f32_f16 v83, v7, v97, v83
	;;#ASMEND
	;; [unrolled: 15-line block ×7, first 2 shown]
	ds_read_b128 v[0:3], v53 offset:112
	ds_read_b128 v[4:7], v53 offset:4720
	;; [unrolled: 1-line block ×6, first 2 shown]
	s_waitcnt lgkmcnt(1)
	;;#ASMSTART
	v_dot2_f32_f16 v80, v0, v94, v80
	;;#ASMEND
	s_nop 0
	;;#ASMSTART
	v_dot2_f32_f16 v80, v1, v95, v80
	;;#ASMEND
	s_nop 0
	;; [unrolled: 4-line block ×3, first 2 shown]
	;;#ASMSTART
	v_dot2_f32_f16 v80, v3, v97, v80
	;;#ASMEND
	s_waitcnt lgkmcnt(0)
	;;#ASMSTART
	v_dot2_f32_f16 v81, v0, v98, v81
	;;#ASMEND
	v_add_u32_e32 v0, s2, v30
	;;#ASMSTART
	v_dot2_f32_f16 v81, v1, v99, v81
	;;#ASMEND
	v_cndmask_b32_e32 v1, v31, v46, vcc
	;;#ASMSTART
	v_dot2_f32_f16 v81, v2, v100, v81
	;;#ASMEND
	v_cmp_lt_i32_e32 vcc, v45, v41
	;;#ASMSTART
	v_dot2_f32_f16 v81, v3, v101, v81
	;;#ASMEND
	;;#ASMSTART
	v_dot2_f32_f16 v83, v4, v94, v83
	;;#ASMEND
	v_lshlrev_b32_e32 v2, 2, v1
	;;#ASMSTART
	v_dot2_f32_f16 v83, v5, v95, v83
	;;#ASMEND
	s_nop 0
	;;#ASMSTART
	v_dot2_f32_f16 v83, v6, v96, v83
	;;#ASMEND
	v_cndmask_b32_e32 v1, v31, v45, vcc
	;;#ASMSTART
	v_dot2_f32_f16 v83, v7, v97, v83
	;;#ASMEND
	;;#ASMSTART
	v_dot2_f32_f16 v82, v4, v98, v82
	;;#ASMEND
	v_cmp_lt_i32_e32 vcc, v44, v41
	;;#ASMSTART
	v_dot2_f32_f16 v82, v5, v99, v82
	;;#ASMEND
	v_lshlrev_b32_e32 v3, 2, v1
	;;#ASMSTART
	v_dot2_f32_f16 v82, v6, v100, v82
	;;#ASMEND
	s_nop 0
	;;#ASMSTART
	v_dot2_f32_f16 v82, v7, v101, v82
	;;#ASMEND
	;;#ASMSTART
	v_dot2_f32_f16 v85, v86, v94, v85
	;;#ASMEND
	v_cndmask_b32_e32 v1, v31, v44, vcc
	;;#ASMSTART
	v_dot2_f32_f16 v85, v87, v95, v85
	;;#ASMEND
	v_cmp_lt_i32_e32 vcc, v43, v41
	;;#ASMSTART
	v_dot2_f32_f16 v85, v88, v96, v85
	;;#ASMEND
	v_lshlrev_b32_e32 v4, 2, v1
	;;#ASMSTART
	v_dot2_f32_f16 v85, v89, v97, v85
	;;#ASMEND
	;;#ASMSTART
	v_dot2_f32_f16 v84, v86, v98, v84
	;;#ASMEND
	s_nop 0
	;;#ASMSTART
	v_dot2_f32_f16 v84, v87, v99, v84
	;;#ASMEND
	v_cndmask_b32_e32 v1, v31, v43, vcc
	;;#ASMSTART
	v_dot2_f32_f16 v84, v88, v100, v84
	;;#ASMEND
	v_cmp_lt_i32_e32 vcc, v42, v41
	;;#ASMSTART
	v_dot2_f32_f16 v84, v89, v101, v84
	;;#ASMEND
	;;#ASMSTART
	v_dot2_f32_f16 v12, v90, v94, v12
	;;#ASMEND
	v_lshlrev_b32_e32 v5, 2, v1
	;;#ASMSTART
	v_dot2_f32_f16 v12, v91, v95, v12
	;;#ASMEND
	s_nop 0
	;;#ASMSTART
	v_dot2_f32_f16 v12, v92, v96, v12
	;;#ASMEND
	v_cndmask_b32_e32 v1, v31, v42, vcc
	;;#ASMSTART
	v_dot2_f32_f16 v12, v93, v97, v12
	;;#ASMEND
	;;#ASMSTART
	v_dot2_f32_f16 v8, v90, v98, v8
	;;#ASMEND
	v_lshlrev_b32_e32 v6, 2, v1
	;;#ASMSTART
	v_dot2_f32_f16 v8, v91, v99, v8
	;;#ASMEND
	v_ashrrev_i32_e32 v1, 31, v0
	;;#ASMSTART
	v_dot2_f32_f16 v8, v92, v100, v8
	;;#ASMEND
	v_lshl_add_u64 v[0:1], v[0:1], 1, s[26:27]
	;;#ASMSTART
	v_dot2_f32_f16 v8, v93, v101, v8
	;;#ASMEND
	global_load_ushort v7, v[0:1], off
	global_load_ushort v11, v[0:1], off offset:64
	s_waitcnt vmcnt(1)
	v_cvt_f32_f16_e32 v7, v7
	s_waitcnt vmcnt(0)
	v_cvt_f32_f16_e32 v11, v11
	v_add_f32_e32 v9, v80, v7
	v_add_f32_e32 v13, v83, v11
	v_add_f32_e32 v10, 0x40051340, v9
	v_add_f32_e32 v14, 0x40051340, v13
	v_max3_f32 v10, v79, v10, v14
	global_load_ushort v14, v[0:1], off offset:128
	v_add_f32_e32 v7, v81, v7
	global_load_ushort v0, v[0:1], off offset:192
	v_add_f32_e32 v11, v82, v11
	s_barrier
	s_waitcnt vmcnt(1)
	v_cvt_f32_f16_e32 v14, v14
	s_waitcnt vmcnt(0)
	v_cvt_f32_f16_e32 v1, v0
	v_add_f32_e32 v15, v85, v14
	v_add_f32_e32 v80, 0x40051340, v15
	;; [unrolled: 1-line block ×4, first 2 shown]
	v_max3_f32 v0, v10, v80, v0
	ds_bpermute_b32 v10, v2, v0
	v_add_f32_e32 v80, 0x40051340, v11
	v_add_f32_e32 v14, v84, v14
	;; [unrolled: 1-line block ×4, first 2 shown]
	s_waitcnt lgkmcnt(0)
	v_max_f32_e32 v10, v10, v10
	v_max_f32_e32 v0, v0, v10
	ds_bpermute_b32 v10, v3, v0
	s_waitcnt lgkmcnt(0)
	v_max_f32_e32 v10, v10, v10
	v_max_f32_e32 v0, v0, v10
	ds_bpermute_b32 v10, v4, v0
	;; [unrolled: 4-line block ×4, first 2 shown]
	s_waitcnt lgkmcnt(0)
	v_max_f32_e32 v10, v10, v10
	v_max_f32_e32 v0, v0, v10
	v_add_f32_e32 v10, 0x40051340, v7
	v_max3_f32 v10, v78, v10, v80
	v_add_f32_e32 v80, 0x40051340, v14
	v_max3_f32 v1, v10, v80, v1
	ds_bpermute_b32 v2, v2, v1
	s_waitcnt lgkmcnt(0)
	v_max_f32_e32 v2, v2, v2
	v_max_f32_e32 v1, v1, v2
	ds_bpermute_b32 v2, v3, v1
	v_sub_f32_e32 v3, v9, v0
	v_cmp_ngt_f32_e32 vcc, s21, v3
	s_waitcnt lgkmcnt(0)
	v_max_f32_e32 v2, v2, v2
	v_max_f32_e32 v1, v1, v2
	ds_bpermute_b32 v2, v4, v1
	v_mul_f32_e32 v4, 0x3fb8aa3b, v3
	s_waitcnt lgkmcnt(0)
	v_max_f32_e32 v2, v2, v2
	v_max_f32_e32 v1, v1, v2
	ds_bpermute_b32 v2, v5, v1
	v_fma_f32 v5, v3, s20, -v4
	v_fmac_f32_e32 v5, 0x32a5705f, v3
	s_waitcnt lgkmcnt(0)
	v_max_f32_e32 v2, v2, v2
	v_max_f32_e32 v1, v1, v2
	ds_bpermute_b32 v2, v6, v1
	v_rndne_f32_e32 v6, v4
	v_sub_f32_e32 v4, v4, v6
	v_add_f32_e32 v4, v4, v5
	v_exp_f32_e32 v4, v4
	v_cvt_i32_f32_e32 v5, v6
	s_waitcnt lgkmcnt(0)
	v_max_f32_e32 v2, v2, v2
	v_max_f32_e32 v1, v1, v2
	v_sub_f32_e32 v2, v79, v0
	v_ldexp_f32 v4, v4, v5
	v_cndmask_b32_e32 v4, 0, v4, vcc
	v_cmp_nlt_f32_e32 vcc, s28, v3
	v_sub_f32_e32 v3, v13, v0
	v_mul_f32_e32 v5, 0x3fb8aa3b, v3
	v_fma_f32 v6, v3, s20, -v5
	v_rndne_f32_e32 v8, v5
	v_fmac_f32_e32 v6, 0x32a5705f, v3
	v_sub_f32_e32 v5, v5, v8
	v_add_f32_e32 v5, v5, v6
	v_exp_f32_e32 v5, v5
	v_cvt_i32_f32_e32 v6, v8
	v_cndmask_b32_e32 v4, v59, v4, vcc
	v_cmp_ngt_f32_e32 vcc, s21, v3
	v_ldexp_f32 v5, v5, v6
	s_nop 0
	v_cndmask_b32_e32 v5, 0, v5, vcc
	v_cmp_nlt_f32_e32 vcc, s28, v3
	v_sub_f32_e32 v3, v15, v0
	s_nop 0
	v_cndmask_b32_e32 v6, v59, v5, vcc
	v_mul_f32_e32 v5, 0x3fb8aa3b, v3
	v_fma_f32 v8, v3, s20, -v5
	v_rndne_f32_e32 v9, v5
	v_fmac_f32_e32 v8, 0x32a5705f, v3
	v_sub_f32_e32 v5, v5, v9
	v_add_f32_e32 v5, v5, v8
	v_exp_f32_e32 v5, v5
	v_cvt_i32_f32_e32 v8, v9
	v_cmp_ngt_f32_e32 vcc, s21, v3
	v_ldexp_f32 v5, v5, v8
	s_nop 0
	v_cndmask_b32_e32 v5, 0, v5, vcc
	v_cmp_nlt_f32_e32 vcc, s28, v3
	v_sub_f32_e32 v3, v12, v0
	s_nop 0
	v_cndmask_b32_e32 v8, v59, v5, vcc
	v_mul_f32_e32 v5, 0x3fb8aa3b, v3
	v_fma_f32 v9, v3, s20, -v5
	v_rndne_f32_e32 v10, v5
	v_fmac_f32_e32 v9, 0x32a5705f, v3
	v_sub_f32_e32 v5, v5, v10
	v_add_f32_e32 v5, v5, v9
	v_exp_f32_e32 v5, v5
	v_cvt_i32_f32_e32 v9, v10
	v_cmp_ngt_f32_e32 vcc, s21, v3
	v_ldexp_f32 v5, v5, v9
	s_nop 0
	v_cndmask_b32_e32 v5, 0, v5, vcc
	v_cmp_nlt_f32_e32 vcc, s28, v3
	v_mul_f32_e32 v3, 0x3fb8aa3b, v2
	v_rndne_f32_e32 v9, v3
	v_cndmask_b32_e32 v10, v59, v5, vcc
	v_fma_f32 v5, v2, s20, -v3
	v_fmac_f32_e32 v5, 0x32a5705f, v2
	v_sub_f32_e32 v3, v3, v9
	v_add_f32_e32 v3, v3, v5
	v_exp_f32_e32 v3, v3
	v_cvt_i32_f32_e32 v5, v9
	v_cmp_ngt_f32_e32 vcc, s21, v2
	v_ldexp_f32 v3, v3, v5
	v_sub_f32_e32 v5, v7, v1
	v_mul_f32_e32 v7, 0x3fb8aa3b, v5
	v_fma_f32 v9, v5, s20, -v7
	v_rndne_f32_e32 v13, v7
	v_fmac_f32_e32 v9, 0x32a5705f, v5
	v_sub_f32_e32 v7, v7, v13
	v_add_f32_e32 v7, v7, v9
	v_exp_f32_e32 v7, v7
	v_cvt_i32_f32_e32 v9, v13
	v_cndmask_b32_e32 v3, 0, v3, vcc
	v_cmp_nlt_f32_e32 vcc, s28, v2
	v_ldexp_f32 v7, v7, v9
	s_nop 0
	v_cndmask_b32_e32 v12, v59, v3, vcc
	v_cmp_ngt_f32_e32 vcc, s21, v5
	v_sub_f32_e32 v3, v78, v1
	v_cvt_f16_f32_e32 v2, v12
	v_cndmask_b32_e32 v7, 0, v7, vcc
	v_cmp_nlt_f32_e32 vcc, s28, v5
	v_mul_u32_u24_e32 v2, 0x10001, v2
	s_nop 0
	v_cndmask_b32_e32 v5, v59, v7, vcc
	v_sub_f32_e32 v7, v11, v1
	v_mul_f32_e32 v9, 0x3fb8aa3b, v7
	v_fma_f32 v11, v7, s20, -v9
	v_rndne_f32_e32 v13, v9
	v_fmac_f32_e32 v11, 0x32a5705f, v7
	v_sub_f32_e32 v9, v9, v13
	v_add_f32_e32 v9, v9, v11
	v_exp_f32_e32 v9, v9
	v_cvt_i32_f32_e32 v11, v13
	v_cmp_ngt_f32_e32 vcc, s21, v7
	v_ldexp_f32 v9, v9, v11
	s_nop 0
	v_cndmask_b32_e32 v9, 0, v9, vcc
	v_cmp_nlt_f32_e32 vcc, s28, v7
	s_nop 1
	v_cndmask_b32_e32 v7, v59, v9, vcc
	v_sub_f32_e32 v9, v14, v1
	v_mul_f32_e32 v11, 0x3fb8aa3b, v9
	v_fma_f32 v13, v9, s20, -v11
	v_rndne_f32_e32 v14, v11
	v_fmac_f32_e32 v13, 0x32a5705f, v9
	v_sub_f32_e32 v11, v11, v14
	v_add_f32_e32 v11, v11, v13
	v_exp_f32_e32 v11, v11
	v_cvt_i32_f32_e32 v13, v14
	v_cmp_ngt_f32_e32 vcc, s21, v9
	v_ldexp_f32 v11, v11, v13
	s_nop 0
	v_cndmask_b32_e32 v11, 0, v11, vcc
	v_cmp_nlt_f32_e32 vcc, s28, v9
	;; [unrolled: 16-line block ×3, first 2 shown]
	s_nop 1
	v_cndmask_b32_e32 v11, v59, v13, vcc
	v_mul_f32_e32 v13, 0x3fb8aa3b, v3
	v_fma_f32 v14, v3, s20, -v13
	v_rndne_f32_e32 v15, v13
	v_fmac_f32_e32 v14, 0x32a5705f, v3
	v_sub_f32_e32 v13, v13, v15
	v_add_f32_e32 v13, v13, v14
	v_exp_f32_e32 v13, v13
	v_cvt_i32_f32_e32 v14, v15
	v_cmp_ngt_f32_e32 vcc, s21, v3
	v_ldexp_f32 v13, v13, v14
	v_pk_add_f32 v[14:15], v[4:5], v[6:7]
	v_cvt_pk_f16_f32 v4, v4, v5
	v_cvt_pk_f16_f32 v5, v6, v7
	ds_write2_b32 v60, v4, v5 offset1:32
	v_cvt_pk_f16_f32 v4, v8, v9
	v_cvt_pk_f16_f32 v5, v10, v11
	v_lshl_add_u64 v[6:7], v[34:35], 2, s[6:7]
	v_cndmask_b32_e32 v13, 0, v13, vcc
	v_cmp_nlt_f32_e32 vcc, s28, v3
	v_pk_add_f32 v[14:15], v[8:9], v[14:15]
	ds_write2_b32 v60, v4, v5 offset0:64 offset1:96
	v_lshl_add_u64 v[4:5], v[32:33], 2, s[6:7]
	v_lshl_add_u64 v[8:9], v[6:7], 0, v[18:19]
	;; [unrolled: 1-line block ×3, first 2 shown]
	v_cndmask_b32_e32 v13, v59, v13, vcc
	v_pk_add_f32 v[14:15], v[10:11], v[14:15]
	v_lshl_add_u64 v[4:5], v[4:5], 0, v[18:19]
	v_lshl_add_u64 v[10:11], v[6:7], 0, v[18:19]
	v_lshl_add_u64 v[6:7], v[38:39], 2, s[6:7]
	v_pk_fma_f32 v[26:27], v[26:27], v[12:13], v[14:15]
	v_cvt_f16_f32_e32 v3, v13
	v_lshl_add_u64 v[12:13], v[6:7], 0, v[18:19]
	global_load_dwordx4 v[4:7], v[4:5], off
	v_mul_u32_u24_e32 v3, 0x10001, v3
	s_waitcnt vmcnt(0)
	ds_write_b128 v55, v[4:7]
	global_load_dwordx4 v[4:7], v[8:9], off
	s_waitcnt vmcnt(0)
	ds_write_b128 v56, v[4:7]
	global_load_dwordx4 v[4:7], v[10:11], off
	;; [unrolled: 3-line block ×3, first 2 shown]
	s_waitcnt vmcnt(0)
	ds_write_b128 v58, v[4:7]
	s_waitcnt lgkmcnt(0)
	s_barrier
	ds_read2_b32 v[8:9], v47 offset1:32
	ds_read_b128 v[4:7], v54
	s_waitcnt lgkmcnt(0)
	v_mul_u32_u24_sdwa v10, v4, s29 dst_sel:DWORD dst_unused:UNUSED_PAD src0_sel:WORD_0 src1_sel:DWORD
	v_mul_u32_u24_sdwa v4, v4, s29 dst_sel:DWORD dst_unused:UNUSED_PAD src0_sel:WORD_1 src1_sel:DWORD
	v_pk_mul_f16 v10, v8, v10
	v_pk_mul_f16 v4, v8, v4
	v_pk_fma_f16 v2, v77, v2, v10
	v_pk_fma_f16 v3, v76, v3, v4
	v_mul_u32_u24_sdwa v4, v5, s29 dst_sel:DWORD dst_unused:UNUSED_PAD src0_sel:WORD_0 src1_sel:DWORD
	v_mul_u32_u24_sdwa v5, v5, s29 dst_sel:DWORD dst_unused:UNUSED_PAD src0_sel:WORD_1 src1_sel:DWORD
	v_pk_fma_f16 v4, v9, v4, v2
	v_pk_fma_f16 v5, v9, v5, v3
	ds_read2_b32 v[2:3], v47 offset0:64 offset1:96
	v_mul_u32_u24_sdwa v8, v6, s29 dst_sel:DWORD dst_unused:UNUSED_PAD src0_sel:WORD_0 src1_sel:DWORD
	v_mul_u32_u24_sdwa v6, v6, s29 dst_sel:DWORD dst_unused:UNUSED_PAD src0_sel:WORD_1 src1_sel:DWORD
	s_waitcnt lgkmcnt(0)
	v_pk_fma_f16 v4, v2, v8, v4
	v_pk_fma_f16 v2, v2, v6, v5
	v_mul_u32_u24_sdwa v5, v7, s29 dst_sel:DWORD dst_unused:UNUSED_PAD src0_sel:WORD_0 src1_sel:DWORD
	v_mul_u32_u24_sdwa v6, v7, s29 dst_sel:DWORD dst_unused:UNUSED_PAD src0_sel:WORD_1 src1_sel:DWORD
	v_pk_fma_f16 v8, v3, v5, v4
	v_pk_fma_f16 v9, v3, v6, v2
	ds_read2_b32 v[6:7], v47 offset0:128 offset1:160
	ds_read_b128 v[2:5], v54 offset:16
	s_waitcnt lgkmcnt(0)
	v_mul_u32_u24_sdwa v10, v2, s29 dst_sel:DWORD dst_unused:UNUSED_PAD src0_sel:WORD_0 src1_sel:DWORD
	v_mul_u32_u24_sdwa v2, v2, s29 dst_sel:DWORD dst_unused:UNUSED_PAD src0_sel:WORD_1 src1_sel:DWORD
	v_pk_fma_f16 v8, v6, v10, v8
	v_pk_fma_f16 v2, v6, v2, v9
	v_mul_u32_u24_sdwa v6, v3, s29 dst_sel:DWORD dst_unused:UNUSED_PAD src0_sel:WORD_0 src1_sel:DWORD
	v_mul_u32_u24_sdwa v3, v3, s29 dst_sel:DWORD dst_unused:UNUSED_PAD src0_sel:WORD_1 src1_sel:DWORD
	v_pk_fma_f16 v6, v7, v6, v8
	v_pk_fma_f16 v7, v7, v3, v2
	ds_read2_b32 v[2:3], v47 offset0:192 offset1:224
	v_mul_u32_u24_sdwa v8, v4, s29 dst_sel:DWORD dst_unused:UNUSED_PAD src0_sel:WORD_0 src1_sel:DWORD
	v_mul_u32_u24_sdwa v4, v4, s29 dst_sel:DWORD dst_unused:UNUSED_PAD src0_sel:WORD_1 src1_sel:DWORD
	s_waitcnt lgkmcnt(0)
	v_pk_fma_f16 v6, v2, v8, v6
	v_pk_fma_f16 v2, v2, v4, v7
	v_mul_u32_u24_sdwa v4, v5, s29 dst_sel:DWORD dst_unused:UNUSED_PAD src0_sel:WORD_0 src1_sel:DWORD
	v_mul_u32_u24_sdwa v5, v5, s29 dst_sel:DWORD dst_unused:UNUSED_PAD src0_sel:WORD_1 src1_sel:DWORD
	v_pk_fma_f16 v8, v3, v4, v6
	v_pk_fma_f16 v9, v3, v5, v2
	ds_read2_b32 v[6:7], v61 offset1:32
	ds_read_b128 v[2:5], v54 offset:32
	s_waitcnt lgkmcnt(0)
	v_mul_u32_u24_sdwa v10, v2, s29 dst_sel:DWORD dst_unused:UNUSED_PAD src0_sel:WORD_0 src1_sel:DWORD
	v_mul_u32_u24_sdwa v2, v2, s29 dst_sel:DWORD dst_unused:UNUSED_PAD src0_sel:WORD_1 src1_sel:DWORD
	v_pk_fma_f16 v8, v6, v10, v8
	v_pk_fma_f16 v2, v6, v2, v9
	v_mul_u32_u24_sdwa v6, v3, s29 dst_sel:DWORD dst_unused:UNUSED_PAD src0_sel:WORD_0 src1_sel:DWORD
	v_mul_u32_u24_sdwa v3, v3, s29 dst_sel:DWORD dst_unused:UNUSED_PAD src0_sel:WORD_1 src1_sel:DWORD
	v_pk_fma_f16 v6, v7, v6, v8
	v_pk_fma_f16 v7, v7, v3, v2
	ds_read2_b32 v[2:3], v61 offset0:64 offset1:96
	v_mul_u32_u24_sdwa v8, v4, s29 dst_sel:DWORD dst_unused:UNUSED_PAD src0_sel:WORD_0 src1_sel:DWORD
	v_mul_u32_u24_sdwa v4, v4, s29 dst_sel:DWORD dst_unused:UNUSED_PAD src0_sel:WORD_1 src1_sel:DWORD
	s_waitcnt lgkmcnt(0)
	v_pk_fma_f16 v6, v2, v8, v6
	v_pk_fma_f16 v2, v2, v4, v7
	v_mul_u32_u24_sdwa v4, v5, s29 dst_sel:DWORD dst_unused:UNUSED_PAD src0_sel:WORD_0 src1_sel:DWORD
	v_mul_u32_u24_sdwa v5, v5, s29 dst_sel:DWORD dst_unused:UNUSED_PAD src0_sel:WORD_1 src1_sel:DWORD
	v_pk_fma_f16 v8, v3, v4, v6
	v_pk_fma_f16 v9, v3, v5, v2
	ds_read2_b32 v[6:7], v61 offset0:128 offset1:160
	ds_read_b128 v[2:5], v54 offset:48
	s_waitcnt lgkmcnt(0)
	v_mul_u32_u24_sdwa v10, v2, s29 dst_sel:DWORD dst_unused:UNUSED_PAD src0_sel:WORD_0 src1_sel:DWORD
	v_mul_u32_u24_sdwa v2, v2, s29 dst_sel:DWORD dst_unused:UNUSED_PAD src0_sel:WORD_1 src1_sel:DWORD
	v_pk_fma_f16 v8, v6, v10, v8
	v_pk_fma_f16 v2, v6, v2, v9
	v_mul_u32_u24_sdwa v6, v3, s29 dst_sel:DWORD dst_unused:UNUSED_PAD src0_sel:WORD_0 src1_sel:DWORD
	v_mul_u32_u24_sdwa v3, v3, s29 dst_sel:DWORD dst_unused:UNUSED_PAD src0_sel:WORD_1 src1_sel:DWORD
	v_pk_fma_f16 v6, v7, v6, v8
	v_pk_fma_f16 v7, v7, v3, v2
	ds_read2_b32 v[2:3], v61 offset0:192 offset1:224
	v_mul_u32_u24_sdwa v8, v4, s29 dst_sel:DWORD dst_unused:UNUSED_PAD src0_sel:WORD_0 src1_sel:DWORD
	v_mul_u32_u24_sdwa v4, v4, s29 dst_sel:DWORD dst_unused:UNUSED_PAD src0_sel:WORD_1 src1_sel:DWORD
	s_waitcnt lgkmcnt(0)
	v_pk_fma_f16 v6, v2, v8, v6
	v_pk_fma_f16 v2, v2, v4, v7
	v_mul_u32_u24_sdwa v4, v5, s29 dst_sel:DWORD dst_unused:UNUSED_PAD src0_sel:WORD_0 src1_sel:DWORD
	v_mul_u32_u24_sdwa v5, v5, s29 dst_sel:DWORD dst_unused:UNUSED_PAD src0_sel:WORD_1 src1_sel:DWORD
	v_pk_fma_f16 v8, v3, v4, v6
	v_pk_fma_f16 v9, v3, v5, v2
	ds_read2_b32 v[6:7], v62 offset1:32
	ds_read_b128 v[2:5], v54 offset:64
	s_waitcnt lgkmcnt(0)
	v_mul_u32_u24_sdwa v10, v2, s29 dst_sel:DWORD dst_unused:UNUSED_PAD src0_sel:WORD_0 src1_sel:DWORD
	v_mul_u32_u24_sdwa v2, v2, s29 dst_sel:DWORD dst_unused:UNUSED_PAD src0_sel:WORD_1 src1_sel:DWORD
	;; [unrolled: 42-line block ×15, first 2 shown]
	v_pk_fma_f16 v8, v6, v10, v8
	v_pk_fma_f16 v2, v6, v2, v9
	v_mul_u32_u24_sdwa v6, v3, s29 dst_sel:DWORD dst_unused:UNUSED_PAD src0_sel:WORD_0 src1_sel:DWORD
	v_mul_u32_u24_sdwa v3, v3, s29 dst_sel:DWORD dst_unused:UNUSED_PAD src0_sel:WORD_1 src1_sel:DWORD
	v_pk_fma_f16 v6, v7, v6, v8
	v_pk_fma_f16 v7, v7, v3, v2
	ds_read2_b32 v[2:3], v75 offset0:64 offset1:96
	v_mul_u32_u24_sdwa v8, v4, s29 dst_sel:DWORD dst_unused:UNUSED_PAD src0_sel:WORD_0 src1_sel:DWORD
	v_mul_u32_u24_sdwa v4, v4, s29 dst_sel:DWORD dst_unused:UNUSED_PAD src0_sel:WORD_1 src1_sel:DWORD
	s_waitcnt lgkmcnt(0)
	v_pk_fma_f16 v6, v2, v8, v6
	v_pk_fma_f16 v2, v2, v4, v7
	v_mul_u32_u24_sdwa v4, v5, s29 dst_sel:DWORD dst_unused:UNUSED_PAD src0_sel:WORD_0 src1_sel:DWORD
	v_mul_u32_u24_sdwa v5, v5, s29 dst_sel:DWORD dst_unused:UNUSED_PAD src0_sel:WORD_1 src1_sel:DWORD
	v_pk_fma_f16 v8, v3, v4, v6
	v_pk_fma_f16 v9, v3, v5, v2
	ds_read2_b32 v[6:7], v75 offset0:128 offset1:160
	ds_read_b128 v[2:5], v54 offset:496
	s_waitcnt lgkmcnt(0)
	v_mul_u32_u24_sdwa v10, v2, s29 dst_sel:DWORD dst_unused:UNUSED_PAD src0_sel:WORD_0 src1_sel:DWORD
	v_mul_u32_u24_sdwa v2, v2, s29 dst_sel:DWORD dst_unused:UNUSED_PAD src0_sel:WORD_1 src1_sel:DWORD
	v_pk_fma_f16 v8, v6, v10, v8
	v_pk_fma_f16 v2, v6, v2, v9
	v_mul_u32_u24_sdwa v6, v3, s29 dst_sel:DWORD dst_unused:UNUSED_PAD src0_sel:WORD_0 src1_sel:DWORD
	v_mul_u32_u24_sdwa v3, v3, s29 dst_sel:DWORD dst_unused:UNUSED_PAD src0_sel:WORD_1 src1_sel:DWORD
	v_pk_fma_f16 v6, v7, v6, v8
	v_pk_fma_f16 v7, v7, v3, v2
	ds_read2_b32 v[2:3], v75 offset0:192 offset1:224
	s_waitcnt lgkmcnt(0)
	s_barrier
	s_load_dword s6, s[4:5], 0x4
	v_mul_u32_u24_sdwa v8, v4, s29 dst_sel:DWORD dst_unused:UNUSED_PAD src0_sel:WORD_0 src1_sel:DWORD
	v_mul_u32_u24_sdwa v4, v4, s29 dst_sel:DWORD dst_unused:UNUSED_PAD src0_sel:WORD_1 src1_sel:DWORD
	v_pk_fma_f16 v6, v2, v8, v6
	v_pk_fma_f16 v2, v2, v4, v7
	s_waitcnt lgkmcnt(0)
	s_lshl_b32 s6, s6, 7
	v_mul_u32_u24_sdwa v4, v5, s29 dst_sel:DWORD dst_unused:UNUSED_PAD src0_sel:WORD_0 src1_sel:DWORD
	v_mul_u32_u24_sdwa v5, v5, s29 dst_sel:DWORD dst_unused:UNUSED_PAD src0_sel:WORD_1 src1_sel:DWORD
	s_add_i32 s2, s6, s2
	v_pk_fma_f16 v77, v3, v4, v6
	v_pk_fma_f16 v76, v3, v5, v2
	s_cmp_ge_i32 s2, s24
	s_cbranch_scc0 .LBB24_9
.LBB24_10:
	v_cmp_lt_i32_e32 vcc, v46, v41
	s_cmp_lg_u64 s[12:13], 0
	s_cselect_b64 s[4:5], -1, 0
	v_cndmask_b32_e32 v2, v31, v46, vcc
	v_lshlrev_b32_e32 v3, 2, v2
	ds_bpermute_b32 v2, v3, v26
	ds_bpermute_b32 v3, v3, v27
	v_cmp_lt_i32_e32 vcc, v45, v41
	s_cmp_eq_u32 s3, 0
	s_cselect_b64 s[6:7], -1, 0
	v_cndmask_b32_e32 v4, v31, v45, vcc
	v_lshlrev_b32_e32 v5, 2, v4
	s_waitcnt lgkmcnt(0)
	v_pk_add_f32 v[2:3], v[26:27], v[2:3]
	ds_bpermute_b32 v4, v5, v2
	ds_bpermute_b32 v5, v5, v3
	v_cmp_lt_i32_e32 vcc, v44, v41
	s_and_b64 s[4:5], s[6:7], s[4:5]
	v_lshlrev_b32_e32 v7, 1, v16
	v_cndmask_b32_e32 v6, v31, v44, vcc
	v_lshlrev_b32_e32 v6, 2, v6
	s_waitcnt lgkmcnt(0)
	v_pk_add_f32 v[2:3], v[2:3], v[4:5]
	ds_bpermute_b32 v4, v6, v2
	ds_bpermute_b32 v5, v6, v3
	v_cmp_lt_i32_e32 vcc, v43, v41
	s_waitcnt lgkmcnt(0)
	v_pk_add_f32 v[2:3], v[2:3], v[4:5]
	v_cndmask_b32_e32 v6, v31, v43, vcc
	v_lshlrev_b32_e32 v6, 2, v6
	ds_bpermute_b32 v4, v6, v2
	ds_bpermute_b32 v5, v6, v3
	v_cmp_lt_i32_e32 vcc, v42, v41
	s_waitcnt lgkmcnt(0)
	v_pk_add_f32 v[2:3], v[2:3], v[4:5]
	v_cndmask_b32_e32 v6, v31, v42, vcc
	v_lshlrev_b32_e32 v6, 2, v6
	ds_bpermute_b32 v4, v6, v2
	ds_bpermute_b32 v5, v6, v3
	s_and_b64 vcc, exec, s[4:5]
	s_waitcnt lgkmcnt(0)
	v_pk_add_f32 v[2:3], v[2:3], v[4:5]
	s_cbranch_vccz .LBB24_12
; %bb.11:
	v_add_u32_e32 v4, s25, v40
	v_ashrrev_i32_e32 v5, 31, v4
	v_lshl_add_u64 v[4:5], v[4:5], 2, s[12:13]
	global_load_dwordx2 v[4:5], v[4:5], off
	v_max_f32_e32 v6, v0, v0
	v_max_f32_e32 v9, v1, v1
	s_mov_b32 s2, 0x3fb8aa3b
	s_mov_b32 s4, 0xc2ce8ed0
	;; [unrolled: 1-line block ×3, first 2 shown]
	v_mov_b32_e32 v10, 0x7f800000
	s_waitcnt vmcnt(0)
	v_max_f32_e32 v8, v4, v4
	v_max_f32_e32 v8, v6, v8
	;; [unrolled: 1-line block ×3, first 2 shown]
	v_sub_f32_e32 v0, v0, v8
	v_max_f32_e32 v9, v9, v11
	v_sub_f32_e32 v4, v4, v8
	v_mul_f32_e32 v6, 0x3fb8aa3b, v0
	v_sub_f32_e32 v1, v1, v9
	v_mul_f32_e32 v11, 0x3fb8aa3b, v4
	v_fma_f32 v14, v0, s2, -v6
	v_rndne_f32_e32 v15, v6
	v_sub_f32_e32 v5, v5, v9
	v_mul_f32_e32 v12, 0x3fb8aa3b, v1
	v_fma_f32 v18, v4, s2, -v11
	v_rndne_f32_e32 v19, v11
	v_fmac_f32_e32 v14, 0x32a5705f, v0
	v_sub_f32_e32 v6, v6, v15
	v_mul_f32_e32 v13, 0x3fb8aa3b, v5
	v_fma_f32 v20, v1, s2, -v12
	v_rndne_f32_e32 v21, v12
	v_fmac_f32_e32 v18, 0x32a5705f, v4
	v_sub_f32_e32 v11, v11, v19
	v_add_f32_e32 v6, v6, v14
	v_fma_f32 v22, v5, s2, -v13
	v_rndne_f32_e32 v23, v13
	v_cvt_i32_f32_e32 v15, v15
	v_fmac_f32_e32 v20, 0x32a5705f, v1
	v_sub_f32_e32 v12, v12, v21
	v_add_f32_e32 v11, v11, v18
	v_exp_f32_e32 v6, v6
	v_cvt_i32_f32_e32 v19, v19
	v_fmac_f32_e32 v22, 0x32a5705f, v5
	v_sub_f32_e32 v13, v13, v23
	v_add_f32_e32 v12, v12, v20
	v_exp_f32_e32 v11, v11
	v_cvt_i32_f32_e32 v21, v21
	v_add_f32_e32 v13, v13, v22
	v_exp_f32_e32 v12, v12
	v_cvt_i32_f32_e32 v23, v23
	v_exp_f32_e32 v13, v13
	v_ldexp_f32 v6, v6, v15
	v_cmp_ngt_f32_e32 vcc, s4, v0
	v_ldexp_f32 v11, v11, v19
	v_ldexp_f32 v12, v12, v21
	v_cndmask_b32_e32 v6, 0, v6, vcc
	v_cmp_ngt_f32_e32 vcc, s4, v4
	v_ldexp_f32 v13, v13, v23
	s_nop 0
	v_cndmask_b32_e32 v11, 0, v11, vcc
	v_cmp_ngt_f32_e32 vcc, s4, v1
	s_nop 1
	v_cndmask_b32_e32 v12, 0, v12, vcc
	v_cmp_ngt_f32_e32 vcc, s4, v5
	s_nop 1
	v_cndmask_b32_e32 v13, 0, v13, vcc
	v_cmp_nlt_f32_e32 vcc, s5, v0
	s_nop 1
	v_cndmask_b32_e32 v0, v10, v6, vcc
	v_cmp_nlt_f32_e32 vcc, s5, v4
	v_cvt_f16_f32_e32 v6, v0
	s_nop 0
	v_cndmask_b32_e32 v4, v10, v11, vcc
	v_cmp_nlt_f32_e32 vcc, s5, v1
	s_nop 1
	v_cndmask_b32_e32 v1, v10, v12, vcc
	v_cvt_f16_f32_e32 v11, v1
	v_cmp_nlt_f32_e32 vcc, s5, v5
	s_nop 1
	v_cndmask_b32_e32 v5, v10, v13, vcc
	v_pk_fma_f32 v[2:3], v[2:3], v[0:1], v[4:5]
	v_mul_u32_u24_e32 v0, 0x10001, v6
	v_mul_u32_u24_e32 v1, 0x10001, v11
	v_pk_mul_f16 v77, v77, v0
	v_pk_mul_f16 v76, v76, v1
	v_mov_b64_e32 v[0:1], v[8:9]
.LBB24_12:
	v_cmp_gt_i32_e32 vcc, s22, v17
	s_and_saveexec_b64 s[4:5], vcc
	s_cbranch_execz .LBB24_21
; %bb.13:
	s_load_dword s6, s[0:1], 0xd4
	v_mov_b32_e32 v6, 1.0
	s_waitcnt lgkmcnt(0)
	s_cmp_lg_u32 s6, 1
	s_cselect_b64 s[0:1], -1, 0
	s_cmp_eq_u32 s6, 1
	s_cselect_b64 s[4:5], -1, 0
	s_and_b64 vcc, exec, s[0:1]
	s_cbranch_vccnz .LBB24_15
; %bb.14:
	v_div_scale_f32 v4, s[8:9], v2, v2, 1.0
	v_rcp_f32_e32 v5, v4
	v_div_scale_f32 v6, vcc, 1.0, v2, 1.0
	v_fma_f32 v8, -v4, v5, 1.0
	v_fmac_f32_e32 v5, v8, v5
	v_mul_f32_e32 v8, v6, v5
	v_fma_f32 v9, -v4, v8, v6
	v_fmac_f32_e32 v8, v9, v5
	v_fma_f32 v4, -v4, v8, v6
	v_div_fmas_f32 v4, v4, v5, v8
	v_div_fixup_f32 v6, v4, v2, 1.0
.LBB24_15:
	s_mul_i32 s30, s30, s22
	v_add_u32_e32 v4, s30, v17
	v_mul_lo_u32 v4, v4, s23
	v_add3_u32 v4, s25, v40, v4
	v_cvt_f32_f16_sdwa v9, v77 dst_sel:DWORD dst_unused:UNUSED_PAD src0_sel:WORD_1
	v_cvt_f32_f16_e32 v8, v77
	v_mul_lo_u32 v4, s6, v4
	v_add_u32_e32 v4, s3, v4
	v_cmp_eq_u32_e32 vcc, 0, v16
	v_lshl_add_u32 v10, v4, 6, v7
	v_mov_b32_e32 v11, 0
	s_and_b64 s[0:1], vcc, s[0:1]
	v_lshl_add_u64 v[10:11], v[10:11], 2, s[16:17]
	v_pk_mul_f32 v[8:9], v[6:7], v[8:9] op_sel_hi:[0,1]
	global_store_dwordx2 v[10:11], v[8:9], off
	s_and_saveexec_b64 s[2:3], s[0:1]
	s_cbranch_execz .LBB24_17
; %bb.16:
	v_ashrrev_i32_e32 v5, 31, v4
	v_lshl_add_u64 v[8:9], v[4:5], 3, s[18:19]
	v_mov_b32_e32 v10, v0
	v_mov_b32_e32 v11, v2
	global_store_dwordx2 v[8:9], v[10:11], off
.LBB24_17:
	s_or_b64 exec, exec, s[2:3]
	s_andn2_b64 vcc, exec, s[4:5]
	v_mov_b32_e32 v0, 1.0
	s_cbranch_vccnz .LBB24_19
; %bb.18:
	v_div_scale_f32 v0, s[2:3], v3, v3, 1.0
	v_rcp_f32_e32 v2, v0
	v_div_scale_f32 v5, vcc, 1.0, v3, 1.0
	v_fma_f32 v6, -v0, v2, 1.0
	v_fmac_f32_e32 v2, v6, v2
	v_mul_f32_e32 v6, v5, v2
	v_fma_f32 v8, -v0, v6, v5
	v_fmac_f32_e32 v6, v8, v2
	v_fma_f32 v0, -v0, v6, v5
	v_div_fmas_f32 v0, v0, v2, v6
	v_div_fixup_f32 v0, v0, v3, 1.0
.LBB24_19:
	v_cvt_f32_f16_sdwa v9, v76 dst_sel:DWORD dst_unused:UNUSED_PAD src0_sel:WORD_1
	v_cvt_f32_f16_e32 v8, v76
	v_add_u32_e32 v4, s6, v4
	v_lshl_add_u32 v6, v4, 6, v7
	v_mov_b32_e32 v7, 0
	v_lshl_add_u64 v[6:7], v[6:7], 2, s[16:17]
	v_pk_mul_f32 v[8:9], v[0:1], v[8:9] op_sel_hi:[0,1]
	global_store_dwordx2 v[6:7], v[8:9], off
	s_and_b64 exec, exec, s[0:1]
	s_cbranch_execz .LBB24_21
; %bb.20:
	v_ashrrev_i32_e32 v5, 31, v4
	v_lshl_add_u64 v[4:5], v[4:5], 3, s[18:19]
	v_mov_b32_e32 v2, v1
	global_store_dwordx2 v[4:5], v[2:3], off
.LBB24_21:
	s_endpgm
	.section	.rodata,"a",@progbits
	.p2align	6, 0x0
	.amdhsa_kernel _ZL15flash_attn_tileILi64ELi64ELi4ELi4ELb0EEvPKcS1_S1_S1_S1_PKiPfP15HIP_vector_typeIfLj2EEffffjfiS5_IjLj3EEiiiiiiiiiiiliiliiiiil
		.amdhsa_group_segment_fixed_size 24576
		.amdhsa_private_segment_fixed_size 0
		.amdhsa_kernarg_size 464
		.amdhsa_user_sgpr_count 2
		.amdhsa_user_sgpr_dispatch_ptr 0
		.amdhsa_user_sgpr_queue_ptr 0
		.amdhsa_user_sgpr_kernarg_segment_ptr 1
		.amdhsa_user_sgpr_dispatch_id 0
		.amdhsa_user_sgpr_kernarg_preload_length 0
		.amdhsa_user_sgpr_kernarg_preload_offset 0
		.amdhsa_user_sgpr_private_segment_size 0
		.amdhsa_uses_dynamic_stack 0
		.amdhsa_enable_private_segment 0
		.amdhsa_system_sgpr_workgroup_id_x 1
		.amdhsa_system_sgpr_workgroup_id_y 1
		.amdhsa_system_sgpr_workgroup_id_z 1
		.amdhsa_system_sgpr_workgroup_info 0
		.amdhsa_system_vgpr_workitem_id 1
		.amdhsa_next_free_vgpr 102
		.amdhsa_next_free_sgpr 91
		.amdhsa_accum_offset 104
		.amdhsa_reserve_vcc 1
		.amdhsa_float_round_mode_32 0
		.amdhsa_float_round_mode_16_64 0
		.amdhsa_float_denorm_mode_32 3
		.amdhsa_float_denorm_mode_16_64 3
		.amdhsa_dx10_clamp 1
		.amdhsa_ieee_mode 1
		.amdhsa_fp16_overflow 0
		.amdhsa_tg_split 0
		.amdhsa_exception_fp_ieee_invalid_op 0
		.amdhsa_exception_fp_denorm_src 0
		.amdhsa_exception_fp_ieee_div_zero 0
		.amdhsa_exception_fp_ieee_overflow 0
		.amdhsa_exception_fp_ieee_underflow 0
		.amdhsa_exception_fp_ieee_inexact 0
		.amdhsa_exception_int_div_zero 0
	.end_amdhsa_kernel
	.section	.text._ZL15flash_attn_tileILi64ELi64ELi4ELi4ELb0EEvPKcS1_S1_S1_S1_PKiPfP15HIP_vector_typeIfLj2EEffffjfiS5_IjLj3EEiiiiiiiiiiiliiliiiiil,"axG",@progbits,_ZL15flash_attn_tileILi64ELi64ELi4ELi4ELb0EEvPKcS1_S1_S1_S1_PKiPfP15HIP_vector_typeIfLj2EEffffjfiS5_IjLj3EEiiiiiiiiiiiliiliiiiil,comdat
.Lfunc_end24:
	.size	_ZL15flash_attn_tileILi64ELi64ELi4ELi4ELb0EEvPKcS1_S1_S1_S1_PKiPfP15HIP_vector_typeIfLj2EEffffjfiS5_IjLj3EEiiiiiiiiiiiliiliiiiil, .Lfunc_end24-_ZL15flash_attn_tileILi64ELi64ELi4ELi4ELb0EEvPKcS1_S1_S1_S1_PKiPfP15HIP_vector_typeIfLj2EEffffjfiS5_IjLj3EEiiiiiiiiiiiliiliiiiil
                                        ; -- End function
	.set _ZL15flash_attn_tileILi64ELi64ELi4ELi4ELb0EEvPKcS1_S1_S1_S1_PKiPfP15HIP_vector_typeIfLj2EEffffjfiS5_IjLj3EEiiiiiiiiiiiliiliiiiil.num_vgpr, 102
	.set _ZL15flash_attn_tileILi64ELi64ELi4ELi4ELb0EEvPKcS1_S1_S1_S1_PKiPfP15HIP_vector_typeIfLj2EEffffjfiS5_IjLj3EEiiiiiiiiiiiliiliiiiil.num_agpr, 0
	.set _ZL15flash_attn_tileILi64ELi64ELi4ELi4ELb0EEvPKcS1_S1_S1_S1_PKiPfP15HIP_vector_typeIfLj2EEffffjfiS5_IjLj3EEiiiiiiiiiiiliiliiiiil.numbered_sgpr, 40
	.set _ZL15flash_attn_tileILi64ELi64ELi4ELi4ELb0EEvPKcS1_S1_S1_S1_PKiPfP15HIP_vector_typeIfLj2EEffffjfiS5_IjLj3EEiiiiiiiiiiiliiliiiiil.num_named_barrier, 0
	.set _ZL15flash_attn_tileILi64ELi64ELi4ELi4ELb0EEvPKcS1_S1_S1_S1_PKiPfP15HIP_vector_typeIfLj2EEffffjfiS5_IjLj3EEiiiiiiiiiiiliiliiiiil.private_seg_size, 0
	.set _ZL15flash_attn_tileILi64ELi64ELi4ELi4ELb0EEvPKcS1_S1_S1_S1_PKiPfP15HIP_vector_typeIfLj2EEffffjfiS5_IjLj3EEiiiiiiiiiiiliiliiiiil.uses_vcc, 1
	.set _ZL15flash_attn_tileILi64ELi64ELi4ELi4ELb0EEvPKcS1_S1_S1_S1_PKiPfP15HIP_vector_typeIfLj2EEffffjfiS5_IjLj3EEiiiiiiiiiiiliiliiiiil.uses_flat_scratch, 0
	.set _ZL15flash_attn_tileILi64ELi64ELi4ELi4ELb0EEvPKcS1_S1_S1_S1_PKiPfP15HIP_vector_typeIfLj2EEffffjfiS5_IjLj3EEiiiiiiiiiiiliiliiiiil.has_dyn_sized_stack, 0
	.set _ZL15flash_attn_tileILi64ELi64ELi4ELi4ELb0EEvPKcS1_S1_S1_S1_PKiPfP15HIP_vector_typeIfLj2EEffffjfiS5_IjLj3EEiiiiiiiiiiiliiliiiiil.has_recursion, 0
	.set _ZL15flash_attn_tileILi64ELi64ELi4ELi4ELb0EEvPKcS1_S1_S1_S1_PKiPfP15HIP_vector_typeIfLj2EEffffjfiS5_IjLj3EEiiiiiiiiiiiliiliiiiil.has_indirect_call, 0
	.section	.AMDGPU.csdata,"",@progbits
; Kernel info:
; codeLenInByte = 14944
; TotalNumSgprs: 46
; NumVgprs: 102
; NumAgprs: 0
; TotalNumVgprs: 102
; ScratchSize: 0
; MemoryBound: 0
; FloatMode: 240
; IeeeMode: 1
; LDSByteSize: 24576 bytes/workgroup (compile time only)
; SGPRBlocks: 12
; VGPRBlocks: 12
; NumSGPRsForWavesPerEU: 97
; NumVGPRsForWavesPerEU: 102
; AccumOffset: 104
; Occupancy: 4
; WaveLimiterHint : 1
; COMPUTE_PGM_RSRC2:SCRATCH_EN: 0
; COMPUTE_PGM_RSRC2:USER_SGPR: 2
; COMPUTE_PGM_RSRC2:TRAP_HANDLER: 0
; COMPUTE_PGM_RSRC2:TGID_X_EN: 1
; COMPUTE_PGM_RSRC2:TGID_Y_EN: 1
; COMPUTE_PGM_RSRC2:TGID_Z_EN: 1
; COMPUTE_PGM_RSRC2:TIDIG_COMP_CNT: 1
; COMPUTE_PGM_RSRC3_GFX90A:ACCUM_OFFSET: 25
; COMPUTE_PGM_RSRC3_GFX90A:TG_SPLIT: 0
	.section	.text._ZL33flash_attn_stream_k_fixup_uniformILi64ELi4ELi4EEvPfPK15HIP_vector_typeIfLj2EEiiiiiiS1_IjLj3EES5_S5_,"axG",@progbits,_ZL33flash_attn_stream_k_fixup_uniformILi64ELi4ELi4EEvPfPK15HIP_vector_typeIfLj2EEiiiiiiS1_IjLj3EES5_S5_,comdat
	.globl	_ZL33flash_attn_stream_k_fixup_uniformILi64ELi4ELi4EEvPfPK15HIP_vector_typeIfLj2EEiiiiiiS1_IjLj3EES5_S5_ ; -- Begin function _ZL33flash_attn_stream_k_fixup_uniformILi64ELi4ELi4EEvPfPK15HIP_vector_typeIfLj2EEiiiiiiS1_IjLj3EES5_S5_
	.p2align	8
	.type	_ZL33flash_attn_stream_k_fixup_uniformILi64ELi4ELi4EEvPfPK15HIP_vector_typeIfLj2EEiiiiiiS1_IjLj3EES5_S5_,@function
_ZL33flash_attn_stream_k_fixup_uniformILi64ELi4ELi4EEvPfPK15HIP_vector_typeIfLj2EEiiiiiiS1_IjLj3EES5_S5_: ; @_ZL33flash_attn_stream_k_fixup_uniformILi64ELi4ELi4EEvPfPK15HIP_vector_typeIfLj2EEiiiiiiS1_IjLj3EES5_S5_
; %bb.0:
	s_load_dwordx8 s[8:15], s[0:1], 0x1c
	s_load_dwordx2 s[6:7], s[0:1], 0x10
	s_load_dwordx4 s[20:23], s[0:1], 0x3c
	s_waitcnt lgkmcnt(0)
	s_mul_hi_u32 s5, s11, s2
	s_add_i32 s5, s2, s5
	s_lshr_b32 s5, s5, s12
	s_mul_i32 s11, s5, s13
	s_sub_i32 s11, s2, s11
	s_mul_hi_u32 s12, s11, s14
	s_add_i32 s12, s11, s12
	s_lshr_b32 s16, s12, s15
	s_mul_i32 s12, s16, s20
	s_sub_i32 s11, s11, s12
	;; [unrolled: 5-line block ×3, first 2 shown]
	s_lshl_b32 s11, s12, 2
	s_lshl_b32 s12, s17, 2
	s_add_i32 s12, s12, s3
	s_cmp_lt_i32 s12, s6
	s_cselect_b64 s[12:13], -1, 0
	s_add_i32 s14, s11, s4
	s_cmp_lt_i32 s14, s9
	s_cselect_b64 s[14:15], -1, 0
	s_and_b64 s[12:13], s[12:13], s[14:15]
	s_andn2_b64 vcc, exec, s[12:13]
	s_cbranch_vccnz .LBB25_6
; %bb.1:
	s_load_dwordx4 s[12:15], s[0:1], 0x0
	s_mul_i32 s0, s5, s6
	s_add_i32 s0, s0, s3
	s_mul_i32 s0, s0, s7
	s_mul_i32 s16, s16, s9
	s_add_i32 s0, s0, s4
	s_add_i32 s0, s0, s16
	s_mul_i32 s1, s7, s17
	s_add_i32 s0, s0, s11
	s_lshl_b32 s1, s1, 8
	s_lshl_b32 s0, s0, 6
	s_add_i32 s1, s1, s0
	v_or_b32_e32 v4, s1, v0
	s_waitcnt lgkmcnt(0)
	v_mov_b32_e32 v2, s12
	v_mov_b32_e32 v3, s13
	v_ashrrev_i32_e32 v5, 31, v4
	v_lshl_add_u64 v[2:3], v[4:5], 2, v[2:3]
	global_load_dword v5, v[2:3], off
	s_mul_i32 s5, s10, s2
	s_lshl_b32 s11, s3, 2
	s_add_i32 s9, s5, s10
	s_add_i32 s0, s11, s4
	s_lshl_b32 s1, s9, 4
	s_add_i32 s0, s0, s1
	s_add_i32 s0, s0, -16
	s_ashr_i32 s1, s0, 31
	s_lshl_b64 s[0:1], s[0:1], 3
	s_add_u32 s0, s14, s0
	s_addc_u32 s1, s15, s1
	s_load_dword s12, s[0:1], 0x4
	s_add_i32 s6, s9, -2
	s_cmp_lt_i32 s6, s5
	s_cbranch_scc1 .LBB25_4
; %bb.2:
	s_lshl_b32 s6, s8, 6
	s_ashr_i32 s7, s6, 31
	s_lshl_b64 s[6:7], s[6:7], 2
	s_add_u32 s6, s14, s6
	s_addc_u32 s7, s15, s7
	s_add_i32 s2, s2, 1
	s_load_dword s0, s[0:1], 0x0
	s_mul_i32 s1, s10, s2
	s_lshl_b32 s3, s3, 8
	s_lshl_b32 s10, s4, 6
	;; [unrolled: 1-line block ×3, first 2 shown]
	s_add_i32 s3, s10, s3
	s_lshl_b32 s1, s1, 4
	s_add_i32 s3, s3, s2
	s_add_i32 s1, s4, s1
	s_lshl_b32 s2, s8, 4
	s_add_i32 s1, s1, s2
	v_or_b32_e32 v0, s3, v0
	s_add_i32 s1, s1, s11
	s_add_i32 s9, s9, -1
	v_add_u32_e32 v0, 0xfffff800, v0
	s_sub_i32 s2, s1, 32
	s_waitcnt lgkmcnt(0)
	v_mov_b32_e32 v7, s0
	v_mov_b32_e32 v4, s12
	s_mov_b32 s4, 0x3fb8aa3b
	s_mov_b32 s8, 0xc2ce8ed0
	;; [unrolled: 1-line block ×3, first 2 shown]
	v_mov_b32_e32 v6, 0x7f800000
	s_mov_b32 s11, 0xc1a00000
.LBB25_3:                               ; =>This Inner Loop Header: Depth=1
	v_ashrrev_i32_e32 v1, 31, v0
	v_lshl_add_u64 v[8:9], v[0:1], 2, s[6:7]
	global_load_dword v9, v[8:9], off
	s_ashr_i32 s3, s2, 31
	s_lshl_b64 s[0:1], s[2:3], 3
	s_add_u32 s0, s14, s0
	s_addc_u32 s1, s15, s1
	s_load_dwordx2 s[0:1], s[0:1], 0x0
	v_max_f32_e32 v1, v7, v7
	s_add_i32 s9, s9, -1
	s_add_i32 s2, s2, -16
	v_add_u32_e32 v0, 0xfffffc00, v0
	s_waitcnt lgkmcnt(0)
	v_max_f32_e64 v10, s0, s0
	v_max_f32_e32 v1, v1, v10
	v_sub_f32_e32 v11, s0, v1
	v_sub_f32_e32 v10, v7, v1
	v_mul_f32_e32 v12, 0x3fb8aa3b, v11
	v_mov_b32_e32 v7, v1
	v_mul_f32_e32 v1, 0x3fb8aa3b, v10
	v_fma_f32 v15, v11, s4, -v12
	v_rndne_f32_e32 v16, v12
	v_fma_f32 v13, v10, s4, -v1
	v_rndne_f32_e32 v14, v1
	v_fmac_f32_e32 v15, 0x32a5705f, v11
	v_sub_f32_e32 v12, v12, v16
	v_fmac_f32_e32 v13, 0x32a5705f, v10
	v_sub_f32_e32 v1, v1, v14
	v_add_f32_e32 v12, v12, v15
	v_cvt_i32_f32_e32 v16, v16
	v_add_f32_e32 v1, v1, v13
	v_exp_f32_e32 v12, v12
	v_cvt_i32_f32_e32 v14, v14
	v_exp_f32_e32 v1, v1
	v_cmp_ngt_f32_e32 vcc, s8, v11
	v_ldexp_f32 v12, v12, v16
	v_mov_b32_e32 v8, s1
	v_ldexp_f32 v1, v1, v14
	v_cmp_ngt_f32_e64 s[0:1], s8, v10
	v_cndmask_b32_e32 v12, 0, v12, vcc
	v_cmp_nlt_f32_e32 vcc, s10, v11
	v_cndmask_b32_e64 v1, 0, v1, s[0:1]
	v_cmp_nlt_f32_e64 s[0:1], s10, v10
	v_cndmask_b32_e32 v12, v6, v12, vcc
	v_cmp_le_f32_e32 vcc, s11, v11
	v_cndmask_b32_e64 v1, v6, v1, s[0:1]
	v_cmp_le_f32_e64 s[0:1], s11, v10
	v_cndmask_b32_e32 v12, 0, v12, vcc
	s_cmp_le_i32 s9, s5
	v_cndmask_b32_e64 v10, 0, v1, s[0:1]
	s_waitcnt vmcnt(0)
	v_pk_mul_f32 v[8:9], v[8:9], v[12:13] op_sel_hi:[1,0]
	s_nop 0
	v_pk_fma_f32 v[4:5], v[4:5], v[10:11], v[8:9] op_sel_hi:[1,0,1]
	s_cbranch_scc0 .LBB25_3
	s_branch .LBB25_5
.LBB25_4:
	s_waitcnt lgkmcnt(0)
	v_mov_b32_e32 v4, s12
.LBB25_5:
	s_waitcnt vmcnt(0)
	v_div_scale_f32 v0, s[0:1], v4, v4, v5
	v_rcp_f32_e32 v1, v0
	v_div_scale_f32 v6, vcc, v5, v4, v5
	v_fma_f32 v7, -v0, v1, 1.0
	v_fmac_f32_e32 v1, v7, v1
	v_mul_f32_e32 v7, v6, v1
	v_fma_f32 v8, -v0, v7, v6
	v_fmac_f32_e32 v7, v8, v1
	v_fma_f32 v0, -v0, v7, v6
	v_div_fmas_f32 v0, v0, v1, v7
	v_div_fixup_f32 v0, v0, v4, v5
	global_store_dword v[2:3], v0, off
.LBB25_6:
	s_endpgm
	.section	.rodata,"a",@progbits
	.p2align	6, 0x0
	.amdhsa_kernel _ZL33flash_attn_stream_k_fixup_uniformILi64ELi4ELi4EEvPfPK15HIP_vector_typeIfLj2EEiiiiiiS1_IjLj3EES5_S5_
		.amdhsa_group_segment_fixed_size 0
		.amdhsa_private_segment_fixed_size 0
		.amdhsa_kernarg_size 76
		.amdhsa_user_sgpr_count 2
		.amdhsa_user_sgpr_dispatch_ptr 0
		.amdhsa_user_sgpr_queue_ptr 0
		.amdhsa_user_sgpr_kernarg_segment_ptr 1
		.amdhsa_user_sgpr_dispatch_id 0
		.amdhsa_user_sgpr_kernarg_preload_length 0
		.amdhsa_user_sgpr_kernarg_preload_offset 0
		.amdhsa_user_sgpr_private_segment_size 0
		.amdhsa_uses_dynamic_stack 0
		.amdhsa_enable_private_segment 0
		.amdhsa_system_sgpr_workgroup_id_x 1
		.amdhsa_system_sgpr_workgroup_id_y 1
		.amdhsa_system_sgpr_workgroup_id_z 1
		.amdhsa_system_sgpr_workgroup_info 0
		.amdhsa_system_vgpr_workitem_id 0
		.amdhsa_next_free_vgpr 17
		.amdhsa_next_free_sgpr 24
		.amdhsa_accum_offset 20
		.amdhsa_reserve_vcc 1
		.amdhsa_float_round_mode_32 0
		.amdhsa_float_round_mode_16_64 0
		.amdhsa_float_denorm_mode_32 3
		.amdhsa_float_denorm_mode_16_64 3
		.amdhsa_dx10_clamp 1
		.amdhsa_ieee_mode 1
		.amdhsa_fp16_overflow 0
		.amdhsa_tg_split 0
		.amdhsa_exception_fp_ieee_invalid_op 0
		.amdhsa_exception_fp_denorm_src 0
		.amdhsa_exception_fp_ieee_div_zero 0
		.amdhsa_exception_fp_ieee_overflow 0
		.amdhsa_exception_fp_ieee_underflow 0
		.amdhsa_exception_fp_ieee_inexact 0
		.amdhsa_exception_int_div_zero 0
	.end_amdhsa_kernel
	.section	.text._ZL33flash_attn_stream_k_fixup_uniformILi64ELi4ELi4EEvPfPK15HIP_vector_typeIfLj2EEiiiiiiS1_IjLj3EES5_S5_,"axG",@progbits,_ZL33flash_attn_stream_k_fixup_uniformILi64ELi4ELi4EEvPfPK15HIP_vector_typeIfLj2EEiiiiiiS1_IjLj3EES5_S5_,comdat
.Lfunc_end25:
	.size	_ZL33flash_attn_stream_k_fixup_uniformILi64ELi4ELi4EEvPfPK15HIP_vector_typeIfLj2EEiiiiiiS1_IjLj3EES5_S5_, .Lfunc_end25-_ZL33flash_attn_stream_k_fixup_uniformILi64ELi4ELi4EEvPfPK15HIP_vector_typeIfLj2EEiiiiiiS1_IjLj3EES5_S5_
                                        ; -- End function
	.set _ZL33flash_attn_stream_k_fixup_uniformILi64ELi4ELi4EEvPfPK15HIP_vector_typeIfLj2EEiiiiiiS1_IjLj3EES5_S5_.num_vgpr, 17
	.set _ZL33flash_attn_stream_k_fixup_uniformILi64ELi4ELi4EEvPfPK15HIP_vector_typeIfLj2EEiiiiiiS1_IjLj3EES5_S5_.num_agpr, 0
	.set _ZL33flash_attn_stream_k_fixup_uniformILi64ELi4ELi4EEvPfPK15HIP_vector_typeIfLj2EEiiiiiiS1_IjLj3EES5_S5_.numbered_sgpr, 24
	.set _ZL33flash_attn_stream_k_fixup_uniformILi64ELi4ELi4EEvPfPK15HIP_vector_typeIfLj2EEiiiiiiS1_IjLj3EES5_S5_.num_named_barrier, 0
	.set _ZL33flash_attn_stream_k_fixup_uniformILi64ELi4ELi4EEvPfPK15HIP_vector_typeIfLj2EEiiiiiiS1_IjLj3EES5_S5_.private_seg_size, 0
	.set _ZL33flash_attn_stream_k_fixup_uniformILi64ELi4ELi4EEvPfPK15HIP_vector_typeIfLj2EEiiiiiiS1_IjLj3EES5_S5_.uses_vcc, 1
	.set _ZL33flash_attn_stream_k_fixup_uniformILi64ELi4ELi4EEvPfPK15HIP_vector_typeIfLj2EEiiiiiiS1_IjLj3EES5_S5_.uses_flat_scratch, 0
	.set _ZL33flash_attn_stream_k_fixup_uniformILi64ELi4ELi4EEvPfPK15HIP_vector_typeIfLj2EEiiiiiiS1_IjLj3EES5_S5_.has_dyn_sized_stack, 0
	.set _ZL33flash_attn_stream_k_fixup_uniformILi64ELi4ELi4EEvPfPK15HIP_vector_typeIfLj2EEiiiiiiS1_IjLj3EES5_S5_.has_recursion, 0
	.set _ZL33flash_attn_stream_k_fixup_uniformILi64ELi4ELi4EEvPfPK15HIP_vector_typeIfLj2EEiiiiiiS1_IjLj3EES5_S5_.has_indirect_call, 0
	.section	.AMDGPU.csdata,"",@progbits
; Kernel info:
; codeLenInByte = 836
; TotalNumSgprs: 30
; NumVgprs: 17
; NumAgprs: 0
; TotalNumVgprs: 17
; ScratchSize: 0
; MemoryBound: 0
; FloatMode: 240
; IeeeMode: 1
; LDSByteSize: 0 bytes/workgroup (compile time only)
; SGPRBlocks: 3
; VGPRBlocks: 2
; NumSGPRsForWavesPerEU: 30
; NumVGPRsForWavesPerEU: 17
; AccumOffset: 20
; Occupancy: 8
; WaveLimiterHint : 0
; COMPUTE_PGM_RSRC2:SCRATCH_EN: 0
; COMPUTE_PGM_RSRC2:USER_SGPR: 2
; COMPUTE_PGM_RSRC2:TRAP_HANDLER: 0
; COMPUTE_PGM_RSRC2:TGID_X_EN: 1
; COMPUTE_PGM_RSRC2:TGID_Y_EN: 1
; COMPUTE_PGM_RSRC2:TGID_Z_EN: 1
; COMPUTE_PGM_RSRC2:TIDIG_COMP_CNT: 0
; COMPUTE_PGM_RSRC3_GFX90A:ACCUM_OFFSET: 4
; COMPUTE_PGM_RSRC3_GFX90A:TG_SPLIT: 0
	.section	.text._ZL33flash_attn_stream_k_fixup_generalILi64ELi4ELi4EEvPfPK15HIP_vector_typeIfLj2EEiiiiS1_IjLj3EES5_S5_S5_,"axG",@progbits,_ZL33flash_attn_stream_k_fixup_generalILi64ELi4ELi4EEvPfPK15HIP_vector_typeIfLj2EEiiiiS1_IjLj3EES5_S5_S5_,comdat
	.globl	_ZL33flash_attn_stream_k_fixup_generalILi64ELi4ELi4EEvPfPK15HIP_vector_typeIfLj2EEiiiiS1_IjLj3EES5_S5_S5_ ; -- Begin function _ZL33flash_attn_stream_k_fixup_generalILi64ELi4ELi4EEvPfPK15HIP_vector_typeIfLj2EEiiiiS1_IjLj3EES5_S5_S5_
	.p2align	8
	.type	_ZL33flash_attn_stream_k_fixup_generalILi64ELi4ELi4EEvPfPK15HIP_vector_typeIfLj2EEiiiiS1_IjLj3EES5_S5_S5_,@function
_ZL33flash_attn_stream_k_fixup_generalILi64ELi4ELi4EEvPfPK15HIP_vector_typeIfLj2EEiiiiS1_IjLj3EES5_S5_S5_: ; @_ZL33flash_attn_stream_k_fixup_generalILi64ELi4ELi4EEvPfPK15HIP_vector_typeIfLj2EEiiiiS1_IjLj3EES5_S5_S5_
; %bb.0:
	s_load_dwordx4 s[8:11], s[0:1], 0x10
	s_load_dword s22, s[0:1], 0x50
	s_mov_b32 s12, 0
	s_waitcnt lgkmcnt(0)
	s_mul_hi_i32 s13, s11, s2
	s_cmp_lg_u64 s[12:13], 0
	s_mul_i32 s5, s11, s2
	s_cbranch_scc0 .LBB26_20
; %bb.1:
	s_add_u32 s6, s22, 0
	s_addc_u32 s7, 0, 0
	s_xor_b64 s[6:7], s[6:7], 0
	v_cvt_f32_u32_e32 v1, s6
	v_cvt_f32_u32_e32 v2, s7
	s_sub_u32 s12, 0, s6
	s_subb_u32 s18, 0, s7
	v_fmamk_f32 v1, v2, 0x4f800000, v1
	v_rcp_f32_e32 v1, v1
	s_nop 0
	v_mul_f32_e32 v1, 0x5f7ffffc, v1
	v_mul_f32_e32 v2, 0x2f800000, v1
	v_trunc_f32_e32 v2, v2
	v_fmamk_f32 v1, v2, 0xcf800000, v1
	v_cvt_u32_f32_e32 v2, v2
	v_cvt_u32_f32_e32 v1, v1
	v_readfirstlane_b32 s19, v2
	v_readfirstlane_b32 s14, v1
	s_mul_i32 s15, s12, s19
	s_mul_hi_u32 s21, s12, s14
	s_mul_i32 s20, s18, s14
	s_add_i32 s15, s21, s15
	s_add_i32 s15, s15, s20
	s_mul_i32 s23, s12, s14
	s_mul_i32 s21, s14, s15
	s_mul_hi_u32 s24, s14, s23
	s_mul_hi_u32 s20, s14, s15
	s_add_u32 s21, s24, s21
	s_addc_u32 s20, 0, s20
	s_mul_hi_u32 s25, s19, s23
	s_mul_i32 s23, s19, s23
	s_add_u32 s21, s21, s23
	s_mul_hi_u32 s24, s19, s15
	s_addc_u32 s20, s20, s25
	s_addc_u32 s21, s24, 0
	s_mul_i32 s15, s19, s15
	s_add_u32 s15, s20, s15
	s_addc_u32 s20, 0, s21
	s_add_u32 s21, s14, s15
	s_cselect_b64 s[14:15], -1, 0
	s_cmp_lg_u64 s[14:15], 0
	s_addc_u32 s19, s19, s20
	s_mul_i32 s14, s12, s19
	s_mul_hi_u32 s15, s12, s21
	s_add_i32 s14, s15, s14
	s_mul_i32 s18, s18, s21
	s_add_i32 s14, s14, s18
	s_mul_i32 s12, s12, s21
	s_mul_hi_u32 s18, s19, s12
	s_mul_i32 s20, s19, s12
	s_mul_i32 s24, s21, s14
	s_mul_hi_u32 s12, s21, s12
	s_mul_hi_u32 s23, s21, s14
	s_add_u32 s12, s12, s24
	s_addc_u32 s23, 0, s23
	s_add_u32 s12, s12, s20
	s_mul_hi_u32 s15, s19, s14
	s_addc_u32 s12, s23, s18
	s_addc_u32 s15, s15, 0
	s_mul_i32 s14, s19, s14
	s_add_u32 s12, s12, s14
	s_addc_u32 s18, 0, s15
	s_add_u32 s20, s21, s12
	s_cselect_b64 s[14:15], -1, 0
	s_cmp_lg_u64 s[14:15], 0
	s_addc_u32 s18, s19, s18
	s_ashr_i32 s14, s13, 31
	s_add_u32 s12, s5, s14
	s_mov_b32 s15, s14
	s_addc_u32 s13, s13, s14
	s_xor_b64 s[12:13], s[12:13], s[14:15]
	s_mul_i32 s21, s12, s18
	s_mul_hi_u32 s23, s12, s20
	s_mul_hi_u32 s19, s12, s18
	s_add_u32 s21, s23, s21
	s_addc_u32 s19, 0, s19
	s_mul_hi_u32 s24, s13, s20
	s_mul_i32 s20, s13, s20
	s_add_u32 s20, s21, s20
	s_mul_hi_u32 s23, s13, s18
	s_addc_u32 s19, s19, s24
	s_addc_u32 s20, s23, 0
	s_mul_i32 s18, s13, s18
	s_add_u32 s23, s19, s18
	s_addc_u32 s24, 0, s20
	s_mul_i32 s18, s6, s24
	s_mul_hi_u32 s19, s6, s23
	s_add_i32 s18, s19, s18
	s_mul_i32 s19, s7, s23
	s_add_i32 s25, s18, s19
	s_sub_i32 s20, s13, s25
	s_mul_i32 s18, s6, s23
	s_sub_u32 s12, s12, s18
	s_cselect_b64 s[18:19], -1, 0
	s_cmp_lg_u64 s[18:19], 0
	s_subb_u32 s26, s20, s7
	s_sub_u32 s27, s12, s6
	s_cselect_b64 s[20:21], -1, 0
	s_cmp_lg_u64 s[20:21], 0
	s_subb_u32 s20, s26, 0
	s_cmp_ge_u32 s20, s7
	s_cselect_b32 s21, -1, 0
	s_cmp_ge_u32 s27, s6
	s_cselect_b32 s26, -1, 0
	s_cmp_eq_u32 s20, s7
	s_cselect_b32 s20, s26, s21
	s_add_u32 s21, s23, 1
	s_addc_u32 s26, s24, 0
	s_add_u32 s27, s23, 2
	s_addc_u32 s28, s24, 0
	s_cmp_lg_u32 s20, 0
	s_cselect_b32 s20, s27, s21
	s_cselect_b32 s21, s28, s26
	s_cmp_lg_u64 s[18:19], 0
	s_subb_u32 s13, s13, s25
	s_cmp_ge_u32 s13, s7
	s_cselect_b32 s18, -1, 0
	s_cmp_ge_u32 s12, s6
	s_cselect_b32 s6, -1, 0
	s_cmp_eq_u32 s13, s7
	s_cselect_b32 s6, s6, s18
	s_cmp_lg_u32 s6, 0
	s_cselect_b32 s7, s21, s24
	s_cselect_b32 s6, s20, s23
	s_xor_b64 s[12:13], s[14:15], 0
	s_xor_b64 s[6:7], s[6:7], s[12:13]
	s_sub_u32 s6, s6, s12
	s_load_dwordx4 s[12:15], s[0:1], 0x44
	s_cbranch_execnz .LBB26_3
.LBB26_2:
	v_cvt_f32_u32_e32 v1, s22
	s_sub_i32 s6, 0, s22
	v_rcp_iflag_f32_e32 v1, v1
	s_nop 0
	v_mul_f32_e32 v1, 0x4f7ffffe, v1
	v_cvt_u32_f32_e32 v1, v1
	s_nop 0
	v_readfirstlane_b32 s7, v1
	s_mul_i32 s6, s6, s7
	s_mul_hi_u32 s6, s7, s6
	s_add_i32 s7, s7, s6
	s_mul_hi_u32 s6, s5, s7
	s_waitcnt lgkmcnt(0)
	s_mul_i32 s15, s6, s22
	s_sub_i32 s5, s5, s15
	s_add_i32 s7, s6, 1
	s_sub_i32 s15, s5, s22
	s_cmp_ge_u32 s5, s22
	s_cselect_b32 s6, s7, s6
	s_cselect_b32 s5, s15, s5
	s_add_i32 s7, s6, 1
	s_cmp_ge_u32 s5, s22
	s_cselect_b32 s6, s7, s6
.LBB26_3:
	s_add_i32 s5, s2, 1
	s_mul_hi_i32 s21, s11, s5
	s_mov_b32 s20, 0
	s_cmp_lg_u64 s[20:21], 0
	s_mul_i32 s5, s11, s5
	s_cbranch_scc0 .LBB26_21
; %bb.4:
	s_add_u32 s16, s22, 0
	s_addc_u32 s17, 0, 0
	s_xor_b64 s[18:19], s[16:17], 0
	v_cvt_f32_u32_e32 v1, s18
	v_cvt_f32_u32_e32 v2, s19
	s_sub_u32 s7, 0, s18
	s_waitcnt lgkmcnt(0)
	s_subb_u32 s15, 0, s19
	v_fmamk_f32 v1, v2, 0x4f800000, v1
	v_rcp_f32_e32 v1, v1
	s_nop 0
	v_mul_f32_e32 v1, 0x5f7ffffc, v1
	v_mul_f32_e32 v2, 0x2f800000, v1
	v_trunc_f32_e32 v2, v2
	v_fmamk_f32 v1, v2, 0xcf800000, v1
	v_cvt_u32_f32_e32 v2, v2
	v_cvt_u32_f32_e32 v1, v1
	v_readfirstlane_b32 s20, v2
	v_readfirstlane_b32 s23, v1
	s_mul_i32 s24, s7, s20
	s_mul_hi_u32 s26, s7, s23
	s_mul_i32 s25, s15, s23
	s_add_i32 s24, s26, s24
	s_add_i32 s24, s24, s25
	s_mul_i32 s27, s7, s23
	s_mul_i32 s26, s23, s24
	s_mul_hi_u32 s28, s23, s27
	s_mul_hi_u32 s25, s23, s24
	s_add_u32 s26, s28, s26
	s_addc_u32 s25, 0, s25
	s_mul_hi_u32 s29, s20, s27
	s_mul_i32 s27, s20, s27
	s_add_u32 s26, s26, s27
	s_mul_hi_u32 s28, s20, s24
	s_addc_u32 s25, s25, s29
	s_addc_u32 s26, s28, 0
	s_mul_i32 s24, s20, s24
	s_add_u32 s24, s25, s24
	s_addc_u32 s26, 0, s26
	s_add_u32 s23, s23, s24
	s_cselect_b64 s[24:25], -1, 0
	s_cmp_lg_u64 s[24:25], 0
	s_addc_u32 s20, s20, s26
	s_mul_i32 s24, s7, s20
	s_mul_hi_u32 s25, s7, s23
	s_add_i32 s24, s25, s24
	s_mul_i32 s15, s15, s23
	s_add_i32 s24, s24, s15
	s_mul_i32 s7, s7, s23
	s_mul_hi_u32 s25, s20, s7
	s_mul_i32 s26, s20, s7
	s_mul_i32 s28, s23, s24
	s_mul_hi_u32 s7, s23, s7
	s_mul_hi_u32 s27, s23, s24
	s_add_u32 s7, s7, s28
	s_addc_u32 s27, 0, s27
	s_add_u32 s7, s7, s26
	s_mul_hi_u32 s15, s20, s24
	s_addc_u32 s7, s27, s25
	s_addc_u32 s15, s15, 0
	s_mul_i32 s24, s20, s24
	s_add_u32 s7, s7, s24
	s_addc_u32 s15, 0, s15
	s_add_u32 s7, s23, s7
	s_cselect_b64 s[24:25], -1, 0
	s_cmp_lg_u64 s[24:25], 0
	s_addc_u32 s15, s20, s15
	s_ashr_i32 s24, s21, 31
	s_add_u32 s20, s5, s24
	s_mov_b32 s25, s24
	s_addc_u32 s21, s21, s24
	s_xor_b64 s[20:21], s[20:21], s[24:25]
	s_mul_i32 s26, s20, s15
	s_mul_hi_u32 s27, s20, s7
	s_mul_hi_u32 s23, s20, s15
	s_add_u32 s26, s27, s26
	s_addc_u32 s23, 0, s23
	s_mul_hi_u32 s28, s21, s7
	s_mul_i32 s7, s21, s7
	s_add_u32 s7, s26, s7
	s_mul_hi_u32 s27, s21, s15
	s_addc_u32 s7, s23, s28
	s_addc_u32 s23, s27, 0
	s_mul_i32 s15, s21, s15
	s_add_u32 s7, s7, s15
	s_addc_u32 s15, 0, s23
	s_mul_i32 s23, s18, s15
	s_mul_hi_u32 s26, s18, s7
	s_add_i32 s23, s26, s23
	s_mul_i32 s26, s19, s7
	s_add_i32 s23, s23, s26
	s_sub_i32 s28, s21, s23
	s_mul_i32 s26, s18, s7
	s_sub_u32 s20, s20, s26
	s_cselect_b64 s[26:27], -1, 0
	s_cmp_lg_u64 s[26:27], 0
	s_subb_u32 s30, s28, s19
	s_sub_u32 s31, s20, s18
	s_cselect_b64 s[28:29], -1, 0
	s_cmp_lg_u64 s[28:29], 0
	s_subb_u32 s28, s30, 0
	s_cmp_ge_u32 s28, s19
	s_cselect_b32 s29, -1, 0
	s_cmp_ge_u32 s31, s18
	s_cselect_b32 s30, -1, 0
	s_cmp_eq_u32 s28, s19
	s_cselect_b32 s28, s30, s29
	s_add_u32 s29, s7, 1
	s_addc_u32 s30, s15, 0
	s_add_u32 s31, s7, 2
	s_addc_u32 s33, s15, 0
	s_cmp_lg_u32 s28, 0
	s_cselect_b32 s28, s31, s29
	s_cselect_b32 s29, s33, s30
	s_cmp_lg_u64 s[26:27], 0
	s_subb_u32 s21, s21, s23
	s_cmp_ge_u32 s21, s19
	s_cselect_b32 s23, -1, 0
	s_cmp_ge_u32 s20, s18
	s_cselect_b32 s18, -1, 0
	s_cmp_eq_u32 s21, s19
	s_cselect_b32 s18, s18, s23
	s_cmp_lg_u32 s18, 0
	s_cselect_b32 s19, s29, s15
	s_cselect_b32 s18, s28, s7
	s_xor_b64 s[20:21], s[24:25], 0
	s_xor_b64 s[18:19], s[18:19], s[20:21]
	s_sub_u32 s18, s18, s20
	s_cbranch_execnz .LBB26_6
.LBB26_5:
	v_cvt_f32_u32_e32 v1, s22
	s_sub_i32 s7, 0, s22
	v_rcp_iflag_f32_e32 v1, v1
	s_nop 0
	v_mul_f32_e32 v1, 0x4f7ffffe, v1
	v_cvt_u32_f32_e32 v1, v1
	s_waitcnt lgkmcnt(0)
	v_readfirstlane_b32 s15, v1
	s_mul_i32 s7, s7, s15
	s_mul_hi_u32 s7, s15, s7
	s_add_i32 s15, s15, s7
	s_mul_hi_u32 s7, s5, s15
	s_mul_i32 s16, s7, s22
	s_sub_i32 s5, s5, s16
	s_add_i32 s15, s7, 1
	s_sub_i32 s16, s5, s22
	s_cmp_ge_u32 s5, s22
	s_cselect_b32 s7, s15, s7
	s_cselect_b32 s5, s16, s5
	s_add_i32 s15, s7, 1
	s_cmp_ge_u32 s5, s22
	s_cselect_b32 s18, s15, s7
.LBB26_6:
	s_cmp_eq_u32 s6, s18
	s_waitcnt lgkmcnt(0)
	s_mul_hi_u32 s5, s6, s12
	s_cselect_b64 s[16:17], -1, 0
	s_add_i32 s5, s5, s6
	s_lshr_b32 s7, s5, s13
	s_mul_i32 s5, s7, s14
	s_cmp_eq_u32 s5, s6
	s_mul_hi_u32 s5, s18, s12
	s_cselect_b64 s[20:21], -1, 0
	s_add_i32 s5, s5, s18
	s_lshr_b32 s5, s5, s13
	s_cmp_eq_u32 s7, s5
	s_mul_i32 s5, s5, s14
	s_cselect_b64 s[24:25], -1, 0
	s_cmp_lg_u32 s5, s18
	s_cselect_b64 s[18:19], -1, 0
	s_and_b64 s[18:19], s[24:25], s[18:19]
	s_or_b64 s[16:17], s[16:17], s[20:21]
	s_or_b64 s[16:17], s[16:17], s[18:19]
	s_and_b64 vcc, exec, s[16:17]
	s_cbranch_vccnz .LBB26_23
; %bb.7:
	s_load_dwordx8 s[24:31], s[0:1], 0x20
	s_load_dword s15, s[0:1], 0x40
	s_waitcnt lgkmcnt(0)
	s_mul_hi_u32 s5, s6, s24
	s_add_i32 s5, s5, s6
	s_lshr_b32 s5, s5, s25
	s_mul_i32 s16, s5, s26
	s_sub_i32 s16, s6, s16
	s_mul_hi_u32 s17, s16, s27
	s_add_i32 s17, s16, s17
	s_lshr_b32 s20, s17, s28
	s_mul_i32 s17, s20, s29
	s_sub_i32 s16, s16, s17
	;; [unrolled: 5-line block ×3, first 2 shown]
	s_mul_hi_u32 s16, s15, s12
	s_add_i32 s15, s15, s16
	s_lshr_b32 s23, s15, s13
	s_lshl_b32 s15, s23, 2
	s_lshl_b32 s21, s17, 2
	s_add_i32 s15, s15, s3
	s_cmp_lt_i32 s15, s8
	s_cselect_b64 s[16:17], -1, 0
	s_add_i32 s15, s21, s4
	s_cmp_lt_i32 s15, s10
	s_cselect_b64 s[18:19], -1, 0
	s_and_b64 s[16:17], s[16:17], s[18:19]
	s_andn2_b64 vcc, exec, s[16:17]
	s_cbranch_vccnz .LBB26_23
; %bb.8:
	s_load_dwordx4 s[16:19], s[0:1], 0x0
	s_mov_b32 s0, 0
	s_lshl_b32 s15, s3, 2
	s_lshl_b32 s24, s22, 6
	s_mov_b32 s25, s0
	s_add_i32 s15, s15, s4
	s_waitcnt lgkmcnt(0)
	v_mov_b32_e32 v2, s16
	v_mov_b32_e32 v3, s17
	s_lshl_b64 s[16:17], s[24:25], 2
	s_add_u32 s16, s18, s16
	s_mul_i32 s1, s5, s8
	s_addc_u32 s17, s19, s17
	s_add_i32 s1, s1, s3
	s_mul_i32 s1, s1, s9
	s_mul_i32 s20, s20, s10
	s_add_i32 s1, s1, s4
	s_add_i32 s1, s1, s20
	s_mul_i32 s5, s9, s23
	s_add_i32 s1, s1, s21
	s_lshl_b32 s5, s5, 8
	s_lshl_b32 s1, s1, 6
	s_add_i32 s5, s5, s1
	v_or_b32_e32 v4, s5, v0
	v_ashrrev_i32_e32 v5, 31, v4
	v_lshl_add_u64 v[2:3], v[4:5], 2, v[2:3]
	global_load_dword v1, v[2:3], off
	v_cvt_f32_u32_e32 v4, s22
	s_lshl_b32 s1, s2, 4
	s_add_i32 s4, s15, s1
	s_ashr_i32 s5, s4, 31
	s_lshl_b64 s[4:5], s[4:5], 3
	v_rcp_iflag_f32_e32 v4, v4
	s_add_u32 s4, s18, s4
	s_addc_u32 s5, s19, s5
	s_load_dwordx2 s[4:5], s[4:5], 0x0
	v_mul_f32_e32 v4, 0x4f7ffffe, v4
	v_cvt_u32_f32_e32 v7, v4
	s_add_i32 s24, s2, -1
	v_lshl_or_b32 v6, s15, 6, v0
	s_waitcnt lgkmcnt(0)
	v_mov_b32_e32 v0, s5
	v_mov_b32_e32 v9, s4
	s_mov_b32 s10, 0x3fb8aa3b
	s_mov_b32 s20, 0xc2ce8ed0
	;; [unrolled: 1-line block ×4, first 2 shown]
	v_mov_b32_e32 v8, 0x7f800000
	s_mul_hi_i32 s1, s24, s11
	s_cmp_lg_u64 s[0:1], 0
	s_mul_i32 s8, s24, s11
	s_cbranch_scc0 .LBB26_19
.LBB26_9:
	s_add_u32 s2, s22, 0
	s_addc_u32 s3, 0, 0
	s_xor_b64 s[2:3], s[2:3], 0
	v_cvt_f32_u32_e32 v4, s2
	v_cvt_f32_u32_e32 v5, s3
	s_sub_u32 s9, 0, s2
	s_subb_u32 s25, 0, s3
	v_fmac_f32_e32 v4, 0x4f800000, v5
	v_rcp_f32_e32 v4, v4
	s_nop 0
	v_mul_f32_e32 v4, 0x5f7ffffc, v4
	v_mul_f32_e32 v5, 0x2f800000, v4
	v_trunc_f32_e32 v5, v5
	v_fmac_f32_e32 v4, 0xcf800000, v5
	v_cvt_u32_f32_e32 v5, v5
	v_cvt_u32_f32_e32 v4, v4
	v_readfirstlane_b32 s26, v5
	v_readfirstlane_b32 s4, v4
	s_mul_i32 s5, s9, s26
	s_mul_hi_u32 s28, s9, s4
	s_mul_i32 s27, s25, s4
	s_add_i32 s5, s28, s5
	s_mul_i32 s29, s9, s4
	s_add_i32 s5, s5, s27
	s_mul_i32 s28, s4, s5
	s_mul_hi_u32 s30, s4, s29
	s_mul_hi_u32 s27, s4, s5
	s_add_u32 s28, s30, s28
	s_addc_u32 s27, 0, s27
	s_mul_hi_u32 s31, s26, s29
	s_mul_i32 s29, s26, s29
	s_add_u32 s28, s28, s29
	s_mul_hi_u32 s30, s26, s5
	s_addc_u32 s27, s27, s31
	s_addc_u32 s28, s30, 0
	s_mul_i32 s5, s26, s5
	s_add_u32 s5, s27, s5
	s_addc_u32 s27, 0, s28
	s_add_u32 s28, s4, s5
	s_cselect_b64 s[4:5], -1, 0
	s_cmp_lg_u64 s[4:5], 0
	s_addc_u32 s26, s26, s27
	s_mul_i32 s4, s9, s26
	s_mul_hi_u32 s5, s9, s28
	s_add_i32 s4, s5, s4
	s_mul_i32 s25, s25, s28
	s_add_i32 s4, s4, s25
	s_mul_i32 s9, s9, s28
	s_mul_hi_u32 s25, s26, s9
	s_mul_i32 s27, s26, s9
	s_mul_i32 s30, s28, s4
	s_mul_hi_u32 s9, s28, s9
	s_mul_hi_u32 s29, s28, s4
	s_add_u32 s9, s9, s30
	s_addc_u32 s29, 0, s29
	s_add_u32 s9, s9, s27
	s_mul_hi_u32 s5, s26, s4
	s_addc_u32 s9, s29, s25
	s_addc_u32 s5, s5, 0
	s_mul_i32 s4, s26, s4
	s_add_u32 s4, s9, s4
	s_addc_u32 s9, 0, s5
	s_add_u32 s25, s28, s4
	s_cselect_b64 s[4:5], -1, 0
	s_cmp_lg_u64 s[4:5], 0
	s_addc_u32 s9, s26, s9
	s_ashr_i32 s4, s1, 31
	s_add_u32 s26, s8, s4
	s_mov_b32 s5, s4
	s_addc_u32 s27, s1, s4
	s_xor_b64 s[26:27], s[26:27], s[4:5]
	s_mul_i32 s28, s26, s9
	s_mul_hi_u32 s29, s26, s25
	s_mul_hi_u32 s1, s26, s9
	s_add_u32 s28, s29, s28
	s_addc_u32 s1, 0, s1
	s_mul_hi_u32 s30, s27, s25
	s_mul_i32 s25, s27, s25
	s_add_u32 s25, s28, s25
	s_mul_hi_u32 s29, s27, s9
	s_addc_u32 s1, s1, s30
	s_addc_u32 s25, s29, 0
	s_mul_i32 s9, s27, s9
	s_add_u32 s1, s1, s9
	s_addc_u32 s9, 0, s25
	s_mul_i32 s25, s2, s9
	s_mul_hi_u32 s28, s2, s1
	s_add_i32 s25, s28, s25
	s_mul_i32 s28, s3, s1
	s_add_i32 s25, s25, s28
	s_sub_i32 s30, s27, s25
	s_mul_i32 s28, s2, s1
	s_sub_u32 s26, s26, s28
	s_cselect_b64 s[28:29], -1, 0
	s_cmp_lg_u64 s[28:29], 0
	s_subb_u32 s33, s30, s3
	s_sub_u32 s34, s26, s2
	s_cselect_b64 s[30:31], -1, 0
	s_cmp_lg_u64 s[30:31], 0
	s_subb_u32 s30, s33, 0
	s_cmp_ge_u32 s30, s3
	s_cselect_b32 s31, -1, 0
	s_cmp_ge_u32 s34, s2
	s_cselect_b32 s33, -1, 0
	s_cmp_eq_u32 s30, s3
	s_cselect_b32 s30, s33, s31
	s_add_u32 s31, s1, 1
	s_addc_u32 s33, s9, 0
	s_add_u32 s34, s1, 2
	s_addc_u32 s35, s9, 0
	s_cmp_lg_u32 s30, 0
	s_cselect_b32 s30, s34, s31
	s_cselect_b32 s31, s35, s33
	s_cmp_lg_u64 s[28:29], 0
	s_subb_u32 s25, s27, s25
	s_cmp_ge_u32 s25, s3
	s_cselect_b32 s27, -1, 0
	s_cmp_ge_u32 s26, s2
	s_cselect_b32 s2, -1, 0
	s_cmp_eq_u32 s25, s3
	s_cselect_b32 s2, s2, s27
	s_cmp_lg_u32 s2, 0
	s_cselect_b32 s3, s31, s9
	s_cselect_b32 s2, s30, s1
	s_xor_b64 s[4:5], s[4:5], 0
	s_xor_b64 s[2:3], s[2:3], s[4:5]
	s_sub_u32 s4, s2, s4
	s_cbranch_execnz .LBB26_11
.LBB26_10:
	s_sub_i32 s1, 0, s22
	v_readfirstlane_b32 s2, v7
	s_mul_i32 s1, s1, s2
	s_mul_hi_u32 s1, s2, s1
	s_add_i32 s2, s2, s1
	s_mul_hi_u32 s1, s8, s2
	s_mul_i32 s3, s1, s22
	s_sub_i32 s3, s8, s3
	s_add_i32 s2, s1, 1
	s_sub_i32 s4, s3, s22
	s_cmp_ge_u32 s3, s22
	s_cselect_b32 s1, s2, s1
	s_cselect_b32 s3, s4, s3
	s_add_i32 s2, s1, 1
	s_cmp_ge_u32 s3, s22
	s_cselect_b32 s4, s2, s1
.LBB26_11:
	s_cmp_lg_u32 s6, s4
	s_cbranch_scc0 .LBB26_15
; %bb.12:
	s_add_i32 s1, s24, s22
	s_lshl_b32 s1, s1, 4
	s_add_i32 s2, s1, s15
	s_mov_b32 s3, s0
	s_lshl_b64 s[2:3], s[2:3], 3
	s_add_u32 s8, s18, s2
	s_mul_hi_u32 s1, s4, s12
	s_addc_u32 s9, s19, s3
	s_add_i32 s1, s1, s4
	s_lshr_b32 s1, s1, s13
	s_mul_i32 s2, s1, s14
	s_cmp_eq_u32 s2, s4
	s_cselect_b64 s[2:3], -1, 0
	s_cmp_lt_u32 s1, s7
	s_cselect_b64 s[26:27], -1, 0
	s_or_b64 s[26:27], s[26:27], s[2:3]
	s_mov_b64 s[2:3], -1
	s_and_b64 vcc, exec, s[26:27]
	s_mov_b32 s1, s24
	s_mov_b32 s25, s6
	s_cbranch_vccnz .LBB26_14
; %bb.13:
	s_add_i32 s1, s24, -1
	s_mov_b64 s[2:3], 0
	s_mov_b32 s25, s4
.LBB26_14:
	v_lshl_add_u32 v4, s24, 10, v6
	v_ashrrev_i32_e32 v5, 31, v4
	v_lshl_add_u64 v[4:5], v[4:5], 2, s[16:17]
	global_load_dword v5, v[4:5], off
	s_load_dwordx2 s[4:5], s[8:9], 0x0
	v_max_f32_e32 v4, v9, v9
	s_waitcnt lgkmcnt(0)
	v_max_f32_e64 v10, s4, s4
	v_max_f32_e32 v10, v4, v10
	v_sub_f32_e32 v11, v9, v10
	v_sub_f32_e32 v13, s4, v10
	v_mul_f32_e32 v4, 0x3fb8aa3b, v11
	v_mul_f32_e32 v12, 0x3fb8aa3b, v13
	v_fma_f32 v14, v11, s10, -v4
	v_rndne_f32_e32 v15, v4
	v_fma_f32 v16, v13, s10, -v12
	v_rndne_f32_e32 v17, v12
	v_fmac_f32_e32 v14, 0x32a5705f, v11
	v_sub_f32_e32 v4, v4, v15
	v_fmac_f32_e32 v16, 0x32a5705f, v13
	v_sub_f32_e32 v12, v12, v17
	v_add_f32_e32 v4, v4, v14
	v_cvt_i32_f32_e32 v15, v15
	v_add_f32_e32 v12, v12, v16
	v_exp_f32_e32 v14, v4
	v_cvt_i32_f32_e32 v17, v17
	v_exp_f32_e32 v12, v12
	v_cmp_ngt_f32_e32 vcc, s20, v11
	v_ldexp_f32 v14, v14, v15
	v_mov_b32_e32 v4, s5
	v_ldexp_f32 v12, v12, v17
	v_cndmask_b32_e32 v14, 0, v14, vcc
	v_cmp_ngt_f32_e32 vcc, s20, v13
	s_nop 1
	v_cndmask_b32_e32 v12, 0, v12, vcc
	v_cmp_nlt_f32_e32 vcc, s21, v11
	s_nop 1
	v_cndmask_b32_e32 v14, v8, v14, vcc
	v_cmp_nlt_f32_e32 vcc, s21, v13
	s_nop 1
	v_cndmask_b32_e32 v15, v8, v12, vcc
	v_cmp_le_f32_e32 vcc, s23, v11
	s_nop 1
	v_cndmask_b32_e32 v12, 0, v14, vcc
	v_cmp_le_f32_e32 vcc, s23, v13
	s_nop 1
	v_cndmask_b32_e32 v14, 0, v15, vcc
	s_waitcnt vmcnt(0)
	v_pk_mul_f32 v[4:5], v[4:5], v[14:15] op_sel_hi:[1,0]
	s_nop 0
	v_pk_fma_f32 v[4:5], v[0:1], v[12:13], v[4:5] op_sel_hi:[1,0,1]
	s_cbranch_execz .LBB26_16
	s_branch .LBB26_17
.LBB26_15:
                                        ; implicit-def: $vgpr4_vgpr5
                                        ; implicit-def: $sgpr2_sgpr3
                                        ; implicit-def: $vgpr10
                                        ; implicit-def: $sgpr1
                                        ; implicit-def: $sgpr25
.LBB26_16:
	s_add_i32 s1, s24, -1
	s_mov_b64 s[2:3], 0
	s_mov_b32 s25, s6
	v_mov_b32_e32 v10, v9
	s_waitcnt vmcnt(0)
	v_mov_b64_e32 v[4:5], v[0:1]
.LBB26_17:
	s_andn2_b64 vcc, exec, s[2:3]
	s_cbranch_vccz .LBB26_22
; %bb.18:
	s_mov_b32 s6, s25
	s_mov_b32 s24, s1
	v_mov_b32_e32 v9, v10
	s_waitcnt vmcnt(0)
	v_mov_b64_e32 v[0:1], v[4:5]
	s_mul_hi_i32 s1, s24, s11
	s_cmp_lg_u64 s[0:1], 0
	s_mul_i32 s8, s24, s11
	s_cbranch_scc1 .LBB26_9
.LBB26_19:
                                        ; implicit-def: $sgpr4_sgpr5
	s_branch .LBB26_10
.LBB26_20:
                                        ; implicit-def: $sgpr6_sgpr7
	s_load_dwordx4 s[12:15], s[0:1], 0x44
	s_branch .LBB26_2
.LBB26_21:
                                        ; implicit-def: $sgpr18_sgpr19
	s_branch .LBB26_5
.LBB26_22:
	v_div_scale_f32 v0, s[0:1], v4, v4, v5
	s_waitcnt vmcnt(0)
	v_rcp_f32_e32 v1, v0
	v_div_scale_f32 v6, vcc, v5, v4, v5
	v_fma_f32 v7, -v0, v1, 1.0
	v_fmac_f32_e32 v1, v7, v1
	v_mul_f32_e32 v7, v6, v1
	v_fma_f32 v8, -v0, v7, v6
	v_fmac_f32_e32 v7, v8, v1
	v_fma_f32 v0, -v0, v7, v6
	v_div_fmas_f32 v0, v0, v1, v7
	v_div_fixup_f32 v0, v0, v4, v5
	global_store_dword v[2:3], v0, off
.LBB26_23:
	s_endpgm
	.section	.rodata,"a",@progbits
	.p2align	6, 0x0
	.amdhsa_kernel _ZL33flash_attn_stream_k_fixup_generalILi64ELi4ELi4EEvPfPK15HIP_vector_typeIfLj2EEiiiiS1_IjLj3EES5_S5_S5_
		.amdhsa_group_segment_fixed_size 0
		.amdhsa_private_segment_fixed_size 0
		.amdhsa_kernarg_size 336
		.amdhsa_user_sgpr_count 2
		.amdhsa_user_sgpr_dispatch_ptr 0
		.amdhsa_user_sgpr_queue_ptr 0
		.amdhsa_user_sgpr_kernarg_segment_ptr 1
		.amdhsa_user_sgpr_dispatch_id 0
		.amdhsa_user_sgpr_kernarg_preload_length 0
		.amdhsa_user_sgpr_kernarg_preload_offset 0
		.amdhsa_user_sgpr_private_segment_size 0
		.amdhsa_uses_dynamic_stack 0
		.amdhsa_enable_private_segment 0
		.amdhsa_system_sgpr_workgroup_id_x 1
		.amdhsa_system_sgpr_workgroup_id_y 1
		.amdhsa_system_sgpr_workgroup_id_z 1
		.amdhsa_system_sgpr_workgroup_info 0
		.amdhsa_system_vgpr_workitem_id 0
		.amdhsa_next_free_vgpr 18
		.amdhsa_next_free_sgpr 36
		.amdhsa_accum_offset 20
		.amdhsa_reserve_vcc 1
		.amdhsa_float_round_mode_32 0
		.amdhsa_float_round_mode_16_64 0
		.amdhsa_float_denorm_mode_32 3
		.amdhsa_float_denorm_mode_16_64 3
		.amdhsa_dx10_clamp 1
		.amdhsa_ieee_mode 1
		.amdhsa_fp16_overflow 0
		.amdhsa_tg_split 0
		.amdhsa_exception_fp_ieee_invalid_op 0
		.amdhsa_exception_fp_denorm_src 0
		.amdhsa_exception_fp_ieee_div_zero 0
		.amdhsa_exception_fp_ieee_overflow 0
		.amdhsa_exception_fp_ieee_underflow 0
		.amdhsa_exception_fp_ieee_inexact 0
		.amdhsa_exception_int_div_zero 0
	.end_amdhsa_kernel
	.section	.text._ZL33flash_attn_stream_k_fixup_generalILi64ELi4ELi4EEvPfPK15HIP_vector_typeIfLj2EEiiiiS1_IjLj3EES5_S5_S5_,"axG",@progbits,_ZL33flash_attn_stream_k_fixup_generalILi64ELi4ELi4EEvPfPK15HIP_vector_typeIfLj2EEiiiiS1_IjLj3EES5_S5_S5_,comdat
.Lfunc_end26:
	.size	_ZL33flash_attn_stream_k_fixup_generalILi64ELi4ELi4EEvPfPK15HIP_vector_typeIfLj2EEiiiiS1_IjLj3EES5_S5_S5_, .Lfunc_end26-_ZL33flash_attn_stream_k_fixup_generalILi64ELi4ELi4EEvPfPK15HIP_vector_typeIfLj2EEiiiiS1_IjLj3EES5_S5_S5_
                                        ; -- End function
	.set _ZL33flash_attn_stream_k_fixup_generalILi64ELi4ELi4EEvPfPK15HIP_vector_typeIfLj2EEiiiiS1_IjLj3EES5_S5_S5_.num_vgpr, 18
	.set _ZL33flash_attn_stream_k_fixup_generalILi64ELi4ELi4EEvPfPK15HIP_vector_typeIfLj2EEiiiiS1_IjLj3EES5_S5_S5_.num_agpr, 0
	.set _ZL33flash_attn_stream_k_fixup_generalILi64ELi4ELi4EEvPfPK15HIP_vector_typeIfLj2EEiiiiS1_IjLj3EES5_S5_S5_.numbered_sgpr, 36
	.set _ZL33flash_attn_stream_k_fixup_generalILi64ELi4ELi4EEvPfPK15HIP_vector_typeIfLj2EEiiiiS1_IjLj3EES5_S5_S5_.num_named_barrier, 0
	.set _ZL33flash_attn_stream_k_fixup_generalILi64ELi4ELi4EEvPfPK15HIP_vector_typeIfLj2EEiiiiS1_IjLj3EES5_S5_S5_.private_seg_size, 0
	.set _ZL33flash_attn_stream_k_fixup_generalILi64ELi4ELi4EEvPfPK15HIP_vector_typeIfLj2EEiiiiS1_IjLj3EES5_S5_S5_.uses_vcc, 1
	.set _ZL33flash_attn_stream_k_fixup_generalILi64ELi4ELi4EEvPfPK15HIP_vector_typeIfLj2EEiiiiS1_IjLj3EES5_S5_S5_.uses_flat_scratch, 0
	.set _ZL33flash_attn_stream_k_fixup_generalILi64ELi4ELi4EEvPfPK15HIP_vector_typeIfLj2EEiiiiS1_IjLj3EES5_S5_S5_.has_dyn_sized_stack, 0
	.set _ZL33flash_attn_stream_k_fixup_generalILi64ELi4ELi4EEvPfPK15HIP_vector_typeIfLj2EEiiiiS1_IjLj3EES5_S5_S5_.has_recursion, 0
	.set _ZL33flash_attn_stream_k_fixup_generalILi64ELi4ELi4EEvPfPK15HIP_vector_typeIfLj2EEiiiiS1_IjLj3EES5_S5_S5_.has_indirect_call, 0
	.section	.AMDGPU.csdata,"",@progbits
; Kernel info:
; codeLenInByte = 2940
; TotalNumSgprs: 42
; NumVgprs: 18
; NumAgprs: 0
; TotalNumVgprs: 18
; ScratchSize: 0
; MemoryBound: 0
; FloatMode: 240
; IeeeMode: 1
; LDSByteSize: 0 bytes/workgroup (compile time only)
; SGPRBlocks: 5
; VGPRBlocks: 2
; NumSGPRsForWavesPerEU: 42
; NumVGPRsForWavesPerEU: 18
; AccumOffset: 20
; Occupancy: 8
; WaveLimiterHint : 0
; COMPUTE_PGM_RSRC2:SCRATCH_EN: 0
; COMPUTE_PGM_RSRC2:USER_SGPR: 2
; COMPUTE_PGM_RSRC2:TRAP_HANDLER: 0
; COMPUTE_PGM_RSRC2:TGID_X_EN: 1
; COMPUTE_PGM_RSRC2:TGID_Y_EN: 1
; COMPUTE_PGM_RSRC2:TGID_Z_EN: 1
; COMPUTE_PGM_RSRC2:TIDIG_COMP_CNT: 0
; COMPUTE_PGM_RSRC3_GFX90A:ACCUM_OFFSET: 4
; COMPUTE_PGM_RSRC3_GFX90A:TG_SPLIT: 0
	.section	.text._ZL15flash_attn_tileILi64ELi64ELi2ELi4ELb0EEvPKcS1_S1_S1_S1_PKiPfP15HIP_vector_typeIfLj2EEffffjfiS5_IjLj3EEiiiiiiiiiiiliiliiiiil,"axG",@progbits,_ZL15flash_attn_tileILi64ELi64ELi2ELi4ELb0EEvPKcS1_S1_S1_S1_PKiPfP15HIP_vector_typeIfLj2EEffffjfiS5_IjLj3EEiiiiiiiiiiiliiliiiiil,comdat
	.globl	_ZL15flash_attn_tileILi64ELi64ELi2ELi4ELb0EEvPKcS1_S1_S1_S1_PKiPfP15HIP_vector_typeIfLj2EEffffjfiS5_IjLj3EEiiiiiiiiiiiliiliiiiil ; -- Begin function _ZL15flash_attn_tileILi64ELi64ELi2ELi4ELb0EEvPKcS1_S1_S1_S1_PKiPfP15HIP_vector_typeIfLj2EEffffjfiS5_IjLj3EEiiiiiiiiiiiliiliiiiil
	.p2align	8
	.type	_ZL15flash_attn_tileILi64ELi64ELi2ELi4ELb0EEvPKcS1_S1_S1_S1_PKiPfP15HIP_vector_typeIfLj2EEffffjfiS5_IjLj3EEiiiiiiiiiiiliiliiiiil,@function
_ZL15flash_attn_tileILi64ELi64ELi2ELi4ELb0EEvPKcS1_S1_S1_S1_PKiPfP15HIP_vector_typeIfLj2EEffffjfiS5_IjLj3EEiiiiiiiiiiiliiliiiiil: ; @_ZL15flash_attn_tileILi64ELi64ELi2ELi4ELb0EEvPKcS1_S1_S1_S1_PKiPfP15HIP_vector_typeIfLj2EEffffjfiS5_IjLj3EEiiiiiiiiiiiliiliiiiil
; %bb.0:
	s_load_dwordx4 s[20:23], s[0:1], 0x5c
	s_load_dwordx2 s[24:25], s[0:1], 0x80
	s_load_dwordx2 s[28:29], s[0:1], 0xb8
	s_mov_b64 s[26:27], 0
	s_waitcnt lgkmcnt(0)
	s_ashr_i32 s5, s23, 31
	s_lshr_b32 s5, s5, 30
	s_add_i32 s5, s23, s5
	s_ashr_i32 s5, s5, 2
	v_cvt_f32_u32_e32 v1, s5
	s_sub_i32 s6, 0, s5
	v_rcp_iflag_f32_e32 v1, v1
	s_nop 0
	v_mul_f32_e32 v1, 0x4f7ffffe, v1
	v_cvt_u32_f32_e32 v1, v1
	s_nop 0
	v_readfirstlane_b32 s7, v1
	s_mul_i32 s6, s6, s7
	s_mul_hi_u32 s6, s7, s6
	s_add_i32 s7, s7, s6
	s_mul_hi_u32 s6, s4, s7
	s_mul_i32 s7, s6, s5
	s_sub_i32 s7, s4, s7
	s_add_i32 s8, s6, 1
	s_sub_i32 s9, s7, s5
	s_cmp_ge_u32 s7, s5
	s_cselect_b32 s6, s8, s6
	s_cselect_b32 s7, s9, s7
	s_add_i32 s8, s6, 1
	s_cmp_ge_u32 s7, s5
	s_cselect_b32 s30, s8, s6
	s_abs_i32 s5, s25
	v_cvt_f32_u32_e32 v1, s5
	s_lshl_b32 s4, s4, 2
	s_mul_i32 s8, s30, s23
	s_xor_b32 s6, s23, s25
	v_rcp_iflag_f32_e32 v1, v1
	s_sub_i32 s9, 0, s5
	s_sub_i32 s25, s4, s8
	s_abs_i32 s7, s23
	v_mul_f32_e32 v1, 0x4f7ffffe, v1
	v_cvt_u32_f32_e32 v1, v1
	s_ashr_i32 s6, s6, 31
	v_readfirstlane_b32 s4, v1
	s_mul_i32 s9, s9, s4
	s_mul_hi_u32 s8, s4, s9
	s_add_i32 s4, s4, s8
	s_mul_hi_u32 s4, s7, s4
	s_mul_i32 s8, s4, s5
	s_sub_i32 s7, s7, s8
	s_add_i32 s9, s4, 1
	s_sub_i32 s8, s7, s5
	s_cmp_ge_u32 s7, s5
	s_cselect_b32 s4, s9, s4
	s_cselect_b32 s7, s8, s7
	s_add_i32 s8, s4, 1
	s_cmp_ge_u32 s7, s5
	s_cselect_b32 s4, s8, s4
	s_xor_b32 s4, s4, s6
	s_sub_i32 s33, s4, s6
	s_abs_i32 s31, s33
	v_cvt_f32_u32_e32 v1, s31
	s_load_dwordx16 s[4:19], s[0:1], 0x0
	v_rcp_iflag_f32_e32 v1, v1
	s_waitcnt lgkmcnt(0)
	s_cmp_eq_u64 s[10:11], 0
	v_mul_f32_e32 v1, 0x4f7ffffe, v1
	v_cvt_u32_f32_e32 v1, v1
	s_nop 0
	v_readfirstlane_b32 s34, v1
	s_cbranch_scc1 .LBB27_2
; %bb.1:
	s_abs_i32 s28, s28
	v_cvt_f32_u32_e32 v1, s28
	s_sub_i32 s37, 0, s28
	s_abs_i32 s36, s30
	s_ashr_i32 s35, s30, 31
	v_rcp_iflag_f32_e32 v1, v1
	s_load_dwordx2 s[26:27], s[0:1], 0xc8
	v_mul_f32_e32 v1, 0x4f7ffffe, v1
	v_cvt_u32_f32_e32 v1, v1
	s_nop 0
	v_readfirstlane_b32 s38, v1
	s_mul_i32 s37, s37, s38
	s_mul_hi_u32 s37, s38, s37
	s_add_i32 s38, s38, s37
	s_mul_hi_u32 s37, s36, s38
	s_mul_i32 s37, s37, s28
	s_sub_i32 s36, s36, s37
	s_sub_i32 s37, s36, s28
	s_cmp_ge_u32 s36, s28
	s_cselect_b32 s36, s37, s36
	s_sub_i32 s37, s36, s28
	s_cmp_ge_u32 s36, s28
	s_cselect_b32 s28, s37, s36
	s_xor_b32 s28, s28, s35
	s_sub_i32 s28, s28, s35
	s_ashr_i32 s35, s28, 31
	s_waitcnt lgkmcnt(0)
	s_mul_hi_u32 s36, s26, s28
	s_mul_i32 s35, s26, s35
	s_mul_i32 s27, s27, s28
	s_add_i32 s35, s36, s35
	s_add_i32 s35, s35, s27
	s_mul_i32 s26, s26, s28
	s_add_u32 s26, s10, s26
	s_addc_u32 s27, s11, s35
.LBB27_2:
	s_load_dwordx4 s[36:39], s[0:1], 0x70
	v_lshrrev_b32_e32 v2, 10, v0
	v_bfe_u32 v2, v2, 1, 9
	v_lshl_add_u32 v9, s2, 1, v2
	v_mul_hi_u32 v2, s20, v9
	s_waitcnt lgkmcnt(0)
	s_mul_i32 s10, s30, s38
	s_ashr_i32 s28, s10, 31
	s_mul_i32 s11, s25, s37
	s_add_u32 s4, s4, s10
	s_addc_u32 s5, s5, s28
	s_ashr_i32 s10, s11, 31
	v_add_u32_e32 v2, v9, v2
	s_add_u32 s4, s4, s11
	v_lshrrev_b32_e32 v2, s21, v2
	s_addc_u32 s5, s5, s10
	s_ashr_i32 s11, s37, 31
	s_mov_b32 s10, s37
	v_mul_lo_u32 v2, v2, s22
	s_ashr_i32 s37, s36, 31
	v_sub_u32_e32 v2, v9, v2
	s_lshr_b64 s[20:21], s[36:37], 2
	v_mad_u64_u32 v[4:5], s[20:21], s20, v2, 0
	s_lshr_b64 s[38:39], s[10:11], 2
	v_mov_b32_e32 v6, v5
	s_lshr_b32 s10, s37, 2
	v_bfe_u32 v1, v0, 10, 10
	v_mad_u64_u32 v[6:7], s[20:21], s10, v2, v[6:7]
	v_lshlrev_b32_e32 v3, 1, v1
	v_mov_b32_e32 v5, v6
	v_and_b32_e32 v8, 0x3ff, v0
	v_lshl_add_u64 v[4:5], v[4:5], 2, s[4:5]
	v_lshlrev_b32_e32 v6, 3, v8
	v_mov_b32_e32 v7, 0
	v_and_b32_e32 v26, 2, v3
	s_lshr_b32 s10, s11, 2
	v_bitop3_b32 v12, v3, 3, 1 bitop3:0xc8
	v_lshl_add_u64 v[4:5], v[4:5], 0, v[6:7]
	v_mul_lo_u32 v0, s10, v26
	v_mad_u64_u32 v[6:7], s[4:5], s38, v26, 0
	v_mad_u64_u32 v[10:11], s[4:5], s38, v12, 0
	v_or_b32_e32 v7, v7, v0
	v_mov_b32_e32 v0, v11
	v_mad_u64_u32 v[12:13], s[4:5], s10, v12, v[0:1]
	v_lshl_add_u64 v[6:7], v[6:7], 2, v[4:5]
	v_mov_b32_e32 v11, v12
	global_load_dwordx2 v[6:7], v[6:7], off
	v_lshl_add_u64 v[4:5], v[10:11], 2, v[4:5]
	global_load_dwordx2 v[4:5], v[4:5], off
	s_load_dword s4, s[0:1], 0x40
	v_mov_b32_e32 v0, 0x1200
	v_lshl_add_u32 v10, v8, 2, v0
	v_lshlrev_b32_e32 v0, 8, v1
	v_add_u32_e32 v11, v10, v0
	v_or_b32_e32 v3, 1, v3
	s_cmp_eq_u64 s[14:15], 0
	v_lshl_add_u32 v3, v3, 7, v10
	s_waitcnt vmcnt(1) lgkmcnt(0)
	v_fma_mixlo_f16 v7, s4, v7, 0
	v_fma_mixlo_f16 v6, s4, v6, 0
	s_waitcnt vmcnt(0)
	v_fma_mixlo_f16 v5, s4, v5, 0
	v_lshlrev_b32_e32 v7, 16, v7
	v_fma_mixlo_f16 v4, s4, v4, 0
	v_lshlrev_b32_e32 v5, 16, v5
	v_or_b32_sdwa v6, v7, v6 dst_sel:DWORD dst_unused:UNUSED_PAD src0_sel:DWORD src1_sel:WORD_0
	v_or_b32_sdwa v4, v5, v4 dst_sel:DWORD dst_unused:UNUSED_PAD src0_sel:DWORD src1_sel:WORD_0
	ds_write_b32 v11, v6
	ds_write_b32 v3, v4
	s_waitcnt lgkmcnt(0)
	s_barrier
	s_cbranch_scc1 .LBB27_4
; %bb.3:
	s_load_dword s4, s[0:1], 0xd0
	s_mov_b32 s5, 0
	s_waitcnt lgkmcnt(0)
	s_mul_i32 s4, s4, s30
	s_add_i32 s4, s4, s2
	s_lshl_b64 s[4:5], s[4:5], 2
	s_add_u32 s4, s14, s4
	s_addc_u32 s5, s15, s5
	s_load_dword s24, s[4:5], 0x0
.LBB27_4:
	s_lshl_b32 s2, s3, 5
	s_waitcnt lgkmcnt(0)
	s_cmp_lt_i32 s2, s24
	v_mbcnt_lo_u32_b32 v3, -1, 0
	s_cbranch_scc1 .LBB27_7
; %bb.5:
	v_mbcnt_hi_u32_b32 v28, -1, v3
	v_and_b32_e32 v4, 0x60, v28
	v_add_u32_e32 v29, 32, v4
	v_xor_b32_e32 v34, 16, v28
	v_xor_b32_e32 v33, 8, v28
	;; [unrolled: 1-line block ×5, first 2 shown]
	s_cbranch_execz .LBB27_8
; %bb.6:
	v_mov_b32_e32 v11, 0
	v_mov_b32_e32 v25, 0xfeffffff
	;; [unrolled: 1-line block ×6, first 2 shown]
	s_branch .LBB27_10
.LBB27_7:
                                        ; implicit-def: $vgpr28
                                        ; implicit-def: $vgpr29
                                        ; implicit-def: $vgpr34
                                        ; implicit-def: $vgpr33
                                        ; implicit-def: $vgpr32
                                        ; implicit-def: $vgpr31
                                        ; implicit-def: $vgpr30
.LBB27_8:
	s_sub_i32 s4, 0, s31
	s_mul_i32 s4, s4, s34
	s_mul_hi_u32 s4, s34, s4
	s_add_i32 s34, s34, s4
	s_load_dwordx2 s[4:5], s[0:1], 0x8c
	s_load_dwordx4 s[36:39], s[0:1], 0x98
	s_abs_i32 s20, s25
	s_mul_hi_u32 s21, s20, s34
	s_ashr_i32 s34, s29, 1
	s_waitcnt lgkmcnt(0)
	s_ashr_i32 s15, s4, 2
	s_ashr_i32 s4, s30, 31
	s_mul_hi_u32 s29, s36, s30
	s_mul_i32 s35, s36, s4
	s_add_i32 s29, s29, s35
	s_mul_i32 s35, s37, s30
	s_ashr_i32 s28, s25, 31
	s_ashr_i32 s33, s33, 31
	;; [unrolled: 1-line block ×3, first 2 shown]
	s_add_i32 s29, s29, s35
	s_mul_i32 s35, s36, s30
	s_add_u32 s6, s6, s35
	s_addc_u32 s7, s7, s29
	s_mul_i32 s29, s21, s31
	s_sub_i32 s20, s20, s29
	s_xor_b32 s28, s28, s33
	s_add_i32 s29, s21, 1
	s_sub_i32 s33, s20, s31
	s_cmp_ge_u32 s20, s31
	s_cselect_b32 s21, s29, s21
	s_cselect_b32 s20, s33, s20
	s_add_i32 s29, s21, 1
	s_cmp_ge_u32 s20, s31
	s_load_dwordx2 s[10:11], s[0:1], 0xa8
	s_cselect_b32 s20, s29, s21
	s_xor_b32 s20, s20, s28
	s_sub_i32 s28, s20, s28
	s_mul_i32 s5, s28, s5
	s_ashr_i32 s21, s5, 31
	s_add_u32 s20, s6, s5
	s_waitcnt lgkmcnt(0)
	s_mul_hi_u32 s5, s10, s30
	s_mul_i32 s4, s10, s4
	s_addc_u32 s21, s7, s21
	s_add_i32 s4, s5, s4
	s_mul_i32 s5, s11, s30
	s_add_i32 s4, s4, s5
	s_mul_i32 s5, s10, s30
	s_add_u32 s5, s8, s5
	s_mul_i32 s28, s28, s39
	s_addc_u32 s4, s9, s4
	s_ashr_i32 s6, s28, 31
	v_lshrrev_b32_e32 v4, 3, v8
	v_lshlrev_b32_e32 v35, 2, v8
	s_add_u32 s28, s5, s28
	v_lshl_add_u32 v5, v1, 2, v4
	v_and_b32_e32 v4, 28, v35
	s_addc_u32 s29, s4, s6
	v_lshlrev_b32_e32 v6, 2, v4
	s_movk_i32 s4, 0x90
	v_mul_lo_u32 v14, s15, v5
	v_add_u32_e32 v39, 0x1200, v0
	v_mov_b32_e32 v0, 0x1600
	v_mul_lo_u32 v20, s14, v5
	v_mbcnt_hi_u32_b32 v28, -1, v3
	v_mov_b32_e32 v13, 0
	v_mad_u32_u24 v36, v5, s4, v6
	v_lshl_add_u32 v16, s15, 4, v14
	v_mad_u64_u32 v[18:19], s[4:5], v2, s34, v[8:9]
	v_lshl_add_u32 v40, v1, 7, v0
	v_lshl_or_b32 v41, v5, 7, v6
	v_lshl_add_u32 v22, s14, 4, v20
	s_add_u32 s10, s0, 0xd0
	v_mov_b32_e32 v24, 0xfeffffff
	v_and_b32_e32 v0, 0x60, v28
	v_ashrrev_i32_e32 v15, 31, v14
	v_add_u32_e32 v37, 0x900, v36
	v_ashrrev_i32_e32 v17, 31, v16
	v_mul_u32_u24_e32 v38, 0x90, v8
	v_ashrrev_i32_e32 v21, 31, v20
	v_add_u32_e32 v42, 0x800, v41
	v_ashrrev_i32_e32 v23, 31, v22
	s_addc_u32 s11, s1, 0
	v_lshlrev_b32_e32 v12, 2, v4
	v_add_u32_e32 v29, 32, v0
	v_xor_b32_e32 v34, 16, v28
	v_xor_b32_e32 v33, 8, v28
	;; [unrolled: 1-line block ×5, first 2 shown]
	s_mov_b32 s31, 0x3fb8aa3b
	s_mov_b32 s33, 0xc2ce8ed0
	;; [unrolled: 1-line block ×3, first 2 shown]
	v_mov_b32_e32 v43, 0x7f800000
	s_mov_b32 s35, 0x10001
	v_add_u32_e32 v44, v40, v35
	v_add_u32_e32 v45, 0x400, v35
	v_add_u32_e32 v46, 0x800, v35
	v_add_u32_e32 v47, 0xc00, v35
	v_mov_b32_e32 v19, v13
	v_mov_b32_e32 v27, v13
	;; [unrolled: 1-line block ×5, first 2 shown]
.LBB27_9:                               ; =>This Inner Loop Header: Depth=1
	s_mul_hi_i32 s5, s2, s15
	s_mul_i32 s4, s2, s15
	v_cmp_lt_i32_e32 vcc, v34, v29
	s_lshl_b64 s[4:5], s[4:5], 2
	v_add_u32_e32 v0, s2, v18
	v_cndmask_b32_e32 v2, v28, v34, vcc
	v_cmp_lt_i32_e32 vcc, v33, v29
	s_add_u32 s4, s20, s4
	v_ashrrev_i32_e32 v1, 31, v0
	v_cndmask_b32_e32 v3, v28, v33, vcc
	v_cmp_lt_i32_e32 vcc, v32, v29
	s_addc_u32 s5, s21, s5
	v_lshl_add_u64 v[54:55], v[0:1], 1, s[26:27]
	v_cndmask_b32_e32 v4, v28, v32, vcc
	v_cmp_lt_i32_e32 vcc, v31, v29
	v_lshl_add_u64 v[0:1], v[14:15], 2, s[4:5]
	v_lshlrev_b32_e32 v62, 2, v2
	v_cndmask_b32_e32 v5, v28, v31, vcc
	v_cmp_lt_i32_e32 vcc, v30, v29
	v_lshlrev_b32_e32 v63, 2, v3
	v_lshl_add_u64 v[2:3], v[16:17], 2, s[4:5]
	v_cndmask_b32_e32 v6, v28, v30, vcc
	v_lshl_add_u64 v[50:51], v[0:1], 0, v[12:13]
	v_lshlrev_b32_e32 v64, 2, v4
	v_lshlrev_b32_e32 v65, 2, v5
	;; [unrolled: 1-line block ×3, first 2 shown]
	v_lshl_add_u64 v[52:53], v[2:3], 0, v[12:13]
	global_load_dwordx4 v[0:3], v[50:51], off
	global_load_dwordx4 v[4:7], v[52:53], off
	s_mul_hi_i32 s7, s2, s14
	s_mul_i32 s6, s2, s14
	s_lshl_b64 s[6:7], s[6:7], 2
	s_add_u32 s4, s28, s6
	s_addc_u32 s5, s29, s7
	v_lshl_add_u64 v[50:51], v[20:21], 2, s[4:5]
	v_lshl_add_u64 v[52:53], v[22:23], 2, s[4:5]
	;; [unrolled: 1-line block ×4, first 2 shown]
	v_mov_b32_e32 v49, v24
	v_mov_b32_e32 v24, 0
	;; [unrolled: 1-line block ×4, first 2 shown]
	v_max_f32_e32 v60, v49, v49
	v_max_f32_e32 v61, v48, v48
	s_waitcnt vmcnt(1)
	ds_write_b128 v36, v[0:3]
	s_waitcnt vmcnt(0)
	ds_write_b128 v37, v[4:7]
	s_waitcnt lgkmcnt(0)
	s_barrier
	ds_read_b128 v[0:3], v38
	ds_read_b128 v[4:7], v39
	ds_read_b128 v[50:53], v39 offset:128
	s_waitcnt lgkmcnt(1)
	;;#ASMSTART
	v_dot2_f32_f16 v24, v0, v4, v24
	;;#ASMEND
	s_nop 0
	;;#ASMSTART
	v_dot2_f32_f16 v24, v1, v5, v24
	;;#ASMEND
	s_nop 0
	;;#ASMSTART
	v_dot2_f32_f16 v24, v2, v6, v24
	;;#ASMEND
	s_nop 0
	;;#ASMSTART
	v_dot2_f32_f16 v24, v3, v7, v24
	;;#ASMEND
	s_waitcnt lgkmcnt(0)
	;;#ASMSTART
	v_dot2_f32_f16 v25, v0, v50, v25
	;;#ASMEND
	s_nop 0
	;;#ASMSTART
	v_dot2_f32_f16 v25, v1, v51, v25
	;;#ASMEND
	s_nop 0
	;;#ASMSTART
	v_dot2_f32_f16 v25, v2, v52, v25
	;;#ASMEND
	s_nop 0
	;;#ASMSTART
	v_dot2_f32_f16 v25, v3, v53, v25
	;;#ASMEND
	ds_read_b128 v[0:3], v38 offset:16
	ds_read_b128 v[4:7], v39 offset:16
	ds_read_b128 v[50:53], v39 offset:144
	s_waitcnt lgkmcnt(1)
	;;#ASMSTART
	v_dot2_f32_f16 v24, v0, v4, v24
	;;#ASMEND
	s_nop 0
	;;#ASMSTART
	v_dot2_f32_f16 v24, v1, v5, v24
	;;#ASMEND
	s_nop 0
	;;#ASMSTART
	v_dot2_f32_f16 v24, v2, v6, v24
	;;#ASMEND
	s_nop 0
	;;#ASMSTART
	v_dot2_f32_f16 v24, v3, v7, v24
	;;#ASMEND
	s_waitcnt lgkmcnt(0)
	;;#ASMSTART
	v_dot2_f32_f16 v25, v0, v50, v25
	;;#ASMEND
	s_nop 0
	;;#ASMSTART
	v_dot2_f32_f16 v25, v1, v51, v25
	;;#ASMEND
	s_nop 0
	;;#ASMSTART
	v_dot2_f32_f16 v25, v2, v52, v25
	;;#ASMEND
	s_nop 0
	;;#ASMSTART
	v_dot2_f32_f16 v25, v3, v53, v25
	;;#ASMEND
	ds_read_b128 v[0:3], v38 offset:32
	ds_read_b128 v[4:7], v39 offset:32
	;; [unrolled: 35-line block ×7, first 2 shown]
	ds_read_b128 v[50:53], v39 offset:240
	s_waitcnt lgkmcnt(1)
	;;#ASMSTART
	v_dot2_f32_f16 v24, v0, v4, v24
	;;#ASMEND
	s_nop 0
	;;#ASMSTART
	v_dot2_f32_f16 v24, v1, v5, v24
	;;#ASMEND
	s_nop 0
	;;#ASMSTART
	v_dot2_f32_f16 v24, v2, v6, v24
	;;#ASMEND
	s_nop 0
	;;#ASMSTART
	v_dot2_f32_f16 v24, v3, v7, v24
	;;#ASMEND
	s_waitcnt lgkmcnt(0)
	;;#ASMSTART
	v_dot2_f32_f16 v25, v0, v50, v25
	;;#ASMEND
	s_nop 0
	;;#ASMSTART
	v_dot2_f32_f16 v25, v1, v51, v25
	;;#ASMEND
	s_nop 0
	;; [unrolled: 4-line block ×3, first 2 shown]
	;;#ASMSTART
	v_dot2_f32_f16 v25, v3, v53, v25
	;;#ASMEND
	global_load_ushort v50, v[54:55], off
	s_barrier
	global_load_dwordx4 v[0:3], v[56:57], off
	global_load_dwordx4 v[4:7], v[58:59], off
	s_waitcnt vmcnt(2)
	v_cvt_f32_f16_e32 v50, v50
	v_add_f32_e32 v51, v24, v50
	v_add_f32_e32 v50, v25, v50
	;; [unrolled: 1-line block ×4, first 2 shown]
	v_max_f32_e32 v24, v60, v24
	v_max_f32_e32 v25, v61, v25
	ds_bpermute_b32 v52, v62, v24
	ds_bpermute_b32 v53, v62, v25
	s_waitcnt lgkmcnt(1)
	v_max_f32_e32 v52, v52, v52
	s_waitcnt lgkmcnt(0)
	v_max_f32_e32 v53, v53, v53
	v_max_f32_e32 v24, v24, v52
	v_max_f32_e32 v25, v25, v53
	ds_bpermute_b32 v52, v63, v24
	ds_bpermute_b32 v53, v63, v25
	s_waitcnt lgkmcnt(1)
	v_max_f32_e32 v52, v52, v52
	s_waitcnt lgkmcnt(0)
	v_max_f32_e32 v53, v53, v53
	;; [unrolled: 8-line block ×5, first 2 shown]
	v_max_f32_e32 v24, v24, v52
	v_max_f32_e32 v25, v25, v53
	v_sub_f32_e32 v51, v51, v24
	v_sub_f32_e32 v50, v50, v25
	;; [unrolled: 1-line block ×4, first 2 shown]
	v_mul_f32_e32 v52, 0x3fb8aa3b, v51
	v_mul_f32_e32 v53, 0x3fb8aa3b, v50
	;; [unrolled: 1-line block ×4, first 2 shown]
	v_fma_f32 v56, v51, s31, -v52
	v_rndne_f32_e32 v57, v52
	v_fma_f32 v58, v50, s31, -v53
	v_rndne_f32_e32 v59, v53
	v_fma_f32 v60, v49, s31, -v54
	v_fma_f32 v61, v48, s31, -v55
	v_rndne_f32_e32 v62, v54
	v_rndne_f32_e32 v63, v55
	v_fmac_f32_e32 v56, 0x32a5705f, v51
	v_sub_f32_e32 v52, v52, v57
	v_fmac_f32_e32 v58, 0x32a5705f, v50
	v_sub_f32_e32 v53, v53, v59
	v_fmac_f32_e32 v60, 0x32a5705f, v49
	v_fmac_f32_e32 v61, 0x32a5705f, v48
	v_sub_f32_e32 v54, v54, v62
	v_sub_f32_e32 v55, v55, v63
	v_add_f32_e32 v52, v52, v56
	v_add_f32_e32 v53, v53, v58
	;; [unrolled: 1-line block ×4, first 2 shown]
	v_cvt_i32_f32_e32 v57, v57
	v_cvt_i32_f32_e32 v59, v59
	;; [unrolled: 1-line block ×4, first 2 shown]
	v_exp_f32_e32 v52, v52
	v_exp_f32_e32 v53, v53
	;; [unrolled: 1-line block ×4, first 2 shown]
	v_ldexp_f32 v52, v52, v57
	v_cmp_ngt_f32_e32 vcc, s33, v51
	v_ldexp_f32 v53, v53, v59
	v_ldexp_f32 v54, v54, v62
	v_cmp_ngt_f32_e64 s[4:5], s33, v49
	v_ldexp_f32 v55, v55, v63
	v_cmp_ngt_f32_e64 s[6:7], s33, v48
	v_cmp_ngt_f32_e64 s[8:9], s33, v50
	s_nop 1
	v_cndmask_b32_e64 v53, 0, v53, s[8:9]
	v_cmp_nlt_f32_e64 s[8:9], s34, v50
	v_cndmask_b32_e32 v50, 0, v52, vcc
	v_cndmask_b32_e64 v52, 0, v54, s[4:5]
	v_cmp_nlt_f32_e32 vcc, s34, v49
	v_cndmask_b32_e64 v54, 0, v55, s[6:7]
	v_cmp_nlt_f32_e64 s[4:5], s34, v48
	v_cmp_nlt_f32_e64 s[6:7], s34, v51
	v_cndmask_b32_e64 v49, v43, v53, s[8:9]
	v_cndmask_b32_e64 v51, v43, v54, s[4:5]
	;; [unrolled: 1-line block ×3, first 2 shown]
	v_cndmask_b32_e32 v50, v43, v52, vcc
	v_cvt_f16_f32_e32 v88, v50
	v_cvt_f16_f32_e32 v89, v51
	v_cvt_pk_f16_f32 v52, v48, v49
	v_pk_fma_f32 v[10:11], v[10:11], v[50:51], v[48:49]
	ds_write_b32 v44, v52
	s_waitcnt vmcnt(1)
	ds_write_b128 v41, v[0:3]
	s_waitcnt vmcnt(0)
	ds_write_b128 v42, v[4:7]
	s_waitcnt lgkmcnt(0)
	s_barrier
	ds_read_b128 v[0:3], v40
	ds_read_b128 v[4:7], v40 offset:16
	ds_read_b128 v[48:51], v40 offset:32
	;; [unrolled: 1-line block ×7, first 2 shown]
	ds_read2_b32 v[72:73], v35 offset1:32
	ds_read2_b32 v[74:75], v35 offset0:64 offset1:96
	ds_read2_b32 v[76:77], v35 offset0:128 offset1:160
	;; [unrolled: 1-line block ×3, first 2 shown]
	ds_read2_b32 v[80:81], v45 offset1:32
	ds_read2_b32 v[82:83], v45 offset0:64 offset1:96
	ds_read2_b32 v[84:85], v45 offset0:128 offset1:160
	;; [unrolled: 1-line block ×3, first 2 shown]
	s_waitcnt lgkmcnt(14)
	v_mul_u32_u24_sdwa v90, v0, s35 dst_sel:DWORD dst_unused:UNUSED_PAD src0_sel:WORD_0 src1_sel:DWORD
	v_mul_u32_u24_sdwa v91, v0, s35 dst_sel:DWORD dst_unused:UNUSED_PAD src0_sel:WORD_1 src1_sel:DWORD
	v_mul_u32_u24_sdwa v98, v4, s35 dst_sel:DWORD dst_unused:UNUSED_PAD src0_sel:WORD_0 src1_sel:DWORD
	v_mul_u32_u24_sdwa v99, v4, s35 dst_sel:DWORD dst_unused:UNUSED_PAD src0_sel:WORD_1 src1_sel:DWORD
	;; [unrolled: 2-line block ×5, first 2 shown]
	v_mul_u32_u24_e32 v4, 0x10001, v88
	s_waitcnt lgkmcnt(7)
	v_pk_mul_f16 v5, v72, v90
	v_mul_u32_u24_e32 v6, 0x10001, v89
	v_pk_mul_f16 v7, v72, v91
	v_mul_u32_u24_sdwa v92, v1, s35 dst_sel:DWORD dst_unused:UNUSED_PAD src0_sel:WORD_0 src1_sel:DWORD
	v_mul_u32_u24_sdwa v93, v1, s35 dst_sel:DWORD dst_unused:UNUSED_PAD src0_sel:WORD_1 src1_sel:DWORD
	v_pk_fma_f16 v27, v27, v4, v5
	v_pk_fma_f16 v19, v19, v6, v7
	v_mul_u32_u24_sdwa v94, v2, s35 dst_sel:DWORD dst_unused:UNUSED_PAD src0_sel:WORD_0 src1_sel:DWORD
	v_mul_u32_u24_sdwa v95, v2, s35 dst_sel:DWORD dst_unused:UNUSED_PAD src0_sel:WORD_1 src1_sel:DWORD
	v_pk_fma_f16 v27, v73, v92, v27
	v_pk_fma_f16 v19, v73, v93, v19
	v_mul_u32_u24_sdwa v96, v3, s35 dst_sel:DWORD dst_unused:UNUSED_PAD src0_sel:WORD_0 src1_sel:DWORD
	v_mul_u32_u24_sdwa v97, v3, s35 dst_sel:DWORD dst_unused:UNUSED_PAD src0_sel:WORD_1 src1_sel:DWORD
	s_waitcnt lgkmcnt(6)
	v_pk_fma_f16 v27, v74, v94, v27
	v_pk_fma_f16 v19, v74, v95, v19
	v_pk_fma_f16 v27, v75, v96, v27
	v_pk_fma_f16 v19, v75, v97, v19
	s_waitcnt lgkmcnt(5)
	v_pk_fma_f16 v27, v76, v98, v27
	v_pk_fma_f16 v19, v76, v99, v19
	;; [unrolled: 1-line block ×4, first 2 shown]
	s_waitcnt lgkmcnt(4)
	v_pk_fma_f16 v27, v78, v102, v27
	v_pk_fma_f16 v19, v78, v103, v19
	v_mul_u32_u24_sdwa v106, v48, s35 dst_sel:DWORD dst_unused:UNUSED_PAD src0_sel:WORD_0 src1_sel:DWORD
	v_mul_u32_u24_sdwa v107, v48, s35 dst_sel:DWORD dst_unused:UNUSED_PAD src0_sel:WORD_1 src1_sel:DWORD
	v_pk_fma_f16 v27, v79, v104, v27
	v_pk_fma_f16 v19, v79, v105, v19
	v_mul_u32_u24_sdwa v108, v49, s35 dst_sel:DWORD dst_unused:UNUSED_PAD src0_sel:WORD_0 src1_sel:DWORD
	v_mul_u32_u24_sdwa v109, v49, s35 dst_sel:DWORD dst_unused:UNUSED_PAD src0_sel:WORD_1 src1_sel:DWORD
	s_waitcnt lgkmcnt(3)
	v_pk_fma_f16 v27, v80, v106, v27
	v_pk_fma_f16 v19, v80, v107, v19
	v_mul_u32_u24_sdwa v110, v50, s35 dst_sel:DWORD dst_unused:UNUSED_PAD src0_sel:WORD_0 src1_sel:DWORD
	v_mul_u32_u24_sdwa v111, v50, s35 dst_sel:DWORD dst_unused:UNUSED_PAD src0_sel:WORD_1 src1_sel:DWORD
	v_pk_fma_f16 v27, v81, v108, v27
	v_pk_fma_f16 v19, v81, v109, v19
	v_mul_u32_u24_sdwa v112, v51, s35 dst_sel:DWORD dst_unused:UNUSED_PAD src0_sel:WORD_0 src1_sel:DWORD
	v_mul_u32_u24_sdwa v113, v51, s35 dst_sel:DWORD dst_unused:UNUSED_PAD src0_sel:WORD_1 src1_sel:DWORD
	;; [unrolled: 9-line block ×3, first 2 shown]
	ds_read2_b32 v[0:1], v46 offset1:32
	ds_read2_b32 v[2:3], v46 offset0:64 offset1:96
	s_waitcnt lgkmcnt(3)
	v_pk_fma_f16 v27, v84, v114, v27
	v_pk_fma_f16 v19, v84, v115, v19
	v_mul_u32_u24_sdwa v118, v54, s35 dst_sel:DWORD dst_unused:UNUSED_PAD src0_sel:WORD_0 src1_sel:DWORD
	v_mul_u32_u24_sdwa v119, v54, s35 dst_sel:DWORD dst_unused:UNUSED_PAD src0_sel:WORD_1 src1_sel:DWORD
	v_pk_fma_f16 v27, v85, v116, v27
	v_pk_fma_f16 v19, v85, v117, v19
	v_mul_u32_u24_sdwa v120, v55, s35 dst_sel:DWORD dst_unused:UNUSED_PAD src0_sel:WORD_0 src1_sel:DWORD
	v_mul_u32_u24_sdwa v121, v55, s35 dst_sel:DWORD dst_unused:UNUSED_PAD src0_sel:WORD_1 src1_sel:DWORD
	s_waitcnt lgkmcnt(2)
	v_pk_fma_f16 v27, v86, v118, v27
	v_pk_fma_f16 v19, v86, v119, v19
	v_mul_u32_u24_sdwa v122, v56, s35 dst_sel:DWORD dst_unused:UNUSED_PAD src0_sel:WORD_0 src1_sel:DWORD
	v_mul_u32_u24_sdwa v56, v56, s35 dst_sel:DWORD dst_unused:UNUSED_PAD src0_sel:WORD_1 src1_sel:DWORD
	ds_read2_b32 v[4:5], v46 offset0:128 offset1:160
	v_pk_fma_f16 v27, v87, v120, v27
	v_pk_fma_f16 v19, v87, v121, v19
	v_mul_u32_u24_sdwa v123, v57, s35 dst_sel:DWORD dst_unused:UNUSED_PAD src0_sel:WORD_0 src1_sel:DWORD
	v_mul_u32_u24_sdwa v57, v57, s35 dst_sel:DWORD dst_unused:UNUSED_PAD src0_sel:WORD_1 src1_sel:DWORD
	s_waitcnt lgkmcnt(2)
	v_pk_fma_f16 v27, v0, v122, v27
	v_pk_fma_f16 v0, v0, v56, v19
	v_mul_u32_u24_sdwa v124, v58, s35 dst_sel:DWORD dst_unused:UNUSED_PAD src0_sel:WORD_0 src1_sel:DWORD
	v_mul_u32_u24_sdwa v58, v58, s35 dst_sel:DWORD dst_unused:UNUSED_PAD src0_sel:WORD_1 src1_sel:DWORD
	ds_read2_b32 v[6:7], v46 offset0:192 offset1:224
	v_pk_fma_f16 v19, v1, v123, v27
	v_pk_fma_f16 v0, v1, v57, v0
	v_mul_u32_u24_sdwa v125, v59, s35 dst_sel:DWORD dst_unused:UNUSED_PAD src0_sel:WORD_0 src1_sel:DWORD
	v_mul_u32_u24_sdwa v59, v59, s35 dst_sel:DWORD dst_unused:UNUSED_PAD src0_sel:WORD_1 src1_sel:DWORD
	s_waitcnt lgkmcnt(2)
	v_pk_fma_f16 v1, v2, v124, v19
	v_pk_fma_f16 v0, v2, v58, v0
	v_mul_u32_u24_sdwa v126, v60, s35 dst_sel:DWORD dst_unused:UNUSED_PAD src0_sel:WORD_0 src1_sel:DWORD
	v_mul_u32_u24_sdwa v60, v60, s35 dst_sel:DWORD dst_unused:UNUSED_PAD src0_sel:WORD_1 src1_sel:DWORD
	v_pk_fma_f16 v1, v3, v125, v1
	v_pk_fma_f16 v0, v3, v59, v0
	v_mul_u32_u24_sdwa v127, v61, s35 dst_sel:DWORD dst_unused:UNUSED_PAD src0_sel:WORD_0 src1_sel:DWORD
	v_mul_u32_u24_sdwa v61, v61, s35 dst_sel:DWORD dst_unused:UNUSED_PAD src0_sel:WORD_1 src1_sel:DWORD
	ds_read2_b32 v[48:49], v47 offset1:32
	ds_read2_b32 v[50:51], v47 offset0:64 offset1:96
	s_waitcnt lgkmcnt(3)
	v_pk_fma_f16 v1, v4, v126, v1
	v_pk_fma_f16 v0, v4, v60, v0
	v_mul_u32_u24_sdwa v128, v62, s35 dst_sel:DWORD dst_unused:UNUSED_PAD src0_sel:WORD_0 src1_sel:DWORD
	v_mul_u32_u24_sdwa v62, v62, s35 dst_sel:DWORD dst_unused:UNUSED_PAD src0_sel:WORD_1 src1_sel:DWORD
	v_pk_fma_f16 v1, v5, v127, v1
	v_pk_fma_f16 v0, v5, v61, v0
	v_mul_u32_u24_sdwa v129, v63, s35 dst_sel:DWORD dst_unused:UNUSED_PAD src0_sel:WORD_0 src1_sel:DWORD
	v_mul_u32_u24_sdwa v63, v63, s35 dst_sel:DWORD dst_unused:UNUSED_PAD src0_sel:WORD_1 src1_sel:DWORD
	s_waitcnt lgkmcnt(2)
	v_pk_fma_f16 v1, v6, v128, v1
	v_pk_fma_f16 v0, v6, v62, v0
	v_mul_u32_u24_sdwa v130, v64, s35 dst_sel:DWORD dst_unused:UNUSED_PAD src0_sel:WORD_0 src1_sel:DWORD
	v_mul_u32_u24_sdwa v64, v64, s35 dst_sel:DWORD dst_unused:UNUSED_PAD src0_sel:WORD_1 src1_sel:DWORD
	ds_read2_b32 v[52:53], v47 offset0:128 offset1:160
	v_pk_fma_f16 v1, v7, v129, v1
	v_pk_fma_f16 v0, v7, v63, v0
	v_mul_u32_u24_sdwa v131, v65, s35 dst_sel:DWORD dst_unused:UNUSED_PAD src0_sel:WORD_0 src1_sel:DWORD
	v_mul_u32_u24_sdwa v65, v65, s35 dst_sel:DWORD dst_unused:UNUSED_PAD src0_sel:WORD_1 src1_sel:DWORD
	ds_read2_b32 v[54:55], v47 offset0:192 offset1:224
	s_waitcnt lgkmcnt(0)
	s_barrier
	s_load_dword s4, s[10:11], 0x4
	v_pk_fma_f16 v1, v48, v130, v1
	v_pk_fma_f16 v0, v48, v64, v0
	v_mul_u32_u24_sdwa v132, v66, s35 dst_sel:DWORD dst_unused:UNUSED_PAD src0_sel:WORD_0 src1_sel:DWORD
	v_mul_u32_u24_sdwa v66, v66, s35 dst_sel:DWORD dst_unused:UNUSED_PAD src0_sel:WORD_1 src1_sel:DWORD
	v_pk_fma_f16 v1, v49, v131, v1
	v_pk_fma_f16 v0, v49, v65, v0
	v_mul_u32_u24_sdwa v133, v67, s35 dst_sel:DWORD dst_unused:UNUSED_PAD src0_sel:WORD_0 src1_sel:DWORD
	v_mul_u32_u24_sdwa v67, v67, s35 dst_sel:DWORD dst_unused:UNUSED_PAD src0_sel:WORD_1 src1_sel:DWORD
	;; [unrolled: 4-line block ×5, first 2 shown]
	s_waitcnt lgkmcnt(0)
	s_lshl_b32 s4, s4, 5
	v_pk_fma_f16 v1, v53, v135, v1
	v_pk_fma_f16 v0, v53, v69, v0
	v_mul_u32_u24_sdwa v137, v71, s35 dst_sel:DWORD dst_unused:UNUSED_PAD src0_sel:WORD_0 src1_sel:DWORD
	v_mul_u32_u24_sdwa v71, v71, s35 dst_sel:DWORD dst_unused:UNUSED_PAD src0_sel:WORD_1 src1_sel:DWORD
	s_add_i32 s2, s4, s2
	v_pk_fma_f16 v1, v54, v136, v1
	v_pk_fma_f16 v0, v54, v70, v0
	s_cmp_ge_i32 s2, s24
	v_pk_fma_f16 v27, v55, v137, v1
	v_pk_fma_f16 v19, v55, v71, v0
	s_cbranch_scc0 .LBB27_9
.LBB27_10:
	v_cmp_lt_i32_e32 vcc, v34, v29
	s_cmp_lg_u64 s[12:13], 0
	s_cselect_b64 s[4:5], -1, 0
	v_cndmask_b32_e32 v0, v28, v34, vcc
	v_lshlrev_b32_e32 v1, 2, v0
	ds_bpermute_b32 v0, v1, v10
	ds_bpermute_b32 v1, v1, v11
	v_cmp_lt_i32_e32 vcc, v33, v29
	s_cmp_eq_u32 s3, 0
	s_cselect_b64 s[6:7], -1, 0
	v_cndmask_b32_e32 v2, v28, v33, vcc
	v_lshlrev_b32_e32 v3, 2, v2
	s_waitcnt lgkmcnt(0)
	v_pk_add_f32 v[0:1], v[10:11], v[0:1]
	ds_bpermute_b32 v2, v3, v0
	ds_bpermute_b32 v3, v3, v1
	v_cmp_lt_i32_e32 vcc, v32, v29
	s_and_b64 s[4:5], s[6:7], s[4:5]
	v_lshlrev_b32_e32 v5, 1, v8
	v_cndmask_b32_e32 v4, v28, v32, vcc
	v_lshlrev_b32_e32 v4, 2, v4
	s_waitcnt lgkmcnt(0)
	v_pk_add_f32 v[0:1], v[0:1], v[2:3]
	ds_bpermute_b32 v2, v4, v0
	ds_bpermute_b32 v3, v4, v1
	v_cmp_lt_i32_e32 vcc, v31, v29
	s_waitcnt lgkmcnt(0)
	v_pk_add_f32 v[0:1], v[0:1], v[2:3]
	v_cndmask_b32_e32 v4, v28, v31, vcc
	v_lshlrev_b32_e32 v4, 2, v4
	ds_bpermute_b32 v2, v4, v0
	ds_bpermute_b32 v3, v4, v1
	v_cmp_lt_i32_e32 vcc, v30, v29
	s_waitcnt lgkmcnt(0)
	v_pk_add_f32 v[0:1], v[0:1], v[2:3]
	v_cndmask_b32_e32 v4, v28, v30, vcc
	v_lshlrev_b32_e32 v4, 2, v4
	ds_bpermute_b32 v2, v4, v0
	ds_bpermute_b32 v3, v4, v1
	s_and_b64 vcc, exec, s[4:5]
	s_waitcnt lgkmcnt(0)
	v_pk_add_f32 v[0:1], v[0:1], v[2:3]
	s_cbranch_vccz .LBB27_12
; %bb.11:
	v_add_u32_e32 v2, s25, v26
	v_ashrrev_i32_e32 v3, 31, v2
	v_lshl_add_u64 v[2:3], v[2:3], 2, s[12:13]
	global_load_dwordx2 v[2:3], v[2:3], off
	v_max_f32_e32 v4, v24, v24
	v_max_f32_e32 v7, v25, v25
	s_mov_b32 s2, 0x3fb8aa3b
	s_mov_b32 s4, 0xc2ce8ed0
	;; [unrolled: 1-line block ×3, first 2 shown]
	v_mov_b32_e32 v11, 0x7f800000
	s_waitcnt vmcnt(0)
	v_max_f32_e32 v6, v2, v2
	v_max_f32_e32 v6, v4, v6
	;; [unrolled: 1-line block ×3, first 2 shown]
	v_sub_f32_e32 v4, v24, v6
	v_max_f32_e32 v7, v7, v10
	v_sub_f32_e32 v10, v2, v6
	v_mul_f32_e32 v2, 0x3fb8aa3b, v4
	v_sub_f32_e32 v12, v25, v7
	v_sub_f32_e32 v13, v3, v7
	v_mul_f32_e32 v3, 0x3fb8aa3b, v10
	v_fma_f32 v16, v4, s2, -v2
	v_rndne_f32_e32 v17, v2
	v_mul_f32_e32 v14, 0x3fb8aa3b, v12
	v_fma_f32 v18, v10, s2, -v3
	v_rndne_f32_e32 v20, v3
	v_fmac_f32_e32 v16, 0x32a5705f, v4
	v_sub_f32_e32 v2, v2, v17
	v_mul_f32_e32 v15, 0x3fb8aa3b, v13
	v_fma_f32 v21, v12, s2, -v14
	v_rndne_f32_e32 v22, v14
	v_fmac_f32_e32 v18, 0x32a5705f, v10
	v_sub_f32_e32 v3, v3, v20
	v_add_f32_e32 v2, v2, v16
	v_fma_f32 v23, v13, s2, -v15
	v_rndne_f32_e32 v24, v15
	v_cvt_i32_f32_e32 v17, v17
	v_fmac_f32_e32 v21, 0x32a5705f, v12
	v_sub_f32_e32 v14, v14, v22
	v_add_f32_e32 v3, v3, v18
	v_exp_f32_e32 v2, v2
	v_cvt_i32_f32_e32 v20, v20
	v_fmac_f32_e32 v23, 0x32a5705f, v13
	v_sub_f32_e32 v15, v15, v24
	v_add_f32_e32 v14, v14, v21
	v_exp_f32_e32 v3, v3
	v_cvt_i32_f32_e32 v22, v22
	v_add_f32_e32 v15, v15, v23
	v_exp_f32_e32 v14, v14
	v_cvt_i32_f32_e32 v24, v24
	v_exp_f32_e32 v15, v15
	v_ldexp_f32 v2, v2, v17
	v_cmp_ngt_f32_e32 vcc, s4, v4
	v_ldexp_f32 v3, v3, v20
	v_ldexp_f32 v14, v14, v22
	v_cndmask_b32_e32 v2, 0, v2, vcc
	v_cmp_ngt_f32_e32 vcc, s4, v10
	v_ldexp_f32 v15, v15, v24
	v_mov_b64_e32 v[24:25], v[6:7]
	v_cndmask_b32_e32 v3, 0, v3, vcc
	v_cmp_ngt_f32_e32 vcc, s4, v12
	s_nop 1
	v_cndmask_b32_e32 v14, 0, v14, vcc
	v_cmp_ngt_f32_e32 vcc, s4, v13
	s_nop 1
	v_cndmask_b32_e32 v15, 0, v15, vcc
	v_cmp_nlt_f32_e32 vcc, s5, v4
	s_nop 1
	v_cndmask_b32_e32 v2, v11, v2, vcc
	v_cmp_nlt_f32_e32 vcc, s5, v10
	v_cvt_f16_f32_e32 v4, v2
	s_nop 0
	v_cndmask_b32_e32 v10, v11, v3, vcc
	v_cmp_nlt_f32_e32 vcc, s5, v12
	s_nop 1
	v_cndmask_b32_e32 v3, v11, v14, vcc
	v_cvt_f16_f32_e32 v12, v3
	v_cmp_nlt_f32_e32 vcc, s5, v13
	s_nop 1
	v_cndmask_b32_e32 v11, v11, v15, vcc
	v_pk_fma_f32 v[0:1], v[0:1], v[2:3], v[10:11]
	v_mul_u32_u24_e32 v2, 0x10001, v4
	v_mul_u32_u24_e32 v3, 0x10001, v12
	v_pk_mul_f16 v27, v27, v2
	v_pk_mul_f16 v19, v19, v3
.LBB27_12:
	v_cmp_gt_i32_e32 vcc, s22, v9
	s_and_saveexec_b64 s[4:5], vcc
	s_cbranch_execz .LBB27_21
; %bb.13:
	s_load_dword s6, s[0:1], 0xd4
	v_mov_b32_e32 v4, 1.0
	s_waitcnt lgkmcnt(0)
	s_cmp_lg_u32 s6, 1
	s_cselect_b64 s[0:1], -1, 0
	s_cmp_eq_u32 s6, 1
	s_cselect_b64 s[4:5], -1, 0
	s_and_b64 vcc, exec, s[0:1]
	s_cbranch_vccnz .LBB27_15
; %bb.14:
	v_div_scale_f32 v2, s[8:9], v0, v0, 1.0
	v_rcp_f32_e32 v3, v2
	v_div_scale_f32 v4, vcc, 1.0, v0, 1.0
	v_fma_f32 v6, -v2, v3, 1.0
	v_fmac_f32_e32 v3, v6, v3
	v_mul_f32_e32 v6, v4, v3
	v_fma_f32 v7, -v2, v6, v4
	v_fmac_f32_e32 v6, v7, v3
	v_fma_f32 v2, -v2, v6, v4
	v_div_fmas_f32 v2, v2, v3, v6
	v_div_fixup_f32 v4, v2, v0, 1.0
.LBB27_15:
	s_mul_i32 s30, s30, s22
	v_add_u32_e32 v2, s30, v9
	v_mul_lo_u32 v2, v2, s23
	v_add3_u32 v2, s25, v26, v2
	v_cvt_f32_f16_sdwa v7, v27 dst_sel:DWORD dst_unused:UNUSED_PAD src0_sel:WORD_1
	v_cvt_f32_f16_e32 v6, v27
	v_mul_lo_u32 v2, s6, v2
	v_add_u32_e32 v2, s3, v2
	v_cmp_eq_u32_e32 vcc, 0, v8
	v_lshl_add_u32 v8, v2, 6, v5
	v_mov_b32_e32 v9, 0
	s_and_b64 s[0:1], vcc, s[0:1]
	v_lshl_add_u64 v[8:9], v[8:9], 2, s[16:17]
	v_pk_mul_f32 v[6:7], v[4:5], v[6:7] op_sel_hi:[0,1]
	global_store_dwordx2 v[8:9], v[6:7], off
	s_and_saveexec_b64 s[2:3], s[0:1]
	s_cbranch_execz .LBB27_17
; %bb.16:
	v_ashrrev_i32_e32 v3, 31, v2
	v_lshl_add_u64 v[6:7], v[2:3], 3, s[18:19]
	v_mov_b32_e32 v8, v24
	v_mov_b32_e32 v9, v0
	global_store_dwordx2 v[6:7], v[8:9], off
.LBB27_17:
	s_or_b64 exec, exec, s[2:3]
	s_andn2_b64 vcc, exec, s[4:5]
	v_mov_b32_e32 v0, 1.0
	s_cbranch_vccnz .LBB27_19
; %bb.18:
	v_div_scale_f32 v0, s[2:3], v1, v1, 1.0
	v_rcp_f32_e32 v3, v0
	v_div_scale_f32 v4, vcc, 1.0, v1, 1.0
	v_fma_f32 v6, -v0, v3, 1.0
	v_fmac_f32_e32 v3, v6, v3
	v_mul_f32_e32 v6, v4, v3
	v_fma_f32 v7, -v0, v6, v4
	v_fmac_f32_e32 v6, v7, v3
	v_fma_f32 v0, -v0, v6, v4
	v_div_fmas_f32 v0, v0, v3, v6
	v_div_fixup_f32 v0, v0, v1, 1.0
.LBB27_19:
	v_cvt_f32_f16_sdwa v7, v19 dst_sel:DWORD dst_unused:UNUSED_PAD src0_sel:WORD_1
	v_cvt_f32_f16_e32 v6, v19
	v_add_u32_e32 v2, s6, v2
	v_lshl_add_u32 v4, v2, 6, v5
	v_mov_b32_e32 v5, 0
	v_lshl_add_u64 v[4:5], v[4:5], 2, s[16:17]
	v_pk_mul_f32 v[6:7], v[0:1], v[6:7] op_sel_hi:[0,1]
	global_store_dwordx2 v[4:5], v[6:7], off
	s_and_b64 exec, exec, s[0:1]
	s_cbranch_execz .LBB27_21
; %bb.20:
	v_ashrrev_i32_e32 v3, 31, v2
	v_lshl_add_u64 v[2:3], v[2:3], 3, s[18:19]
	v_mov_b32_e32 v0, v25
	global_store_dwordx2 v[2:3], v[0:1], off
.LBB27_21:
	s_endpgm
	.section	.rodata,"a",@progbits
	.p2align	6, 0x0
	.amdhsa_kernel _ZL15flash_attn_tileILi64ELi64ELi2ELi4ELb0EEvPKcS1_S1_S1_S1_PKiPfP15HIP_vector_typeIfLj2EEffffjfiS5_IjLj3EEiiiiiiiiiiiliiliiiiil
		.amdhsa_group_segment_fixed_size 6144
		.amdhsa_private_segment_fixed_size 0
		.amdhsa_kernarg_size 464
		.amdhsa_user_sgpr_count 2
		.amdhsa_user_sgpr_dispatch_ptr 0
		.amdhsa_user_sgpr_queue_ptr 0
		.amdhsa_user_sgpr_kernarg_segment_ptr 1
		.amdhsa_user_sgpr_dispatch_id 0
		.amdhsa_user_sgpr_kernarg_preload_length 0
		.amdhsa_user_sgpr_kernarg_preload_offset 0
		.amdhsa_user_sgpr_private_segment_size 0
		.amdhsa_uses_dynamic_stack 0
		.amdhsa_enable_private_segment 0
		.amdhsa_system_sgpr_workgroup_id_x 1
		.amdhsa_system_sgpr_workgroup_id_y 1
		.amdhsa_system_sgpr_workgroup_id_z 1
		.amdhsa_system_sgpr_workgroup_info 0
		.amdhsa_system_vgpr_workitem_id 1
		.amdhsa_next_free_vgpr 138
		.amdhsa_next_free_sgpr 40
		.amdhsa_accum_offset 140
		.amdhsa_reserve_vcc 1
		.amdhsa_float_round_mode_32 0
		.amdhsa_float_round_mode_16_64 0
		.amdhsa_float_denorm_mode_32 3
		.amdhsa_float_denorm_mode_16_64 3
		.amdhsa_dx10_clamp 1
		.amdhsa_ieee_mode 1
		.amdhsa_fp16_overflow 0
		.amdhsa_tg_split 0
		.amdhsa_exception_fp_ieee_invalid_op 0
		.amdhsa_exception_fp_denorm_src 0
		.amdhsa_exception_fp_ieee_div_zero 0
		.amdhsa_exception_fp_ieee_overflow 0
		.amdhsa_exception_fp_ieee_underflow 0
		.amdhsa_exception_fp_ieee_inexact 0
		.amdhsa_exception_int_div_zero 0
	.end_amdhsa_kernel
	.section	.text._ZL15flash_attn_tileILi64ELi64ELi2ELi4ELb0EEvPKcS1_S1_S1_S1_PKiPfP15HIP_vector_typeIfLj2EEffffjfiS5_IjLj3EEiiiiiiiiiiiliiliiiiil,"axG",@progbits,_ZL15flash_attn_tileILi64ELi64ELi2ELi4ELb0EEvPKcS1_S1_S1_S1_PKiPfP15HIP_vector_typeIfLj2EEffffjfiS5_IjLj3EEiiiiiiiiiiiliiliiiiil,comdat
.Lfunc_end27:
	.size	_ZL15flash_attn_tileILi64ELi64ELi2ELi4ELb0EEvPKcS1_S1_S1_S1_PKiPfP15HIP_vector_typeIfLj2EEffffjfiS5_IjLj3EEiiiiiiiiiiiliiliiiiil, .Lfunc_end27-_ZL15flash_attn_tileILi64ELi64ELi2ELi4ELb0EEvPKcS1_S1_S1_S1_PKiPfP15HIP_vector_typeIfLj2EEffffjfiS5_IjLj3EEiiiiiiiiiiiliiliiiiil
                                        ; -- End function
	.set _ZL15flash_attn_tileILi64ELi64ELi2ELi4ELb0EEvPKcS1_S1_S1_S1_PKiPfP15HIP_vector_typeIfLj2EEffffjfiS5_IjLj3EEiiiiiiiiiiiliiliiiiil.num_vgpr, 138
	.set _ZL15flash_attn_tileILi64ELi64ELi2ELi4ELb0EEvPKcS1_S1_S1_S1_PKiPfP15HIP_vector_typeIfLj2EEffffjfiS5_IjLj3EEiiiiiiiiiiiliiliiiiil.num_agpr, 0
	.set _ZL15flash_attn_tileILi64ELi64ELi2ELi4ELb0EEvPKcS1_S1_S1_S1_PKiPfP15HIP_vector_typeIfLj2EEffffjfiS5_IjLj3EEiiiiiiiiiiiliiliiiiil.numbered_sgpr, 40
	.set _ZL15flash_attn_tileILi64ELi64ELi2ELi4ELb0EEvPKcS1_S1_S1_S1_PKiPfP15HIP_vector_typeIfLj2EEffffjfiS5_IjLj3EEiiiiiiiiiiiliiliiiiil.num_named_barrier, 0
	.set _ZL15flash_attn_tileILi64ELi64ELi2ELi4ELb0EEvPKcS1_S1_S1_S1_PKiPfP15HIP_vector_typeIfLj2EEffffjfiS5_IjLj3EEiiiiiiiiiiiliiliiiiil.private_seg_size, 0
	.set _ZL15flash_attn_tileILi64ELi64ELi2ELi4ELb0EEvPKcS1_S1_S1_S1_PKiPfP15HIP_vector_typeIfLj2EEffffjfiS5_IjLj3EEiiiiiiiiiiiliiliiiiil.uses_vcc, 1
	.set _ZL15flash_attn_tileILi64ELi64ELi2ELi4ELb0EEvPKcS1_S1_S1_S1_PKiPfP15HIP_vector_typeIfLj2EEffffjfiS5_IjLj3EEiiiiiiiiiiiliiliiiiil.uses_flat_scratch, 0
	.set _ZL15flash_attn_tileILi64ELi64ELi2ELi4ELb0EEvPKcS1_S1_S1_S1_PKiPfP15HIP_vector_typeIfLj2EEffffjfiS5_IjLj3EEiiiiiiiiiiiliiliiiiil.has_dyn_sized_stack, 0
	.set _ZL15flash_attn_tileILi64ELi64ELi2ELi4ELb0EEvPKcS1_S1_S1_S1_PKiPfP15HIP_vector_typeIfLj2EEffffjfiS5_IjLj3EEiiiiiiiiiiiliiliiiiil.has_recursion, 0
	.set _ZL15flash_attn_tileILi64ELi64ELi2ELi4ELb0EEvPKcS1_S1_S1_S1_PKiPfP15HIP_vector_typeIfLj2EEffffjfiS5_IjLj3EEiiiiiiiiiiiliiliiiiil.has_indirect_call, 0
	.section	.AMDGPU.csdata,"",@progbits
; Kernel info:
; codeLenInByte = 6392
; TotalNumSgprs: 46
; NumVgprs: 138
; NumAgprs: 0
; TotalNumVgprs: 138
; ScratchSize: 0
; MemoryBound: 0
; FloatMode: 240
; IeeeMode: 1
; LDSByteSize: 6144 bytes/workgroup (compile time only)
; SGPRBlocks: 5
; VGPRBlocks: 17
; NumSGPRsForWavesPerEU: 46
; NumVGPRsForWavesPerEU: 138
; AccumOffset: 140
; Occupancy: 3
; WaveLimiterHint : 1
; COMPUTE_PGM_RSRC2:SCRATCH_EN: 0
; COMPUTE_PGM_RSRC2:USER_SGPR: 2
; COMPUTE_PGM_RSRC2:TRAP_HANDLER: 0
; COMPUTE_PGM_RSRC2:TGID_X_EN: 1
; COMPUTE_PGM_RSRC2:TGID_Y_EN: 1
; COMPUTE_PGM_RSRC2:TGID_Z_EN: 1
; COMPUTE_PGM_RSRC2:TIDIG_COMP_CNT: 1
; COMPUTE_PGM_RSRC3_GFX90A:ACCUM_OFFSET: 34
; COMPUTE_PGM_RSRC3_GFX90A:TG_SPLIT: 0
	.section	.text._ZL33flash_attn_stream_k_fixup_uniformILi64ELi2ELi4EEvPfPK15HIP_vector_typeIfLj2EEiiiiiiS1_IjLj3EES5_S5_,"axG",@progbits,_ZL33flash_attn_stream_k_fixup_uniformILi64ELi2ELi4EEvPfPK15HIP_vector_typeIfLj2EEiiiiiiS1_IjLj3EES5_S5_,comdat
	.globl	_ZL33flash_attn_stream_k_fixup_uniformILi64ELi2ELi4EEvPfPK15HIP_vector_typeIfLj2EEiiiiiiS1_IjLj3EES5_S5_ ; -- Begin function _ZL33flash_attn_stream_k_fixup_uniformILi64ELi2ELi4EEvPfPK15HIP_vector_typeIfLj2EEiiiiiiS1_IjLj3EES5_S5_
	.p2align	8
	.type	_ZL33flash_attn_stream_k_fixup_uniformILi64ELi2ELi4EEvPfPK15HIP_vector_typeIfLj2EEiiiiiiS1_IjLj3EES5_S5_,@function
_ZL33flash_attn_stream_k_fixup_uniformILi64ELi2ELi4EEvPfPK15HIP_vector_typeIfLj2EEiiiiiiS1_IjLj3EES5_S5_: ; @_ZL33flash_attn_stream_k_fixup_uniformILi64ELi2ELi4EEvPfPK15HIP_vector_typeIfLj2EEiiiiiiS1_IjLj3EES5_S5_
; %bb.0:
	s_load_dwordx8 s[8:15], s[0:1], 0x1c
	s_load_dwordx2 s[6:7], s[0:1], 0x10
	s_load_dwordx4 s[20:23], s[0:1], 0x3c
	s_waitcnt lgkmcnt(0)
	s_mul_hi_u32 s5, s11, s2
	s_add_i32 s5, s2, s5
	s_lshr_b32 s5, s5, s12
	s_mul_i32 s11, s5, s13
	s_sub_i32 s11, s2, s11
	s_mul_hi_u32 s12, s11, s14
	s_add_i32 s12, s11, s12
	s_lshr_b32 s16, s12, s15
	s_mul_i32 s12, s16, s20
	s_sub_i32 s11, s11, s12
	;; [unrolled: 5-line block ×3, first 2 shown]
	s_lshl_b32 s11, s12, 2
	s_lshl_b32 s12, s17, 1
	s_add_i32 s12, s12, s3
	s_cmp_lt_i32 s12, s6
	s_cselect_b64 s[12:13], -1, 0
	s_add_i32 s14, s11, s4
	s_cmp_lt_i32 s14, s9
	s_cselect_b64 s[14:15], -1, 0
	s_and_b64 s[12:13], s[12:13], s[14:15]
	s_andn2_b64 vcc, exec, s[12:13]
	s_cbranch_vccnz .LBB28_6
; %bb.1:
	s_load_dwordx4 s[12:15], s[0:1], 0x0
	s_mul_i32 s0, s5, s6
	s_add_i32 s0, s0, s3
	s_mul_i32 s0, s0, s7
	s_mul_i32 s16, s16, s9
	s_add_i32 s0, s0, s4
	s_add_i32 s0, s0, s16
	s_mul_i32 s1, s7, s17
	s_add_i32 s0, s0, s11
	s_lshl_b32 s1, s1, 7
	s_lshl_b32 s0, s0, 6
	s_add_i32 s1, s1, s0
	v_or_b32_e32 v4, s1, v0
	s_waitcnt lgkmcnt(0)
	v_mov_b32_e32 v2, s12
	v_mov_b32_e32 v3, s13
	v_ashrrev_i32_e32 v5, 31, v4
	v_lshl_add_u64 v[2:3], v[4:5], 2, v[2:3]
	global_load_dword v5, v[2:3], off
	s_mul_i32 s5, s10, s2
	s_lshl_b32 s11, s3, 2
	s_add_i32 s9, s5, s10
	s_add_i32 s0, s11, s4
	s_lshl_b32 s1, s9, 3
	s_add_i32 s0, s0, s1
	s_add_i32 s0, s0, -8
	s_ashr_i32 s1, s0, 31
	s_lshl_b64 s[0:1], s[0:1], 3
	s_add_u32 s0, s14, s0
	s_addc_u32 s1, s15, s1
	s_load_dword s12, s[0:1], 0x4
	s_add_i32 s6, s9, -2
	s_cmp_lt_i32 s6, s5
	s_cbranch_scc1 .LBB28_4
; %bb.2:
	s_lshl_b32 s6, s8, 5
	s_ashr_i32 s7, s6, 31
	s_lshl_b64 s[6:7], s[6:7], 2
	s_add_u32 s6, s14, s6
	s_addc_u32 s7, s15, s7
	s_add_i32 s2, s2, 1
	s_load_dword s0, s[0:1], 0x0
	s_mul_i32 s1, s10, s2
	s_lshl_b32 s3, s3, 8
	s_lshl_b32 s10, s4, 6
	;; [unrolled: 1-line block ×3, first 2 shown]
	s_add_i32 s3, s10, s3
	s_lshl_b32 s1, s1, 3
	s_add_i32 s3, s3, s2
	s_add_i32 s1, s4, s1
	s_lshl_b32 s2, s8, 3
	s_add_i32 s1, s1, s2
	v_or_b32_e32 v0, s3, v0
	s_add_i32 s1, s1, s11
	s_add_i32 s9, s9, -1
	v_add_u32_e32 v0, 0xfffffc00, v0
	s_add_i32 s2, s1, -16
	s_waitcnt lgkmcnt(0)
	v_mov_b32_e32 v7, s0
	v_mov_b32_e32 v4, s12
	s_mov_b32 s4, 0x3fb8aa3b
	s_mov_b32 s8, 0xc2ce8ed0
	;; [unrolled: 1-line block ×3, first 2 shown]
	v_mov_b32_e32 v6, 0x7f800000
	s_mov_b32 s11, 0xc1a00000
.LBB28_3:                               ; =>This Inner Loop Header: Depth=1
	v_ashrrev_i32_e32 v1, 31, v0
	v_lshl_add_u64 v[8:9], v[0:1], 2, s[6:7]
	global_load_dword v9, v[8:9], off
	s_ashr_i32 s3, s2, 31
	s_lshl_b64 s[0:1], s[2:3], 3
	s_add_u32 s0, s14, s0
	s_addc_u32 s1, s15, s1
	s_load_dwordx2 s[0:1], s[0:1], 0x0
	v_max_f32_e32 v1, v7, v7
	s_add_i32 s9, s9, -1
	s_add_i32 s2, s2, -8
	v_add_u32_e32 v0, 0xfffffe00, v0
	s_waitcnt lgkmcnt(0)
	v_max_f32_e64 v10, s0, s0
	v_max_f32_e32 v1, v1, v10
	v_sub_f32_e32 v11, s0, v1
	v_sub_f32_e32 v10, v7, v1
	v_mul_f32_e32 v12, 0x3fb8aa3b, v11
	v_mov_b32_e32 v7, v1
	v_mul_f32_e32 v1, 0x3fb8aa3b, v10
	v_fma_f32 v15, v11, s4, -v12
	v_rndne_f32_e32 v16, v12
	v_fma_f32 v13, v10, s4, -v1
	v_rndne_f32_e32 v14, v1
	v_fmac_f32_e32 v15, 0x32a5705f, v11
	v_sub_f32_e32 v12, v12, v16
	v_fmac_f32_e32 v13, 0x32a5705f, v10
	v_sub_f32_e32 v1, v1, v14
	v_add_f32_e32 v12, v12, v15
	v_cvt_i32_f32_e32 v16, v16
	v_add_f32_e32 v1, v1, v13
	v_exp_f32_e32 v12, v12
	v_cvt_i32_f32_e32 v14, v14
	v_exp_f32_e32 v1, v1
	v_cmp_ngt_f32_e32 vcc, s8, v11
	v_ldexp_f32 v12, v12, v16
	v_mov_b32_e32 v8, s1
	v_ldexp_f32 v1, v1, v14
	v_cmp_ngt_f32_e64 s[0:1], s8, v10
	v_cndmask_b32_e32 v12, 0, v12, vcc
	v_cmp_nlt_f32_e32 vcc, s10, v11
	v_cndmask_b32_e64 v1, 0, v1, s[0:1]
	v_cmp_nlt_f32_e64 s[0:1], s10, v10
	v_cndmask_b32_e32 v12, v6, v12, vcc
	v_cmp_le_f32_e32 vcc, s11, v11
	v_cndmask_b32_e64 v1, v6, v1, s[0:1]
	v_cmp_le_f32_e64 s[0:1], s11, v10
	v_cndmask_b32_e32 v12, 0, v12, vcc
	s_cmp_le_i32 s9, s5
	v_cndmask_b32_e64 v10, 0, v1, s[0:1]
	s_waitcnt vmcnt(0)
	v_pk_mul_f32 v[8:9], v[8:9], v[12:13] op_sel_hi:[1,0]
	s_nop 0
	v_pk_fma_f32 v[4:5], v[4:5], v[10:11], v[8:9] op_sel_hi:[1,0,1]
	s_cbranch_scc0 .LBB28_3
	s_branch .LBB28_5
.LBB28_4:
	s_waitcnt lgkmcnt(0)
	v_mov_b32_e32 v4, s12
.LBB28_5:
	s_waitcnt vmcnt(0)
	v_div_scale_f32 v0, s[0:1], v4, v4, v5
	v_rcp_f32_e32 v1, v0
	v_div_scale_f32 v6, vcc, v5, v4, v5
	v_fma_f32 v7, -v0, v1, 1.0
	v_fmac_f32_e32 v1, v7, v1
	v_mul_f32_e32 v7, v6, v1
	v_fma_f32 v8, -v0, v7, v6
	v_fmac_f32_e32 v7, v8, v1
	v_fma_f32 v0, -v0, v7, v6
	v_div_fmas_f32 v0, v0, v1, v7
	v_div_fixup_f32 v0, v0, v4, v5
	global_store_dword v[2:3], v0, off
.LBB28_6:
	s_endpgm
	.section	.rodata,"a",@progbits
	.p2align	6, 0x0
	.amdhsa_kernel _ZL33flash_attn_stream_k_fixup_uniformILi64ELi2ELi4EEvPfPK15HIP_vector_typeIfLj2EEiiiiiiS1_IjLj3EES5_S5_
		.amdhsa_group_segment_fixed_size 0
		.amdhsa_private_segment_fixed_size 0
		.amdhsa_kernarg_size 76
		.amdhsa_user_sgpr_count 2
		.amdhsa_user_sgpr_dispatch_ptr 0
		.amdhsa_user_sgpr_queue_ptr 0
		.amdhsa_user_sgpr_kernarg_segment_ptr 1
		.amdhsa_user_sgpr_dispatch_id 0
		.amdhsa_user_sgpr_kernarg_preload_length 0
		.amdhsa_user_sgpr_kernarg_preload_offset 0
		.amdhsa_user_sgpr_private_segment_size 0
		.amdhsa_uses_dynamic_stack 0
		.amdhsa_enable_private_segment 0
		.amdhsa_system_sgpr_workgroup_id_x 1
		.amdhsa_system_sgpr_workgroup_id_y 1
		.amdhsa_system_sgpr_workgroup_id_z 1
		.amdhsa_system_sgpr_workgroup_info 0
		.amdhsa_system_vgpr_workitem_id 0
		.amdhsa_next_free_vgpr 17
		.amdhsa_next_free_sgpr 24
		.amdhsa_accum_offset 20
		.amdhsa_reserve_vcc 1
		.amdhsa_float_round_mode_32 0
		.amdhsa_float_round_mode_16_64 0
		.amdhsa_float_denorm_mode_32 3
		.amdhsa_float_denorm_mode_16_64 3
		.amdhsa_dx10_clamp 1
		.amdhsa_ieee_mode 1
		.amdhsa_fp16_overflow 0
		.amdhsa_tg_split 0
		.amdhsa_exception_fp_ieee_invalid_op 0
		.amdhsa_exception_fp_denorm_src 0
		.amdhsa_exception_fp_ieee_div_zero 0
		.amdhsa_exception_fp_ieee_overflow 0
		.amdhsa_exception_fp_ieee_underflow 0
		.amdhsa_exception_fp_ieee_inexact 0
		.amdhsa_exception_int_div_zero 0
	.end_amdhsa_kernel
	.section	.text._ZL33flash_attn_stream_k_fixup_uniformILi64ELi2ELi4EEvPfPK15HIP_vector_typeIfLj2EEiiiiiiS1_IjLj3EES5_S5_,"axG",@progbits,_ZL33flash_attn_stream_k_fixup_uniformILi64ELi2ELi4EEvPfPK15HIP_vector_typeIfLj2EEiiiiiiS1_IjLj3EES5_S5_,comdat
.Lfunc_end28:
	.size	_ZL33flash_attn_stream_k_fixup_uniformILi64ELi2ELi4EEvPfPK15HIP_vector_typeIfLj2EEiiiiiiS1_IjLj3EES5_S5_, .Lfunc_end28-_ZL33flash_attn_stream_k_fixup_uniformILi64ELi2ELi4EEvPfPK15HIP_vector_typeIfLj2EEiiiiiiS1_IjLj3EES5_S5_
                                        ; -- End function
	.set _ZL33flash_attn_stream_k_fixup_uniformILi64ELi2ELi4EEvPfPK15HIP_vector_typeIfLj2EEiiiiiiS1_IjLj3EES5_S5_.num_vgpr, 17
	.set _ZL33flash_attn_stream_k_fixup_uniformILi64ELi2ELi4EEvPfPK15HIP_vector_typeIfLj2EEiiiiiiS1_IjLj3EES5_S5_.num_agpr, 0
	.set _ZL33flash_attn_stream_k_fixup_uniformILi64ELi2ELi4EEvPfPK15HIP_vector_typeIfLj2EEiiiiiiS1_IjLj3EES5_S5_.numbered_sgpr, 24
	.set _ZL33flash_attn_stream_k_fixup_uniformILi64ELi2ELi4EEvPfPK15HIP_vector_typeIfLj2EEiiiiiiS1_IjLj3EES5_S5_.num_named_barrier, 0
	.set _ZL33flash_attn_stream_k_fixup_uniformILi64ELi2ELi4EEvPfPK15HIP_vector_typeIfLj2EEiiiiiiS1_IjLj3EES5_S5_.private_seg_size, 0
	.set _ZL33flash_attn_stream_k_fixup_uniformILi64ELi2ELi4EEvPfPK15HIP_vector_typeIfLj2EEiiiiiiS1_IjLj3EES5_S5_.uses_vcc, 1
	.set _ZL33flash_attn_stream_k_fixup_uniformILi64ELi2ELi4EEvPfPK15HIP_vector_typeIfLj2EEiiiiiiS1_IjLj3EES5_S5_.uses_flat_scratch, 0
	.set _ZL33flash_attn_stream_k_fixup_uniformILi64ELi2ELi4EEvPfPK15HIP_vector_typeIfLj2EEiiiiiiS1_IjLj3EES5_S5_.has_dyn_sized_stack, 0
	.set _ZL33flash_attn_stream_k_fixup_uniformILi64ELi2ELi4EEvPfPK15HIP_vector_typeIfLj2EEiiiiiiS1_IjLj3EES5_S5_.has_recursion, 0
	.set _ZL33flash_attn_stream_k_fixup_uniformILi64ELi2ELi4EEvPfPK15HIP_vector_typeIfLj2EEiiiiiiS1_IjLj3EES5_S5_.has_indirect_call, 0
	.section	.AMDGPU.csdata,"",@progbits
; Kernel info:
; codeLenInByte = 836
; TotalNumSgprs: 30
; NumVgprs: 17
; NumAgprs: 0
; TotalNumVgprs: 17
; ScratchSize: 0
; MemoryBound: 0
; FloatMode: 240
; IeeeMode: 1
; LDSByteSize: 0 bytes/workgroup (compile time only)
; SGPRBlocks: 3
; VGPRBlocks: 2
; NumSGPRsForWavesPerEU: 30
; NumVGPRsForWavesPerEU: 17
; AccumOffset: 20
; Occupancy: 8
; WaveLimiterHint : 0
; COMPUTE_PGM_RSRC2:SCRATCH_EN: 0
; COMPUTE_PGM_RSRC2:USER_SGPR: 2
; COMPUTE_PGM_RSRC2:TRAP_HANDLER: 0
; COMPUTE_PGM_RSRC2:TGID_X_EN: 1
; COMPUTE_PGM_RSRC2:TGID_Y_EN: 1
; COMPUTE_PGM_RSRC2:TGID_Z_EN: 1
; COMPUTE_PGM_RSRC2:TIDIG_COMP_CNT: 0
; COMPUTE_PGM_RSRC3_GFX90A:ACCUM_OFFSET: 4
; COMPUTE_PGM_RSRC3_GFX90A:TG_SPLIT: 0
	.section	.text._ZL33flash_attn_stream_k_fixup_generalILi64ELi2ELi4EEvPfPK15HIP_vector_typeIfLj2EEiiiiS1_IjLj3EES5_S5_S5_,"axG",@progbits,_ZL33flash_attn_stream_k_fixup_generalILi64ELi2ELi4EEvPfPK15HIP_vector_typeIfLj2EEiiiiS1_IjLj3EES5_S5_S5_,comdat
	.globl	_ZL33flash_attn_stream_k_fixup_generalILi64ELi2ELi4EEvPfPK15HIP_vector_typeIfLj2EEiiiiS1_IjLj3EES5_S5_S5_ ; -- Begin function _ZL33flash_attn_stream_k_fixup_generalILi64ELi2ELi4EEvPfPK15HIP_vector_typeIfLj2EEiiiiS1_IjLj3EES5_S5_S5_
	.p2align	8
	.type	_ZL33flash_attn_stream_k_fixup_generalILi64ELi2ELi4EEvPfPK15HIP_vector_typeIfLj2EEiiiiS1_IjLj3EES5_S5_S5_,@function
_ZL33flash_attn_stream_k_fixup_generalILi64ELi2ELi4EEvPfPK15HIP_vector_typeIfLj2EEiiiiS1_IjLj3EES5_S5_S5_: ; @_ZL33flash_attn_stream_k_fixup_generalILi64ELi2ELi4EEvPfPK15HIP_vector_typeIfLj2EEiiiiS1_IjLj3EES5_S5_S5_
; %bb.0:
	s_load_dwordx4 s[8:11], s[0:1], 0x10
	s_load_dword s22, s[0:1], 0x50
	s_mov_b32 s12, 0
	s_waitcnt lgkmcnt(0)
	s_mul_hi_i32 s13, s11, s2
	s_cmp_lg_u64 s[12:13], 0
	s_mul_i32 s5, s11, s2
	s_cbranch_scc0 .LBB29_20
; %bb.1:
	s_add_u32 s6, s22, 0
	s_addc_u32 s7, 0, 0
	s_xor_b64 s[6:7], s[6:7], 0
	v_cvt_f32_u32_e32 v1, s6
	v_cvt_f32_u32_e32 v2, s7
	s_sub_u32 s12, 0, s6
	s_subb_u32 s18, 0, s7
	v_fmamk_f32 v1, v2, 0x4f800000, v1
	v_rcp_f32_e32 v1, v1
	s_nop 0
	v_mul_f32_e32 v1, 0x5f7ffffc, v1
	v_mul_f32_e32 v2, 0x2f800000, v1
	v_trunc_f32_e32 v2, v2
	v_fmamk_f32 v1, v2, 0xcf800000, v1
	v_cvt_u32_f32_e32 v2, v2
	v_cvt_u32_f32_e32 v1, v1
	v_readfirstlane_b32 s19, v2
	v_readfirstlane_b32 s14, v1
	s_mul_i32 s15, s12, s19
	s_mul_hi_u32 s21, s12, s14
	s_mul_i32 s20, s18, s14
	s_add_i32 s15, s21, s15
	s_add_i32 s15, s15, s20
	s_mul_i32 s23, s12, s14
	s_mul_i32 s21, s14, s15
	s_mul_hi_u32 s24, s14, s23
	s_mul_hi_u32 s20, s14, s15
	s_add_u32 s21, s24, s21
	s_addc_u32 s20, 0, s20
	s_mul_hi_u32 s25, s19, s23
	s_mul_i32 s23, s19, s23
	s_add_u32 s21, s21, s23
	s_mul_hi_u32 s24, s19, s15
	s_addc_u32 s20, s20, s25
	s_addc_u32 s21, s24, 0
	s_mul_i32 s15, s19, s15
	s_add_u32 s15, s20, s15
	s_addc_u32 s20, 0, s21
	s_add_u32 s21, s14, s15
	s_cselect_b64 s[14:15], -1, 0
	s_cmp_lg_u64 s[14:15], 0
	s_addc_u32 s19, s19, s20
	s_mul_i32 s14, s12, s19
	s_mul_hi_u32 s15, s12, s21
	s_add_i32 s14, s15, s14
	s_mul_i32 s18, s18, s21
	s_add_i32 s14, s14, s18
	s_mul_i32 s12, s12, s21
	s_mul_hi_u32 s18, s19, s12
	s_mul_i32 s20, s19, s12
	s_mul_i32 s24, s21, s14
	s_mul_hi_u32 s12, s21, s12
	s_mul_hi_u32 s23, s21, s14
	s_add_u32 s12, s12, s24
	s_addc_u32 s23, 0, s23
	s_add_u32 s12, s12, s20
	s_mul_hi_u32 s15, s19, s14
	s_addc_u32 s12, s23, s18
	s_addc_u32 s15, s15, 0
	s_mul_i32 s14, s19, s14
	s_add_u32 s12, s12, s14
	s_addc_u32 s18, 0, s15
	s_add_u32 s20, s21, s12
	s_cselect_b64 s[14:15], -1, 0
	s_cmp_lg_u64 s[14:15], 0
	s_addc_u32 s18, s19, s18
	s_ashr_i32 s14, s13, 31
	s_add_u32 s12, s5, s14
	s_mov_b32 s15, s14
	s_addc_u32 s13, s13, s14
	s_xor_b64 s[12:13], s[12:13], s[14:15]
	s_mul_i32 s21, s12, s18
	s_mul_hi_u32 s23, s12, s20
	s_mul_hi_u32 s19, s12, s18
	s_add_u32 s21, s23, s21
	s_addc_u32 s19, 0, s19
	s_mul_hi_u32 s24, s13, s20
	s_mul_i32 s20, s13, s20
	s_add_u32 s20, s21, s20
	s_mul_hi_u32 s23, s13, s18
	s_addc_u32 s19, s19, s24
	s_addc_u32 s20, s23, 0
	s_mul_i32 s18, s13, s18
	s_add_u32 s23, s19, s18
	s_addc_u32 s24, 0, s20
	s_mul_i32 s18, s6, s24
	s_mul_hi_u32 s19, s6, s23
	s_add_i32 s18, s19, s18
	s_mul_i32 s19, s7, s23
	s_add_i32 s25, s18, s19
	s_sub_i32 s20, s13, s25
	s_mul_i32 s18, s6, s23
	s_sub_u32 s12, s12, s18
	s_cselect_b64 s[18:19], -1, 0
	s_cmp_lg_u64 s[18:19], 0
	s_subb_u32 s26, s20, s7
	s_sub_u32 s27, s12, s6
	s_cselect_b64 s[20:21], -1, 0
	s_cmp_lg_u64 s[20:21], 0
	s_subb_u32 s20, s26, 0
	s_cmp_ge_u32 s20, s7
	s_cselect_b32 s21, -1, 0
	s_cmp_ge_u32 s27, s6
	s_cselect_b32 s26, -1, 0
	s_cmp_eq_u32 s20, s7
	s_cselect_b32 s20, s26, s21
	s_add_u32 s21, s23, 1
	s_addc_u32 s26, s24, 0
	s_add_u32 s27, s23, 2
	s_addc_u32 s28, s24, 0
	s_cmp_lg_u32 s20, 0
	s_cselect_b32 s20, s27, s21
	s_cselect_b32 s21, s28, s26
	s_cmp_lg_u64 s[18:19], 0
	s_subb_u32 s13, s13, s25
	s_cmp_ge_u32 s13, s7
	s_cselect_b32 s18, -1, 0
	s_cmp_ge_u32 s12, s6
	s_cselect_b32 s6, -1, 0
	s_cmp_eq_u32 s13, s7
	s_cselect_b32 s6, s6, s18
	s_cmp_lg_u32 s6, 0
	s_cselect_b32 s7, s21, s24
	s_cselect_b32 s6, s20, s23
	s_xor_b64 s[12:13], s[14:15], 0
	s_xor_b64 s[6:7], s[6:7], s[12:13]
	s_sub_u32 s6, s6, s12
	s_load_dwordx4 s[12:15], s[0:1], 0x44
	s_cbranch_execnz .LBB29_3
.LBB29_2:
	v_cvt_f32_u32_e32 v1, s22
	s_sub_i32 s6, 0, s22
	v_rcp_iflag_f32_e32 v1, v1
	s_nop 0
	v_mul_f32_e32 v1, 0x4f7ffffe, v1
	v_cvt_u32_f32_e32 v1, v1
	s_nop 0
	v_readfirstlane_b32 s7, v1
	s_mul_i32 s6, s6, s7
	s_mul_hi_u32 s6, s7, s6
	s_add_i32 s7, s7, s6
	s_mul_hi_u32 s6, s5, s7
	s_waitcnt lgkmcnt(0)
	s_mul_i32 s15, s6, s22
	s_sub_i32 s5, s5, s15
	s_add_i32 s7, s6, 1
	s_sub_i32 s15, s5, s22
	s_cmp_ge_u32 s5, s22
	s_cselect_b32 s6, s7, s6
	s_cselect_b32 s5, s15, s5
	s_add_i32 s7, s6, 1
	s_cmp_ge_u32 s5, s22
	s_cselect_b32 s6, s7, s6
.LBB29_3:
	s_add_i32 s5, s2, 1
	s_mul_hi_i32 s21, s11, s5
	s_mov_b32 s20, 0
	s_cmp_lg_u64 s[20:21], 0
	s_mul_i32 s5, s11, s5
	s_cbranch_scc0 .LBB29_21
; %bb.4:
	s_add_u32 s16, s22, 0
	s_addc_u32 s17, 0, 0
	s_xor_b64 s[18:19], s[16:17], 0
	v_cvt_f32_u32_e32 v1, s18
	v_cvt_f32_u32_e32 v2, s19
	s_sub_u32 s7, 0, s18
	s_waitcnt lgkmcnt(0)
	s_subb_u32 s15, 0, s19
	v_fmamk_f32 v1, v2, 0x4f800000, v1
	v_rcp_f32_e32 v1, v1
	s_nop 0
	v_mul_f32_e32 v1, 0x5f7ffffc, v1
	v_mul_f32_e32 v2, 0x2f800000, v1
	v_trunc_f32_e32 v2, v2
	v_fmamk_f32 v1, v2, 0xcf800000, v1
	v_cvt_u32_f32_e32 v2, v2
	v_cvt_u32_f32_e32 v1, v1
	v_readfirstlane_b32 s20, v2
	v_readfirstlane_b32 s23, v1
	s_mul_i32 s24, s7, s20
	s_mul_hi_u32 s26, s7, s23
	s_mul_i32 s25, s15, s23
	s_add_i32 s24, s26, s24
	s_add_i32 s24, s24, s25
	s_mul_i32 s27, s7, s23
	s_mul_i32 s26, s23, s24
	s_mul_hi_u32 s28, s23, s27
	s_mul_hi_u32 s25, s23, s24
	s_add_u32 s26, s28, s26
	s_addc_u32 s25, 0, s25
	s_mul_hi_u32 s29, s20, s27
	s_mul_i32 s27, s20, s27
	s_add_u32 s26, s26, s27
	s_mul_hi_u32 s28, s20, s24
	s_addc_u32 s25, s25, s29
	s_addc_u32 s26, s28, 0
	s_mul_i32 s24, s20, s24
	s_add_u32 s24, s25, s24
	s_addc_u32 s26, 0, s26
	s_add_u32 s23, s23, s24
	s_cselect_b64 s[24:25], -1, 0
	s_cmp_lg_u64 s[24:25], 0
	s_addc_u32 s20, s20, s26
	s_mul_i32 s24, s7, s20
	s_mul_hi_u32 s25, s7, s23
	s_add_i32 s24, s25, s24
	s_mul_i32 s15, s15, s23
	s_add_i32 s24, s24, s15
	s_mul_i32 s7, s7, s23
	s_mul_hi_u32 s25, s20, s7
	s_mul_i32 s26, s20, s7
	s_mul_i32 s28, s23, s24
	s_mul_hi_u32 s7, s23, s7
	s_mul_hi_u32 s27, s23, s24
	s_add_u32 s7, s7, s28
	s_addc_u32 s27, 0, s27
	s_add_u32 s7, s7, s26
	s_mul_hi_u32 s15, s20, s24
	s_addc_u32 s7, s27, s25
	s_addc_u32 s15, s15, 0
	s_mul_i32 s24, s20, s24
	s_add_u32 s7, s7, s24
	s_addc_u32 s15, 0, s15
	s_add_u32 s7, s23, s7
	s_cselect_b64 s[24:25], -1, 0
	s_cmp_lg_u64 s[24:25], 0
	s_addc_u32 s15, s20, s15
	s_ashr_i32 s24, s21, 31
	s_add_u32 s20, s5, s24
	s_mov_b32 s25, s24
	s_addc_u32 s21, s21, s24
	s_xor_b64 s[20:21], s[20:21], s[24:25]
	s_mul_i32 s26, s20, s15
	s_mul_hi_u32 s27, s20, s7
	s_mul_hi_u32 s23, s20, s15
	s_add_u32 s26, s27, s26
	s_addc_u32 s23, 0, s23
	s_mul_hi_u32 s28, s21, s7
	s_mul_i32 s7, s21, s7
	s_add_u32 s7, s26, s7
	s_mul_hi_u32 s27, s21, s15
	s_addc_u32 s7, s23, s28
	s_addc_u32 s23, s27, 0
	s_mul_i32 s15, s21, s15
	s_add_u32 s7, s7, s15
	s_addc_u32 s15, 0, s23
	s_mul_i32 s23, s18, s15
	s_mul_hi_u32 s26, s18, s7
	s_add_i32 s23, s26, s23
	s_mul_i32 s26, s19, s7
	s_add_i32 s23, s23, s26
	s_sub_i32 s28, s21, s23
	s_mul_i32 s26, s18, s7
	s_sub_u32 s20, s20, s26
	s_cselect_b64 s[26:27], -1, 0
	s_cmp_lg_u64 s[26:27], 0
	s_subb_u32 s30, s28, s19
	s_sub_u32 s31, s20, s18
	s_cselect_b64 s[28:29], -1, 0
	s_cmp_lg_u64 s[28:29], 0
	s_subb_u32 s28, s30, 0
	s_cmp_ge_u32 s28, s19
	s_cselect_b32 s29, -1, 0
	s_cmp_ge_u32 s31, s18
	s_cselect_b32 s30, -1, 0
	s_cmp_eq_u32 s28, s19
	s_cselect_b32 s28, s30, s29
	s_add_u32 s29, s7, 1
	s_addc_u32 s30, s15, 0
	s_add_u32 s31, s7, 2
	s_addc_u32 s33, s15, 0
	s_cmp_lg_u32 s28, 0
	s_cselect_b32 s28, s31, s29
	s_cselect_b32 s29, s33, s30
	s_cmp_lg_u64 s[26:27], 0
	s_subb_u32 s21, s21, s23
	s_cmp_ge_u32 s21, s19
	s_cselect_b32 s23, -1, 0
	s_cmp_ge_u32 s20, s18
	s_cselect_b32 s18, -1, 0
	s_cmp_eq_u32 s21, s19
	s_cselect_b32 s18, s18, s23
	s_cmp_lg_u32 s18, 0
	s_cselect_b32 s19, s29, s15
	s_cselect_b32 s18, s28, s7
	s_xor_b64 s[20:21], s[24:25], 0
	s_xor_b64 s[18:19], s[18:19], s[20:21]
	s_sub_u32 s18, s18, s20
	s_cbranch_execnz .LBB29_6
.LBB29_5:
	v_cvt_f32_u32_e32 v1, s22
	s_sub_i32 s7, 0, s22
	v_rcp_iflag_f32_e32 v1, v1
	s_nop 0
	v_mul_f32_e32 v1, 0x4f7ffffe, v1
	v_cvt_u32_f32_e32 v1, v1
	s_waitcnt lgkmcnt(0)
	v_readfirstlane_b32 s15, v1
	s_mul_i32 s7, s7, s15
	s_mul_hi_u32 s7, s15, s7
	s_add_i32 s15, s15, s7
	s_mul_hi_u32 s7, s5, s15
	s_mul_i32 s16, s7, s22
	s_sub_i32 s5, s5, s16
	s_add_i32 s15, s7, 1
	s_sub_i32 s16, s5, s22
	s_cmp_ge_u32 s5, s22
	s_cselect_b32 s7, s15, s7
	s_cselect_b32 s5, s16, s5
	s_add_i32 s15, s7, 1
	s_cmp_ge_u32 s5, s22
	s_cselect_b32 s18, s15, s7
.LBB29_6:
	s_cmp_eq_u32 s6, s18
	s_waitcnt lgkmcnt(0)
	s_mul_hi_u32 s5, s6, s12
	s_cselect_b64 s[16:17], -1, 0
	s_add_i32 s5, s5, s6
	s_lshr_b32 s7, s5, s13
	s_mul_i32 s5, s7, s14
	s_cmp_eq_u32 s5, s6
	s_mul_hi_u32 s5, s18, s12
	s_cselect_b64 s[20:21], -1, 0
	s_add_i32 s5, s5, s18
	s_lshr_b32 s5, s5, s13
	s_cmp_eq_u32 s7, s5
	s_mul_i32 s5, s5, s14
	s_cselect_b64 s[24:25], -1, 0
	s_cmp_lg_u32 s5, s18
	s_cselect_b64 s[18:19], -1, 0
	s_and_b64 s[18:19], s[24:25], s[18:19]
	s_or_b64 s[16:17], s[16:17], s[20:21]
	s_or_b64 s[16:17], s[16:17], s[18:19]
	s_and_b64 vcc, exec, s[16:17]
	s_cbranch_vccnz .LBB29_23
; %bb.7:
	s_load_dwordx8 s[24:31], s[0:1], 0x20
	s_load_dword s15, s[0:1], 0x40
	s_waitcnt lgkmcnt(0)
	s_mul_hi_u32 s5, s6, s24
	s_add_i32 s5, s5, s6
	s_lshr_b32 s5, s5, s25
	s_mul_i32 s16, s5, s26
	s_sub_i32 s16, s6, s16
	s_mul_hi_u32 s17, s16, s27
	s_add_i32 s17, s16, s17
	s_lshr_b32 s20, s17, s28
	s_mul_i32 s17, s20, s29
	s_sub_i32 s16, s16, s17
	;; [unrolled: 5-line block ×3, first 2 shown]
	s_mul_hi_u32 s16, s15, s12
	s_add_i32 s15, s15, s16
	s_lshr_b32 s23, s15, s13
	s_lshl_b32 s15, s23, 1
	s_lshl_b32 s21, s17, 2
	s_add_i32 s15, s15, s3
	s_cmp_lt_i32 s15, s8
	s_cselect_b64 s[16:17], -1, 0
	s_add_i32 s15, s21, s4
	s_cmp_lt_i32 s15, s10
	s_cselect_b64 s[18:19], -1, 0
	s_and_b64 s[16:17], s[16:17], s[18:19]
	s_andn2_b64 vcc, exec, s[16:17]
	s_cbranch_vccnz .LBB29_23
; %bb.8:
	s_load_dwordx4 s[16:19], s[0:1], 0x0
	s_mov_b32 s0, 0
	s_lshl_b32 s15, s3, 2
	s_lshl_b32 s24, s22, 5
	s_mov_b32 s25, s0
	s_add_i32 s15, s15, s4
	s_waitcnt lgkmcnt(0)
	v_mov_b32_e32 v2, s16
	v_mov_b32_e32 v3, s17
	s_lshl_b64 s[16:17], s[24:25], 2
	s_add_u32 s16, s18, s16
	s_mul_i32 s1, s5, s8
	s_addc_u32 s17, s19, s17
	s_add_i32 s1, s1, s3
	s_mul_i32 s1, s1, s9
	s_mul_i32 s20, s20, s10
	s_add_i32 s1, s1, s4
	s_add_i32 s1, s1, s20
	s_mul_i32 s5, s9, s23
	s_add_i32 s1, s1, s21
	s_lshl_b32 s5, s5, 7
	s_lshl_b32 s1, s1, 6
	s_add_i32 s5, s5, s1
	v_or_b32_e32 v4, s5, v0
	v_ashrrev_i32_e32 v5, 31, v4
	v_lshl_add_u64 v[2:3], v[4:5], 2, v[2:3]
	global_load_dword v1, v[2:3], off
	v_cvt_f32_u32_e32 v4, s22
	s_lshl_b32 s1, s2, 3
	s_add_i32 s4, s15, s1
	s_ashr_i32 s5, s4, 31
	s_lshl_b64 s[4:5], s[4:5], 3
	v_rcp_iflag_f32_e32 v4, v4
	s_add_u32 s4, s18, s4
	s_addc_u32 s5, s19, s5
	s_load_dwordx2 s[4:5], s[4:5], 0x0
	v_mul_f32_e32 v4, 0x4f7ffffe, v4
	v_cvt_u32_f32_e32 v7, v4
	s_add_i32 s24, s2, -1
	v_lshl_or_b32 v6, s15, 6, v0
	s_waitcnt lgkmcnt(0)
	v_mov_b32_e32 v0, s5
	v_mov_b32_e32 v9, s4
	s_mov_b32 s10, 0x3fb8aa3b
	s_mov_b32 s20, 0xc2ce8ed0
	s_mov_b32 s21, 0x42b17218
	s_mov_b32 s23, 0xc1a00000
	v_mov_b32_e32 v8, 0x7f800000
	s_mul_hi_i32 s1, s24, s11
	s_cmp_lg_u64 s[0:1], 0
	s_mul_i32 s8, s24, s11
	s_cbranch_scc0 .LBB29_19
.LBB29_9:
	s_add_u32 s2, s22, 0
	s_addc_u32 s3, 0, 0
	s_xor_b64 s[2:3], s[2:3], 0
	v_cvt_f32_u32_e32 v4, s2
	v_cvt_f32_u32_e32 v5, s3
	s_sub_u32 s9, 0, s2
	s_subb_u32 s25, 0, s3
	v_fmac_f32_e32 v4, 0x4f800000, v5
	v_rcp_f32_e32 v4, v4
	s_nop 0
	v_mul_f32_e32 v4, 0x5f7ffffc, v4
	v_mul_f32_e32 v5, 0x2f800000, v4
	v_trunc_f32_e32 v5, v5
	v_fmac_f32_e32 v4, 0xcf800000, v5
	v_cvt_u32_f32_e32 v5, v5
	v_cvt_u32_f32_e32 v4, v4
	v_readfirstlane_b32 s26, v5
	v_readfirstlane_b32 s4, v4
	s_mul_i32 s5, s9, s26
	s_mul_hi_u32 s28, s9, s4
	s_mul_i32 s27, s25, s4
	s_add_i32 s5, s28, s5
	s_mul_i32 s29, s9, s4
	s_add_i32 s5, s5, s27
	s_mul_i32 s28, s4, s5
	s_mul_hi_u32 s30, s4, s29
	s_mul_hi_u32 s27, s4, s5
	s_add_u32 s28, s30, s28
	s_addc_u32 s27, 0, s27
	s_mul_hi_u32 s31, s26, s29
	s_mul_i32 s29, s26, s29
	s_add_u32 s28, s28, s29
	s_mul_hi_u32 s30, s26, s5
	s_addc_u32 s27, s27, s31
	s_addc_u32 s28, s30, 0
	s_mul_i32 s5, s26, s5
	s_add_u32 s5, s27, s5
	s_addc_u32 s27, 0, s28
	s_add_u32 s28, s4, s5
	s_cselect_b64 s[4:5], -1, 0
	s_cmp_lg_u64 s[4:5], 0
	s_addc_u32 s26, s26, s27
	s_mul_i32 s4, s9, s26
	s_mul_hi_u32 s5, s9, s28
	s_add_i32 s4, s5, s4
	s_mul_i32 s25, s25, s28
	s_add_i32 s4, s4, s25
	s_mul_i32 s9, s9, s28
	s_mul_hi_u32 s25, s26, s9
	s_mul_i32 s27, s26, s9
	s_mul_i32 s30, s28, s4
	s_mul_hi_u32 s9, s28, s9
	s_mul_hi_u32 s29, s28, s4
	s_add_u32 s9, s9, s30
	s_addc_u32 s29, 0, s29
	s_add_u32 s9, s9, s27
	s_mul_hi_u32 s5, s26, s4
	s_addc_u32 s9, s29, s25
	s_addc_u32 s5, s5, 0
	s_mul_i32 s4, s26, s4
	s_add_u32 s4, s9, s4
	s_addc_u32 s9, 0, s5
	s_add_u32 s25, s28, s4
	s_cselect_b64 s[4:5], -1, 0
	s_cmp_lg_u64 s[4:5], 0
	s_addc_u32 s9, s26, s9
	s_ashr_i32 s4, s1, 31
	s_add_u32 s26, s8, s4
	s_mov_b32 s5, s4
	s_addc_u32 s27, s1, s4
	s_xor_b64 s[26:27], s[26:27], s[4:5]
	s_mul_i32 s28, s26, s9
	s_mul_hi_u32 s29, s26, s25
	s_mul_hi_u32 s1, s26, s9
	s_add_u32 s28, s29, s28
	s_addc_u32 s1, 0, s1
	s_mul_hi_u32 s30, s27, s25
	s_mul_i32 s25, s27, s25
	s_add_u32 s25, s28, s25
	s_mul_hi_u32 s29, s27, s9
	s_addc_u32 s1, s1, s30
	s_addc_u32 s25, s29, 0
	s_mul_i32 s9, s27, s9
	s_add_u32 s1, s1, s9
	s_addc_u32 s9, 0, s25
	s_mul_i32 s25, s2, s9
	s_mul_hi_u32 s28, s2, s1
	s_add_i32 s25, s28, s25
	s_mul_i32 s28, s3, s1
	s_add_i32 s25, s25, s28
	s_sub_i32 s30, s27, s25
	s_mul_i32 s28, s2, s1
	s_sub_u32 s26, s26, s28
	s_cselect_b64 s[28:29], -1, 0
	s_cmp_lg_u64 s[28:29], 0
	s_subb_u32 s33, s30, s3
	s_sub_u32 s34, s26, s2
	s_cselect_b64 s[30:31], -1, 0
	s_cmp_lg_u64 s[30:31], 0
	s_subb_u32 s30, s33, 0
	s_cmp_ge_u32 s30, s3
	s_cselect_b32 s31, -1, 0
	s_cmp_ge_u32 s34, s2
	s_cselect_b32 s33, -1, 0
	s_cmp_eq_u32 s30, s3
	s_cselect_b32 s30, s33, s31
	s_add_u32 s31, s1, 1
	s_addc_u32 s33, s9, 0
	s_add_u32 s34, s1, 2
	s_addc_u32 s35, s9, 0
	s_cmp_lg_u32 s30, 0
	s_cselect_b32 s30, s34, s31
	s_cselect_b32 s31, s35, s33
	s_cmp_lg_u64 s[28:29], 0
	s_subb_u32 s25, s27, s25
	s_cmp_ge_u32 s25, s3
	s_cselect_b32 s27, -1, 0
	s_cmp_ge_u32 s26, s2
	s_cselect_b32 s2, -1, 0
	s_cmp_eq_u32 s25, s3
	s_cselect_b32 s2, s2, s27
	s_cmp_lg_u32 s2, 0
	s_cselect_b32 s3, s31, s9
	s_cselect_b32 s2, s30, s1
	s_xor_b64 s[4:5], s[4:5], 0
	s_xor_b64 s[2:3], s[2:3], s[4:5]
	s_sub_u32 s4, s2, s4
	s_cbranch_execnz .LBB29_11
.LBB29_10:
	s_sub_i32 s1, 0, s22
	v_readfirstlane_b32 s2, v7
	s_mul_i32 s1, s1, s2
	s_mul_hi_u32 s1, s2, s1
	s_add_i32 s2, s2, s1
	s_mul_hi_u32 s1, s8, s2
	s_mul_i32 s3, s1, s22
	s_sub_i32 s3, s8, s3
	s_add_i32 s2, s1, 1
	s_sub_i32 s4, s3, s22
	s_cmp_ge_u32 s3, s22
	s_cselect_b32 s1, s2, s1
	s_cselect_b32 s3, s4, s3
	s_add_i32 s2, s1, 1
	s_cmp_ge_u32 s3, s22
	s_cselect_b32 s4, s2, s1
.LBB29_11:
	s_cmp_lg_u32 s6, s4
	s_cbranch_scc0 .LBB29_15
; %bb.12:
	s_add_i32 s1, s24, s22
	s_lshl_b32 s1, s1, 3
	s_add_i32 s2, s1, s15
	s_mov_b32 s3, s0
	s_lshl_b64 s[2:3], s[2:3], 3
	s_add_u32 s8, s18, s2
	s_mul_hi_u32 s1, s4, s12
	s_addc_u32 s9, s19, s3
	s_add_i32 s1, s1, s4
	s_lshr_b32 s1, s1, s13
	s_mul_i32 s2, s1, s14
	s_cmp_eq_u32 s2, s4
	s_cselect_b64 s[2:3], -1, 0
	s_cmp_lt_u32 s1, s7
	s_cselect_b64 s[26:27], -1, 0
	s_or_b64 s[26:27], s[26:27], s[2:3]
	s_mov_b64 s[2:3], -1
	s_and_b64 vcc, exec, s[26:27]
	s_mov_b32 s1, s24
	s_mov_b32 s25, s6
	s_cbranch_vccnz .LBB29_14
; %bb.13:
	s_add_i32 s1, s24, -1
	s_mov_b64 s[2:3], 0
	s_mov_b32 s25, s4
.LBB29_14:
	v_lshl_add_u32 v4, s24, 9, v6
	v_ashrrev_i32_e32 v5, 31, v4
	v_lshl_add_u64 v[4:5], v[4:5], 2, s[16:17]
	global_load_dword v5, v[4:5], off
	s_load_dwordx2 s[4:5], s[8:9], 0x0
	v_max_f32_e32 v4, v9, v9
	s_waitcnt lgkmcnt(0)
	v_max_f32_e64 v10, s4, s4
	v_max_f32_e32 v10, v4, v10
	v_sub_f32_e32 v11, v9, v10
	v_sub_f32_e32 v13, s4, v10
	v_mul_f32_e32 v4, 0x3fb8aa3b, v11
	v_mul_f32_e32 v12, 0x3fb8aa3b, v13
	v_fma_f32 v14, v11, s10, -v4
	v_rndne_f32_e32 v15, v4
	v_fma_f32 v16, v13, s10, -v12
	v_rndne_f32_e32 v17, v12
	v_fmac_f32_e32 v14, 0x32a5705f, v11
	v_sub_f32_e32 v4, v4, v15
	v_fmac_f32_e32 v16, 0x32a5705f, v13
	v_sub_f32_e32 v12, v12, v17
	v_add_f32_e32 v4, v4, v14
	v_cvt_i32_f32_e32 v15, v15
	v_add_f32_e32 v12, v12, v16
	v_exp_f32_e32 v14, v4
	v_cvt_i32_f32_e32 v17, v17
	v_exp_f32_e32 v12, v12
	v_cmp_ngt_f32_e32 vcc, s20, v11
	v_ldexp_f32 v14, v14, v15
	v_mov_b32_e32 v4, s5
	v_ldexp_f32 v12, v12, v17
	v_cndmask_b32_e32 v14, 0, v14, vcc
	v_cmp_ngt_f32_e32 vcc, s20, v13
	s_nop 1
	v_cndmask_b32_e32 v12, 0, v12, vcc
	v_cmp_nlt_f32_e32 vcc, s21, v11
	s_nop 1
	v_cndmask_b32_e32 v14, v8, v14, vcc
	v_cmp_nlt_f32_e32 vcc, s21, v13
	s_nop 1
	v_cndmask_b32_e32 v15, v8, v12, vcc
	v_cmp_le_f32_e32 vcc, s23, v11
	s_nop 1
	v_cndmask_b32_e32 v12, 0, v14, vcc
	v_cmp_le_f32_e32 vcc, s23, v13
	s_nop 1
	v_cndmask_b32_e32 v14, 0, v15, vcc
	s_waitcnt vmcnt(0)
	v_pk_mul_f32 v[4:5], v[4:5], v[14:15] op_sel_hi:[1,0]
	s_nop 0
	v_pk_fma_f32 v[4:5], v[0:1], v[12:13], v[4:5] op_sel_hi:[1,0,1]
	s_cbranch_execz .LBB29_16
	s_branch .LBB29_17
.LBB29_15:
                                        ; implicit-def: $vgpr4_vgpr5
                                        ; implicit-def: $sgpr2_sgpr3
                                        ; implicit-def: $vgpr10
                                        ; implicit-def: $sgpr1
                                        ; implicit-def: $sgpr25
.LBB29_16:
	s_add_i32 s1, s24, -1
	s_mov_b64 s[2:3], 0
	s_mov_b32 s25, s6
	v_mov_b32_e32 v10, v9
	s_waitcnt vmcnt(0)
	v_mov_b64_e32 v[4:5], v[0:1]
.LBB29_17:
	s_andn2_b64 vcc, exec, s[2:3]
	s_cbranch_vccz .LBB29_22
; %bb.18:
	s_mov_b32 s6, s25
	s_mov_b32 s24, s1
	v_mov_b32_e32 v9, v10
	s_waitcnt vmcnt(0)
	v_mov_b64_e32 v[0:1], v[4:5]
	s_mul_hi_i32 s1, s24, s11
	s_cmp_lg_u64 s[0:1], 0
	s_mul_i32 s8, s24, s11
	s_cbranch_scc1 .LBB29_9
.LBB29_19:
                                        ; implicit-def: $sgpr4_sgpr5
	s_branch .LBB29_10
.LBB29_20:
                                        ; implicit-def: $sgpr6_sgpr7
	s_load_dwordx4 s[12:15], s[0:1], 0x44
	s_branch .LBB29_2
.LBB29_21:
                                        ; implicit-def: $sgpr18_sgpr19
	s_branch .LBB29_5
.LBB29_22:
	v_div_scale_f32 v0, s[0:1], v4, v4, v5
	s_waitcnt vmcnt(0)
	v_rcp_f32_e32 v1, v0
	v_div_scale_f32 v6, vcc, v5, v4, v5
	v_fma_f32 v7, -v0, v1, 1.0
	v_fmac_f32_e32 v1, v7, v1
	v_mul_f32_e32 v7, v6, v1
	v_fma_f32 v8, -v0, v7, v6
	v_fmac_f32_e32 v7, v8, v1
	v_fma_f32 v0, -v0, v7, v6
	v_div_fmas_f32 v0, v0, v1, v7
	v_div_fixup_f32 v0, v0, v4, v5
	global_store_dword v[2:3], v0, off
.LBB29_23:
	s_endpgm
	.section	.rodata,"a",@progbits
	.p2align	6, 0x0
	.amdhsa_kernel _ZL33flash_attn_stream_k_fixup_generalILi64ELi2ELi4EEvPfPK15HIP_vector_typeIfLj2EEiiiiS1_IjLj3EES5_S5_S5_
		.amdhsa_group_segment_fixed_size 0
		.amdhsa_private_segment_fixed_size 0
		.amdhsa_kernarg_size 336
		.amdhsa_user_sgpr_count 2
		.amdhsa_user_sgpr_dispatch_ptr 0
		.amdhsa_user_sgpr_queue_ptr 0
		.amdhsa_user_sgpr_kernarg_segment_ptr 1
		.amdhsa_user_sgpr_dispatch_id 0
		.amdhsa_user_sgpr_kernarg_preload_length 0
		.amdhsa_user_sgpr_kernarg_preload_offset 0
		.amdhsa_user_sgpr_private_segment_size 0
		.amdhsa_uses_dynamic_stack 0
		.amdhsa_enable_private_segment 0
		.amdhsa_system_sgpr_workgroup_id_x 1
		.amdhsa_system_sgpr_workgroup_id_y 1
		.amdhsa_system_sgpr_workgroup_id_z 1
		.amdhsa_system_sgpr_workgroup_info 0
		.amdhsa_system_vgpr_workitem_id 0
		.amdhsa_next_free_vgpr 18
		.amdhsa_next_free_sgpr 36
		.amdhsa_accum_offset 20
		.amdhsa_reserve_vcc 1
		.amdhsa_float_round_mode_32 0
		.amdhsa_float_round_mode_16_64 0
		.amdhsa_float_denorm_mode_32 3
		.amdhsa_float_denorm_mode_16_64 3
		.amdhsa_dx10_clamp 1
		.amdhsa_ieee_mode 1
		.amdhsa_fp16_overflow 0
		.amdhsa_tg_split 0
		.amdhsa_exception_fp_ieee_invalid_op 0
		.amdhsa_exception_fp_denorm_src 0
		.amdhsa_exception_fp_ieee_div_zero 0
		.amdhsa_exception_fp_ieee_overflow 0
		.amdhsa_exception_fp_ieee_underflow 0
		.amdhsa_exception_fp_ieee_inexact 0
		.amdhsa_exception_int_div_zero 0
	.end_amdhsa_kernel
	.section	.text._ZL33flash_attn_stream_k_fixup_generalILi64ELi2ELi4EEvPfPK15HIP_vector_typeIfLj2EEiiiiS1_IjLj3EES5_S5_S5_,"axG",@progbits,_ZL33flash_attn_stream_k_fixup_generalILi64ELi2ELi4EEvPfPK15HIP_vector_typeIfLj2EEiiiiS1_IjLj3EES5_S5_S5_,comdat
.Lfunc_end29:
	.size	_ZL33flash_attn_stream_k_fixup_generalILi64ELi2ELi4EEvPfPK15HIP_vector_typeIfLj2EEiiiiS1_IjLj3EES5_S5_S5_, .Lfunc_end29-_ZL33flash_attn_stream_k_fixup_generalILi64ELi2ELi4EEvPfPK15HIP_vector_typeIfLj2EEiiiiS1_IjLj3EES5_S5_S5_
                                        ; -- End function
	.set _ZL33flash_attn_stream_k_fixup_generalILi64ELi2ELi4EEvPfPK15HIP_vector_typeIfLj2EEiiiiS1_IjLj3EES5_S5_S5_.num_vgpr, 18
	.set _ZL33flash_attn_stream_k_fixup_generalILi64ELi2ELi4EEvPfPK15HIP_vector_typeIfLj2EEiiiiS1_IjLj3EES5_S5_S5_.num_agpr, 0
	.set _ZL33flash_attn_stream_k_fixup_generalILi64ELi2ELi4EEvPfPK15HIP_vector_typeIfLj2EEiiiiS1_IjLj3EES5_S5_S5_.numbered_sgpr, 36
	.set _ZL33flash_attn_stream_k_fixup_generalILi64ELi2ELi4EEvPfPK15HIP_vector_typeIfLj2EEiiiiS1_IjLj3EES5_S5_S5_.num_named_barrier, 0
	.set _ZL33flash_attn_stream_k_fixup_generalILi64ELi2ELi4EEvPfPK15HIP_vector_typeIfLj2EEiiiiS1_IjLj3EES5_S5_S5_.private_seg_size, 0
	.set _ZL33flash_attn_stream_k_fixup_generalILi64ELi2ELi4EEvPfPK15HIP_vector_typeIfLj2EEiiiiS1_IjLj3EES5_S5_S5_.uses_vcc, 1
	.set _ZL33flash_attn_stream_k_fixup_generalILi64ELi2ELi4EEvPfPK15HIP_vector_typeIfLj2EEiiiiS1_IjLj3EES5_S5_S5_.uses_flat_scratch, 0
	.set _ZL33flash_attn_stream_k_fixup_generalILi64ELi2ELi4EEvPfPK15HIP_vector_typeIfLj2EEiiiiS1_IjLj3EES5_S5_S5_.has_dyn_sized_stack, 0
	.set _ZL33flash_attn_stream_k_fixup_generalILi64ELi2ELi4EEvPfPK15HIP_vector_typeIfLj2EEiiiiS1_IjLj3EES5_S5_S5_.has_recursion, 0
	.set _ZL33flash_attn_stream_k_fixup_generalILi64ELi2ELi4EEvPfPK15HIP_vector_typeIfLj2EEiiiiS1_IjLj3EES5_S5_S5_.has_indirect_call, 0
	.section	.AMDGPU.csdata,"",@progbits
; Kernel info:
; codeLenInByte = 2940
; TotalNumSgprs: 42
; NumVgprs: 18
; NumAgprs: 0
; TotalNumVgprs: 18
; ScratchSize: 0
; MemoryBound: 0
; FloatMode: 240
; IeeeMode: 1
; LDSByteSize: 0 bytes/workgroup (compile time only)
; SGPRBlocks: 5
; VGPRBlocks: 2
; NumSGPRsForWavesPerEU: 42
; NumVGPRsForWavesPerEU: 18
; AccumOffset: 20
; Occupancy: 8
; WaveLimiterHint : 0
; COMPUTE_PGM_RSRC2:SCRATCH_EN: 0
; COMPUTE_PGM_RSRC2:USER_SGPR: 2
; COMPUTE_PGM_RSRC2:TRAP_HANDLER: 0
; COMPUTE_PGM_RSRC2:TGID_X_EN: 1
; COMPUTE_PGM_RSRC2:TGID_Y_EN: 1
; COMPUTE_PGM_RSRC2:TGID_Z_EN: 1
; COMPUTE_PGM_RSRC2:TIDIG_COMP_CNT: 0
; COMPUTE_PGM_RSRC3_GFX90A:ACCUM_OFFSET: 4
; COMPUTE_PGM_RSRC3_GFX90A:TG_SPLIT: 0
	.section	.text._ZL15flash_attn_tileILi64ELi64ELi1ELi4ELb0EEvPKcS1_S1_S1_S1_PKiPfP15HIP_vector_typeIfLj2EEffffjfiS5_IjLj3EEiiiiiiiiiiiliiliiiiil,"axG",@progbits,_ZL15flash_attn_tileILi64ELi64ELi1ELi4ELb0EEvPKcS1_S1_S1_S1_PKiPfP15HIP_vector_typeIfLj2EEffffjfiS5_IjLj3EEiiiiiiiiiiiliiliiiiil,comdat
	.globl	_ZL15flash_attn_tileILi64ELi64ELi1ELi4ELb0EEvPKcS1_S1_S1_S1_PKiPfP15HIP_vector_typeIfLj2EEffffjfiS5_IjLj3EEiiiiiiiiiiiliiliiiiil ; -- Begin function _ZL15flash_attn_tileILi64ELi64ELi1ELi4ELb0EEvPKcS1_S1_S1_S1_PKiPfP15HIP_vector_typeIfLj2EEffffjfiS5_IjLj3EEiiiiiiiiiiiliiliiiiil
	.p2align	8
	.type	_ZL15flash_attn_tileILi64ELi64ELi1ELi4ELb0EEvPKcS1_S1_S1_S1_PKiPfP15HIP_vector_typeIfLj2EEffffjfiS5_IjLj3EEiiiiiiiiiiiliiliiiiil,@function
_ZL15flash_attn_tileILi64ELi64ELi1ELi4ELb0EEvPKcS1_S1_S1_S1_PKiPfP15HIP_vector_typeIfLj2EEffffjfiS5_IjLj3EEiiiiiiiiiiiliiliiiiil: ; @_ZL15flash_attn_tileILi64ELi64ELi1ELi4ELb0EEvPKcS1_S1_S1_S1_PKiPfP15HIP_vector_typeIfLj2EEffffjfiS5_IjLj3EEiiiiiiiiiiiliiliiiiil
; %bb.0:
	s_load_dwordx4 s[20:23], s[0:1], 0x5c
	s_load_dwordx2 s[28:29], s[0:1], 0x80
	s_load_dwordx2 s[34:35], s[0:1], 0xb8
	s_mov_b64 s[30:31], 0
	s_waitcnt lgkmcnt(0)
	s_ashr_i32 s5, s23, 31
	s_lshr_b32 s5, s5, 30
	s_add_i32 s5, s23, s5
	s_ashr_i32 s5, s5, 2
	v_cvt_f32_u32_e32 v1, s5
	s_sub_i32 s6, 0, s5
	v_rcp_iflag_f32_e32 v1, v1
	s_nop 0
	v_mul_f32_e32 v1, 0x4f7ffffe, v1
	v_cvt_u32_f32_e32 v1, v1
	s_nop 0
	v_readfirstlane_b32 s7, v1
	s_mul_i32 s6, s6, s7
	s_mul_hi_u32 s6, s7, s6
	s_add_i32 s7, s7, s6
	s_mul_hi_u32 s6, s4, s7
	s_mul_i32 s7, s6, s5
	s_sub_i32 s7, s4, s7
	s_add_i32 s8, s6, 1
	s_sub_i32 s9, s7, s5
	s_cmp_ge_u32 s7, s5
	s_cselect_b32 s6, s8, s6
	s_cselect_b32 s7, s9, s7
	s_add_i32 s8, s6, 1
	s_cmp_ge_u32 s7, s5
	s_cselect_b32 s33, s8, s6
	s_abs_i32 s5, s29
	v_cvt_f32_u32_e32 v1, s5
	s_lshl_b32 s4, s4, 2
	s_mul_i32 s8, s33, s23
	s_xor_b32 s6, s23, s29
	v_rcp_iflag_f32_e32 v1, v1
	s_sub_i32 s9, 0, s5
	s_sub_i32 s29, s4, s8
	s_abs_i32 s7, s23
	v_mul_f32_e32 v1, 0x4f7ffffe, v1
	v_cvt_u32_f32_e32 v1, v1
	s_ashr_i32 s6, s6, 31
	v_readfirstlane_b32 s4, v1
	s_mul_i32 s9, s9, s4
	s_mul_hi_u32 s8, s4, s9
	s_add_i32 s4, s4, s8
	s_mul_hi_u32 s4, s7, s4
	s_mul_i32 s8, s4, s5
	s_sub_i32 s7, s7, s8
	s_add_i32 s9, s4, 1
	s_sub_i32 s8, s7, s5
	s_cmp_ge_u32 s7, s5
	s_cselect_b32 s4, s9, s4
	s_cselect_b32 s7, s8, s7
	s_add_i32 s8, s4, 1
	s_cmp_ge_u32 s7, s5
	s_cselect_b32 s4, s8, s4
	s_xor_b32 s4, s4, s6
	s_sub_i32 s37, s4, s6
	s_abs_i32 s36, s37
	v_cvt_f32_u32_e32 v1, s36
	s_load_dwordx16 s[4:19], s[0:1], 0x0
	v_rcp_iflag_f32_e32 v1, v1
	s_waitcnt lgkmcnt(0)
	s_cmp_eq_u64 s[10:11], 0
	v_mul_f32_e32 v1, 0x4f7ffffe, v1
	v_cvt_u32_f32_e32 v1, v1
	s_nop 0
	v_readfirstlane_b32 s38, v1
	s_cbranch_scc1 .LBB30_2
; %bb.1:
	s_abs_i32 s26, s34
	v_cvt_f32_u32_e32 v1, s26
	s_sub_i32 s31, 0, s26
	s_abs_i32 s30, s33
	s_ashr_i32 s27, s33, 31
	v_rcp_iflag_f32_e32 v1, v1
	s_load_dwordx2 s[24:25], s[0:1], 0xc8
	v_mul_f32_e32 v1, 0x4f7ffffe, v1
	v_cvt_u32_f32_e32 v1, v1
	s_nop 0
	v_readfirstlane_b32 s34, v1
	s_mul_i32 s31, s31, s34
	s_mul_hi_u32 s31, s34, s31
	s_add_i32 s34, s34, s31
	s_mul_hi_u32 s31, s30, s34
	s_mul_i32 s31, s31, s26
	s_sub_i32 s30, s30, s31
	s_sub_i32 s31, s30, s26
	s_cmp_ge_u32 s30, s26
	s_cselect_b32 s30, s31, s30
	s_sub_i32 s31, s30, s26
	s_cmp_ge_u32 s30, s26
	s_cselect_b32 s26, s31, s30
	s_xor_b32 s26, s26, s27
	s_sub_i32 s26, s26, s27
	s_ashr_i32 s27, s26, 31
	s_waitcnt lgkmcnt(0)
	s_mul_hi_u32 s30, s24, s26
	s_mul_i32 s27, s24, s27
	s_mul_i32 s25, s25, s26
	s_add_i32 s27, s30, s27
	s_add_i32 s27, s27, s25
	s_mul_i32 s24, s24, s26
	s_add_u32 s30, s10, s24
	s_addc_u32 s31, s11, s27
.LBB30_2:
	s_load_dwordx4 s[24:27], s[0:1], 0x70
	v_bfe_u32 v24, v0, 10, 2
	v_lshrrev_b32_e32 v1, 10, v0
	v_bfe_u32 v1, v1, 2, 8
	s_waitcnt lgkmcnt(0)
	s_mul_i32 s10, s33, s26
	s_ashr_i32 s26, s10, 31
	s_mul_i32 s11, s29, s25
	s_add_u32 s4, s4, s10
	s_addc_u32 s5, s5, s26
	s_ashr_i32 s10, s11, 31
	s_add_u32 s4, s4, s11
	s_addc_u32 s5, s5, s10
	s_ashr_i32 s11, s25, 31
	s_mov_b32 s10, s25
	s_lshr_b64 s[26:27], s[10:11], 2
	s_lshr_b32 s25, s11, 2
	v_mad_u64_u32 v[4:5], s[10:11], s26, v24, 0
	v_mov_b32_e32 v2, v5
	v_mad_u64_u32 v[2:3], s[10:11], s25, v24, v[2:3]
	v_add_u32_e32 v3, s2, v1
	v_mul_hi_u32 v1, s20, v3
	v_add_u32_e32 v1, v3, v1
	v_lshrrev_b32_e32 v1, s21, v1
	v_mul_lo_u32 v1, v1, s22
	s_ashr_i32 s25, s24, 31
	v_sub_u32_e32 v12, v3, v1
	s_lshr_b64 s[10:11], s[24:25], 2
	v_mad_u64_u32 v[6:7], s[10:11], s10, v12, 0
	v_mov_b32_e32 v5, v2
	v_mov_b32_e32 v2, v7
	s_lshr_b32 s10, s25, 2
	v_mad_u64_u32 v[8:9], s[10:11], s10, v12, v[2:3]
	v_mov_b32_e32 v7, v8
	v_and_b32_e32 v2, 0x3ff, v0
	v_lshl_add_u64 v[4:5], v[4:5], 2, s[4:5]
	v_lshl_add_u64 v[4:5], v[6:7], 2, v[4:5]
	v_lshlrev_b32_e32 v6, 3, v2
	v_mov_b32_e32 v7, 0
	v_lshl_add_u64 v[4:5], v[4:5], 0, v[6:7]
	global_load_dwordx2 v[4:5], v[4:5], off
	s_load_dword s4, s[0:1], 0x40
	v_bfe_u32 v1, v0, 10, 10
	v_lshlrev_b32_e32 v0, 7, v1
	v_add_u32_e32 v25, 0x2600, v0
	v_lshl_add_u32 v6, v2, 2, v25
	s_cmp_eq_u64 s[14:15], 0
	s_waitcnt vmcnt(0) lgkmcnt(0)
	v_fma_mixlo_f16 v5, s4, v5, 0
	v_fma_mixlo_f16 v4, s4, v4, 0
	v_lshlrev_b32_e32 v5, 16, v5
	v_or_b32_sdwa v4, v5, v4 dst_sel:DWORD dst_unused:UNUSED_PAD src0_sel:DWORD src1_sel:WORD_0
	ds_write_b32 v6, v4
	s_waitcnt lgkmcnt(0)
	s_barrier
	s_cbranch_scc1 .LBB30_4
; %bb.3:
	s_load_dword s4, s[0:1], 0xd0
	s_mov_b32 s5, 0
	s_waitcnt lgkmcnt(0)
	s_mul_i32 s4, s4, s33
	s_add_i32 s4, s4, s2
	s_lshl_b64 s[4:5], s[4:5], 2
	s_add_u32 s4, s14, s4
	s_addc_u32 s5, s15, s5
	s_load_dword s28, s[4:5], 0x0
.LBB30_4:
	s_lshl_b32 s2, s3, 6
	s_waitcnt lgkmcnt(0)
	s_cmp_lt_i32 s2, s28
	v_mbcnt_lo_u32_b32 v23, -1, 0
	s_cbranch_scc1 .LBB30_7
; %bb.5:
	v_mbcnt_hi_u32_b32 v13, -1, v23
	v_and_b32_e32 v4, 0x60, v13
	v_add_u32_e32 v26, 32, v4
	v_xor_b32_e32 v32, 16, v13
	v_xor_b32_e32 v30, 8, v13
	;; [unrolled: 1-line block ×5, first 2 shown]
	s_cbranch_execz .LBB30_8
; %bb.6:
	v_mov_b32_e32 v23, 0
	v_mov_b32_e32 v22, 0xfeffffff
	;; [unrolled: 1-line block ×3, first 2 shown]
	s_branch .LBB30_10
.LBB30_7:
                                        ; implicit-def: $vgpr13
                                        ; implicit-def: $vgpr26
                                        ; implicit-def: $vgpr32
                                        ; implicit-def: $vgpr30
                                        ; implicit-def: $vgpr29
                                        ; implicit-def: $vgpr27
                                        ; implicit-def: $vgpr28
.LBB30_8:
	s_sub_i32 s4, 0, s36
	s_mul_i32 s4, s4, s38
	s_mul_hi_u32 s4, s38, s4
	s_add_i32 s38, s38, s4
	s_load_dwordx2 s[4:5], s[0:1], 0x8c
	s_load_dwordx4 s[24:27], s[0:1], 0x98
	s_abs_i32 s14, s29
	s_mul_hi_u32 s15, s14, s38
	s_ashr_i32 s34, s29, 31
	s_waitcnt lgkmcnt(0)
	s_ashr_i32 s11, s4, 2
	s_ashr_i32 s10, s26, 2
	;; [unrolled: 1-line block ×4, first 2 shown]
	s_mul_hi_u32 s35, s24, s33
	s_mul_i32 s38, s24, s26
	s_add_i32 s35, s35, s38
	s_mul_i32 s25, s25, s33
	s_ashr_i32 s37, s37, 31
	s_add_i32 s35, s35, s25
	s_mul_i32 s24, s24, s33
	s_add_u32 s6, s6, s24
	s_mul_i32 s25, s15, s36
	s_addc_u32 s7, s7, s35
	s_sub_i32 s14, s14, s25
	s_xor_b32 s24, s34, s37
	s_add_i32 s25, s15, 1
	s_sub_i32 s34, s14, s36
	s_cmp_ge_u32 s14, s36
	s_cselect_b32 s15, s25, s15
	s_cselect_b32 s14, s34, s14
	s_add_i32 s25, s15, 1
	s_cmp_ge_u32 s14, s36
	s_load_dwordx2 s[20:21], s[0:1], 0xa8
	s_cselect_b32 s14, s25, s15
	s_xor_b32 s14, s14, s24
	s_sub_i32 s24, s14, s24
	s_mul_i32 s5, s24, s5
	s_ashr_i32 s15, s5, 31
	s_add_u32 s14, s6, s5
	s_waitcnt lgkmcnt(0)
	s_mul_hi_u32 s5, s20, s33
	s_mul_i32 s6, s20, s26
	s_addc_u32 s15, s7, s15
	s_add_i32 s5, s5, s6
	s_mul_i32 s6, s21, s33
	s_add_i32 s5, s5, s6
	s_mul_i32 s6, s20, s33
	s_add_u32 s6, s8, s6
	s_mul_i32 s24, s24, s27
	s_addc_u32 s5, s9, s5
	s_ashr_i32 s7, s24, 31
	v_lshlrev_b32_e32 v33, 2, v2
	s_add_u32 s20, s6, s24
	v_lshrrev_b32_e32 v4, 3, v2
	v_and_b32_e32 v26, 28, v33
	s_addc_u32 s21, s5, s7
	v_lshl_add_u32 v14, v1, 2, v4
	v_lshlrev_b32_e32 v15, 2, v26
	s_movk_i32 s5, 0x90
	v_mad_u32_u24 v34, v14, s5, v15
	v_mul_lo_u32 v4, s11, v14
	s_lshl_b32 s5, s11, 4
	v_add_u32_e32 v6, s5, v4
	v_add_u32_e32 v8, s5, v6
	;; [unrolled: 1-line block ×3, first 2 shown]
	v_mad_u64_u32 v[12:13], s[4:5], v12, s4, v[2:3]
	v_lshl_or_b32 v41, v14, 7, v15
	v_mul_lo_u32 v14, s10, v14
	s_lshl_b32 s4, s10, 4
	v_add_u32_e32 v16, s4, v14
	v_add_u32_e32 v18, s4, v16
	v_mbcnt_hi_u32_b32 v13, -1, v23
	v_mov_b32_e32 v1, 0
	v_add_u32_e32 v39, 0x2400, v0
	v_add_u32_e32 v20, s4, v18
	s_add_u32 s8, s0, 0xd0
	v_and_b32_e32 v23, 0x60, v13
	v_ashrrev_i32_e32 v5, 31, v4
	v_add_u32_e32 v35, 0x900, v34
	v_ashrrev_i32_e32 v7, 31, v6
	v_add_u32_e32 v36, 0x1200, v34
	;; [unrolled: 2-line block ×3, first 2 shown]
	v_ashrrev_i32_e32 v11, 31, v10
	v_mul_u32_u24_e32 v38, 0x90, v2
	v_lshl_add_u32 v40, v2, 1, v39
	v_ashrrev_i32_e32 v15, 31, v14
	v_add_u32_e32 v42, 0x800, v41
	v_ashrrev_i32_e32 v17, 31, v16
	v_add_u32_e32 v43, 0x1000, v41
	v_ashrrev_i32_e32 v19, 31, v18
	v_add_u32_e32 v44, 0x1800, v41
	v_ashrrev_i32_e32 v21, 31, v20
	s_addc_u32 s9, s1, 0
	v_mov_b32_e32 v22, 0xfeffffff
	v_lshlrev_b32_e32 v0, 2, v26
	v_add_u32_e32 v26, 32, v23
	v_xor_b32_e32 v32, 16, v13
	v_xor_b32_e32 v30, 8, v13
	;; [unrolled: 1-line block ×5, first 2 shown]
	s_mov_b32 s24, 0x3fb8aa3b
	s_mov_b32 s25, 0xc2ce8ed0
	;; [unrolled: 1-line block ×3, first 2 shown]
	v_mov_b32_e32 v45, 0x7f800000
	s_mov_b32 s27, 0x10001
	v_add_u32_e32 v46, 0x400, v33
	v_add_u32_e32 v47, 0x800, v33
	;; [unrolled: 1-line block ×7, first 2 shown]
	v_mov_b32_e32 v31, v1
	v_mov_b32_e32 v23, v1
.LBB30_9:                               ; =>This Inner Loop Header: Depth=1
	v_cmp_lt_i32_e32 vcc, v32, v26
	s_mul_hi_i32 s5, s2, s11
	s_mul_i32 s4, s2, s11
	v_cndmask_b32_e32 v56, v13, v32, vcc
	v_cmp_lt_i32_e32 vcc, v30, v26
	s_lshl_b64 s[4:5], s[4:5], 2
	s_add_u32 s4, s14, s4
	v_cndmask_b32_e32 v57, v13, v30, vcc
	v_cmp_lt_i32_e32 vcc, v29, v26
	s_addc_u32 s5, s15, s5
	v_lshlrev_b32_e32 v81, 2, v56
	v_cndmask_b32_e32 v58, v13, v29, vcc
	v_cmp_lt_i32_e32 vcc, v27, v26
	v_lshlrev_b32_e32 v82, 2, v57
	v_lshlrev_b32_e32 v83, 2, v58
	v_cndmask_b32_e32 v59, v13, v27, vcc
	v_cmp_lt_i32_e32 vcc, v28, v26
	v_lshlrev_b32_e32 v84, 2, v59
	v_lshl_add_u64 v[56:57], v[4:5], 2, s[4:5]
	v_cndmask_b32_e32 v60, v13, v28, vcc
	v_lshl_add_u64 v[58:59], v[6:7], 2, s[4:5]
	v_lshlrev_b32_e32 v85, 2, v60
	v_lshl_add_u64 v[60:61], v[8:9], 2, s[4:5]
	v_lshl_add_u64 v[62:63], v[10:11], 2, s[4:5]
	;; [unrolled: 1-line block ×6, first 2 shown]
	global_load_dwordx4 v[56:59], v[68:69], off
	global_load_dwordx4 v[60:63], v[70:71], off
	;; [unrolled: 1-line block ×3, first 2 shown]
                                        ; kill: killed $vgpr70_vgpr71
                                        ; kill: killed $vgpr68_vgpr69
                                        ; kill: killed $vgpr72_vgpr73
	s_nop 0
	global_load_dwordx4 v[68:71], v[74:75], off
	v_mov_b32_e32 v53, 0
	v_mov_b32_e32 v54, 0
	;; [unrolled: 1-line block ×3, first 2 shown]
	v_add_u32_e32 v22, s2, v12
	v_mov_b32_e32 v80, v23
	v_ashrrev_i32_e32 v23, 31, v22
	v_lshl_add_u64 v[22:23], v[22:23], 1, s[30:31]
	s_mul_hi_i32 s7, s2, s10
	s_mul_i32 s6, s2, s10
	s_lshl_b64 s[6:7], s[6:7], 2
	s_add_u32 s4, s20, s6
	s_addc_u32 s5, s21, s7
	v_lshl_add_u64 v[72:73], v[14:15], 2, s[4:5]
	v_lshl_add_u64 v[74:75], v[16:17], 2, s[4:5]
	;; [unrolled: 1-line block ×8, first 2 shown]
	s_waitcnt vmcnt(3)
	ds_write_b128 v34, v[56:59]
	s_waitcnt vmcnt(2)
	ds_write_b128 v35, v[60:63]
	;; [unrolled: 2-line block ×4, first 2 shown]
	s_waitcnt lgkmcnt(0)
	s_barrier
	ds_read_b128 v[56:59], v38
	ds_read_b128 v[60:63], v25
	ds_read_b128 v[64:67], v38 offset:4608
	s_waitcnt lgkmcnt(1)
	;;#ASMSTART
	v_dot2_f32_f16 v53, v56, v60, v53
	;;#ASMEND
	s_nop 0
	;;#ASMSTART
	v_dot2_f32_f16 v53, v57, v61, v53
	;;#ASMEND
	s_nop 0
	;;#ASMSTART
	v_dot2_f32_f16 v53, v58, v62, v53
	;;#ASMEND
	s_nop 0
	;;#ASMSTART
	v_dot2_f32_f16 v53, v59, v63, v53
	;;#ASMEND
	s_waitcnt lgkmcnt(0)
	;;#ASMSTART
	v_dot2_f32_f16 v54, v64, v60, v54
	;;#ASMEND
	s_nop 0
	;;#ASMSTART
	v_dot2_f32_f16 v54, v65, v61, v54
	;;#ASMEND
	s_nop 0
	;;#ASMSTART
	v_dot2_f32_f16 v54, v66, v62, v54
	;;#ASMEND
	s_nop 0
	;;#ASMSTART
	v_dot2_f32_f16 v54, v67, v63, v54
	;;#ASMEND
	ds_read_b128 v[56:59], v38 offset:16
	ds_read_b128 v[60:63], v25 offset:16
	ds_read_b128 v[64:67], v38 offset:4624
	s_waitcnt lgkmcnt(1)
	;;#ASMSTART
	v_dot2_f32_f16 v53, v56, v60, v53
	;;#ASMEND
	s_nop 0
	;;#ASMSTART
	v_dot2_f32_f16 v53, v57, v61, v53
	;;#ASMEND
	s_nop 0
	;;#ASMSTART
	v_dot2_f32_f16 v53, v58, v62, v53
	;;#ASMEND
	s_nop 0
	;;#ASMSTART
	v_dot2_f32_f16 v53, v59, v63, v53
	;;#ASMEND
	s_waitcnt lgkmcnt(0)
	;;#ASMSTART
	v_dot2_f32_f16 v54, v64, v60, v54
	;;#ASMEND
	s_nop 0
	;;#ASMSTART
	v_dot2_f32_f16 v54, v65, v61, v54
	;;#ASMEND
	s_nop 0
	;;#ASMSTART
	v_dot2_f32_f16 v54, v66, v62, v54
	;;#ASMEND
	s_nop 0
	;;#ASMSTART
	v_dot2_f32_f16 v54, v67, v63, v54
	;;#ASMEND
	ds_read_b128 v[56:59], v38 offset:32
	ds_read_b128 v[60:63], v25 offset:32
	;; [unrolled: 35-line block ×7, first 2 shown]
	ds_read_b128 v[64:67], v38 offset:4720
	s_waitcnt lgkmcnt(1)
	;;#ASMSTART
	v_dot2_f32_f16 v53, v56, v60, v53
	;;#ASMEND
	s_nop 0
	;;#ASMSTART
	v_dot2_f32_f16 v53, v57, v61, v53
	;;#ASMEND
	s_nop 0
	;; [unrolled: 4-line block ×3, first 2 shown]
	;;#ASMSTART
	v_dot2_f32_f16 v53, v59, v63, v53
	;;#ASMEND
	s_waitcnt lgkmcnt(0)
	;;#ASMSTART
	v_dot2_f32_f16 v54, v64, v60, v54
	;;#ASMEND
	s_nop 0
	;;#ASMSTART
	v_dot2_f32_f16 v54, v65, v61, v54
	;;#ASMEND
	s_nop 0
	;; [unrolled: 4-line block ×3, first 2 shown]
	;;#ASMSTART
	v_dot2_f32_f16 v54, v67, v63, v54
	;;#ASMEND
	global_load_ushort v86, v[22:23], off
	s_nop 0
	global_load_ushort v22, v[22:23], off offset:64
	s_barrier
	global_load_dwordx4 v[56:59], v[72:73], off
	global_load_dwordx4 v[60:63], v[74:75], off
	;; [unrolled: 1-line block ×3, first 2 shown]
                                        ; kill: killed $vgpr74_vgpr75
                                        ; kill: killed $vgpr76_vgpr77
                                        ; kill: killed $vgpr72_vgpr73
	global_load_dwordx4 v[68:71], v[78:79], off
	s_waitcnt vmcnt(5)
	v_cvt_f32_f16_e32 v23, v86
	s_waitcnt vmcnt(4)
	v_cvt_f32_f16_e32 v22, v22
	v_add_f32_e32 v23, v53, v23
	v_add_f32_e32 v53, v54, v22
	;; [unrolled: 1-line block ×4, first 2 shown]
	v_max3_f32 v22, v55, v22, v54
	ds_bpermute_b32 v54, v81, v22
	s_waitcnt lgkmcnt(0)
	v_max_f32_e32 v54, v54, v54
	v_max_f32_e32 v22, v22, v54
	ds_bpermute_b32 v54, v82, v22
	s_waitcnt lgkmcnt(0)
	v_max_f32_e32 v54, v54, v54
	v_max_f32_e32 v22, v22, v54
	;; [unrolled: 4-line block ×5, first 2 shown]
	v_sub_f32_e32 v23, v23, v22
	v_sub_f32_e32 v53, v53, v22
	;; [unrolled: 1-line block ×3, first 2 shown]
	v_mul_f32_e32 v55, 0x3fb8aa3b, v23
	v_mul_f32_e32 v72, 0x3fb8aa3b, v53
	;; [unrolled: 1-line block ×3, first 2 shown]
	v_fma_f32 v74, v23, s24, -v55
	v_rndne_f32_e32 v75, v55
	v_fma_f32 v76, v53, s24, -v72
	v_rndne_f32_e32 v77, v72
	;; [unrolled: 2-line block ×3, first 2 shown]
	v_fmac_f32_e32 v74, 0x32a5705f, v23
	v_sub_f32_e32 v55, v55, v75
	v_fmac_f32_e32 v76, 0x32a5705f, v53
	v_sub_f32_e32 v72, v72, v77
	;; [unrolled: 2-line block ×3, first 2 shown]
	v_add_f32_e32 v55, v55, v74
	v_add_f32_e32 v72, v72, v76
	v_add_f32_e32 v73, v73, v78
	v_cvt_i32_f32_e32 v75, v75
	v_cvt_i32_f32_e32 v77, v77
	;; [unrolled: 1-line block ×3, first 2 shown]
	v_exp_f32_e32 v55, v55
	v_exp_f32_e32 v72, v72
	;; [unrolled: 1-line block ×3, first 2 shown]
	v_cmp_ngt_f32_e32 vcc, s25, v23
	v_ldexp_f32 v55, v55, v75
	v_ldexp_f32 v72, v72, v77
	;; [unrolled: 1-line block ×3, first 2 shown]
	v_cmp_ngt_f32_e64 s[4:5], s25, v54
	v_cmp_ngt_f32_e64 s[6:7], s25, v53
	s_nop 1
	v_cndmask_b32_e64 v72, 0, v72, s[6:7]
	v_cmp_nlt_f32_e64 s[6:7], s26, v53
	v_cndmask_b32_e32 v53, 0, v55, vcc
	v_cndmask_b32_e64 v55, 0, v73, s[4:5]
	v_cmp_nlt_f32_e32 vcc, s26, v54
	v_cmp_nlt_f32_e64 s[4:5], s26, v23
	s_nop 0
	v_cndmask_b32_e32 v54, v45, v55, vcc
	v_cndmask_b32_e64 v23, v45, v53, s[4:5]
	v_cndmask_b32_e64 v53, v45, v72, s[6:7]
	v_cvt_f16_f32_e32 v55, v23
	v_cvt_f16_f32_e32 v86, v54
	;; [unrolled: 1-line block ×3, first 2 shown]
	v_add_f32_e32 v23, v23, v53
	v_fmac_f32_e32 v23, v80, v54
	ds_write_b16 v40, v55
	ds_write_b16 v40, v72 offset:64
	s_waitcnt vmcnt(3)
	ds_write_b128 v41, v[56:59]
	s_waitcnt vmcnt(2)
	ds_write_b128 v42, v[60:63]
	;; [unrolled: 2-line block ×4, first 2 shown]
	s_waitcnt lgkmcnt(0)
	s_barrier
	ds_read_b128 v[54:57], v39
	ds_read_b128 v[58:61], v39 offset:16
	ds_read_b128 v[62:65], v39 offset:32
	;; [unrolled: 1-line block ×7, first 2 shown]
	v_mul_u32_u24_e32 v53, 0x10001, v86
	ds_read2_b32 v[86:87], v33 offset1:32
	ds_read2_b32 v[88:89], v33 offset0:64 offset1:96
	s_waitcnt lgkmcnt(9)
	v_mul_u32_u24_sdwa v90, v54, s27 dst_sel:DWORD dst_unused:UNUSED_PAD src0_sel:WORD_0 src1_sel:DWORD
	v_mul_u32_u24_sdwa v91, v54, s27 dst_sel:DWORD dst_unused:UNUSED_PAD src0_sel:WORD_1 src1_sel:DWORD
	v_mul_u32_u24_sdwa v92, v55, s27 dst_sel:DWORD dst_unused:UNUSED_PAD src0_sel:WORD_0 src1_sel:DWORD
	v_mul_u32_u24_sdwa v93, v55, s27 dst_sel:DWORD dst_unused:UNUSED_PAD src0_sel:WORD_1 src1_sel:DWORD
	;; [unrolled: 2-line block ×3, first 2 shown]
	ds_read2_b32 v[54:55], v33 offset0:128 offset1:160
	s_waitcnt lgkmcnt(2)
	v_pk_mul_f16 v56, v86, v90
	v_mul_u32_u24_sdwa v96, v57, s27 dst_sel:DWORD dst_unused:UNUSED_PAD src0_sel:WORD_0 src1_sel:DWORD
	v_pk_fma_f16 v31, v31, v53, v56
	v_mul_u32_u24_sdwa v97, v57, s27 dst_sel:DWORD dst_unused:UNUSED_PAD src0_sel:WORD_1 src1_sel:DWORD
	ds_read2_b32 v[56:57], v33 offset0:192 offset1:224
	v_pk_fma_f16 v31, v87, v91, v31
	v_mul_u32_u24_sdwa v98, v58, s27 dst_sel:DWORD dst_unused:UNUSED_PAD src0_sel:WORD_0 src1_sel:DWORD
	s_waitcnt lgkmcnt(2)
	v_pk_fma_f16 v31, v88, v92, v31
	v_mul_u32_u24_sdwa v99, v58, s27 dst_sel:DWORD dst_unused:UNUSED_PAD src0_sel:WORD_1 src1_sel:DWORD
	v_pk_fma_f16 v31, v89, v93, v31
	v_mul_u32_u24_sdwa v100, v59, s27 dst_sel:DWORD dst_unused:UNUSED_PAD src0_sel:WORD_0 src1_sel:DWORD
	v_mul_u32_u24_sdwa v101, v59, s27 dst_sel:DWORD dst_unused:UNUSED_PAD src0_sel:WORD_1 src1_sel:DWORD
	v_mul_u32_u24_sdwa v102, v60, s27 dst_sel:DWORD dst_unused:UNUSED_PAD src0_sel:WORD_0 src1_sel:DWORD
	v_mul_u32_u24_sdwa v103, v60, s27 dst_sel:DWORD dst_unused:UNUSED_PAD src0_sel:WORD_1 src1_sel:DWORD
	;; [unrolled: 2-line block ×3, first 2 shown]
	ds_read2_b32 v[58:59], v46 offset1:32
	ds_read2_b32 v[60:61], v46 offset0:64 offset1:96
	s_waitcnt lgkmcnt(3)
	v_pk_fma_f16 v31, v54, v94, v31
	v_mul_u32_u24_sdwa v106, v62, s27 dst_sel:DWORD dst_unused:UNUSED_PAD src0_sel:WORD_0 src1_sel:DWORD
	v_pk_fma_f16 v31, v55, v95, v31
	v_mul_u32_u24_sdwa v107, v62, s27 dst_sel:DWORD dst_unused:UNUSED_PAD src0_sel:WORD_1 src1_sel:DWORD
	s_waitcnt lgkmcnt(2)
	v_pk_fma_f16 v31, v56, v96, v31
	v_mul_u32_u24_sdwa v108, v63, s27 dst_sel:DWORD dst_unused:UNUSED_PAD src0_sel:WORD_0 src1_sel:DWORD
	v_pk_fma_f16 v31, v57, v97, v31
	v_mul_u32_u24_sdwa v109, v63, s27 dst_sel:DWORD dst_unused:UNUSED_PAD src0_sel:WORD_1 src1_sel:DWORD
	v_mul_u32_u24_sdwa v110, v64, s27 dst_sel:DWORD dst_unused:UNUSED_PAD src0_sel:WORD_0 src1_sel:DWORD
	v_mul_u32_u24_sdwa v111, v64, s27 dst_sel:DWORD dst_unused:UNUSED_PAD src0_sel:WORD_1 src1_sel:DWORD
	v_mul_u32_u24_sdwa v112, v65, s27 dst_sel:DWORD dst_unused:UNUSED_PAD src0_sel:WORD_0 src1_sel:DWORD
	v_mul_u32_u24_sdwa v113, v65, s27 dst_sel:DWORD dst_unused:UNUSED_PAD src0_sel:WORD_1 src1_sel:DWORD
	ds_read2_b32 v[62:63], v46 offset0:128 offset1:160
	ds_read2_b32 v[64:65], v46 offset0:192 offset1:224
	s_waitcnt lgkmcnt(3)
	v_pk_fma_f16 v31, v58, v98, v31
	v_mul_u32_u24_sdwa v114, v66, s27 dst_sel:DWORD dst_unused:UNUSED_PAD src0_sel:WORD_0 src1_sel:DWORD
	v_pk_fma_f16 v31, v59, v99, v31
	v_mul_u32_u24_sdwa v115, v66, s27 dst_sel:DWORD dst_unused:UNUSED_PAD src0_sel:WORD_1 src1_sel:DWORD
	s_waitcnt lgkmcnt(2)
	v_pk_fma_f16 v31, v60, v100, v31
	v_mul_u32_u24_sdwa v116, v67, s27 dst_sel:DWORD dst_unused:UNUSED_PAD src0_sel:WORD_0 src1_sel:DWORD
	v_pk_fma_f16 v31, v61, v101, v31
	v_mul_u32_u24_sdwa v117, v67, s27 dst_sel:DWORD dst_unused:UNUSED_PAD src0_sel:WORD_1 src1_sel:DWORD
	ds_read2_b32 v[54:55], v47 offset1:32
	ds_read2_b32 v[66:67], v47 offset0:64 offset1:96
	s_waitcnt lgkmcnt(3)
	v_pk_fma_f16 v31, v62, v102, v31
	v_mul_u32_u24_sdwa v118, v68, s27 dst_sel:DWORD dst_unused:UNUSED_PAD src0_sel:WORD_0 src1_sel:DWORD
	v_pk_fma_f16 v31, v63, v103, v31
	v_mul_u32_u24_sdwa v119, v68, s27 dst_sel:DWORD dst_unused:UNUSED_PAD src0_sel:WORD_1 src1_sel:DWORD
	s_waitcnt lgkmcnt(2)
	v_pk_fma_f16 v31, v64, v104, v31
	v_mul_u32_u24_sdwa v120, v69, s27 dst_sel:DWORD dst_unused:UNUSED_PAD src0_sel:WORD_0 src1_sel:DWORD
	v_pk_fma_f16 v31, v65, v105, v31
	v_mul_u32_u24_sdwa v121, v69, s27 dst_sel:DWORD dst_unused:UNUSED_PAD src0_sel:WORD_1 src1_sel:DWORD
	ds_read2_b32 v[56:57], v47 offset0:128 offset1:160
	ds_read2_b32 v[68:69], v47 offset0:192 offset1:224
	s_waitcnt lgkmcnt(3)
	v_pk_fma_f16 v31, v54, v106, v31
	v_mul_u32_u24_sdwa v122, v70, s27 dst_sel:DWORD dst_unused:UNUSED_PAD src0_sel:WORD_0 src1_sel:DWORD
	v_pk_fma_f16 v31, v55, v107, v31
	v_mul_u32_u24_sdwa v123, v70, s27 dst_sel:DWORD dst_unused:UNUSED_PAD src0_sel:WORD_1 src1_sel:DWORD
	s_waitcnt lgkmcnt(2)
	v_pk_fma_f16 v31, v66, v108, v31
	v_mul_u32_u24_sdwa v124, v71, s27 dst_sel:DWORD dst_unused:UNUSED_PAD src0_sel:WORD_0 src1_sel:DWORD
	v_pk_fma_f16 v31, v67, v109, v31
	v_mul_u32_u24_sdwa v125, v71, s27 dst_sel:DWORD dst_unused:UNUSED_PAD src0_sel:WORD_1 src1_sel:DWORD
	ds_read2_b32 v[58:59], v48 offset1:32
	ds_read2_b32 v[70:71], v48 offset0:64 offset1:96
	s_waitcnt lgkmcnt(3)
	v_pk_fma_f16 v31, v56, v110, v31
	v_mul_u32_u24_sdwa v126, v72, s27 dst_sel:DWORD dst_unused:UNUSED_PAD src0_sel:WORD_0 src1_sel:DWORD
	v_pk_fma_f16 v31, v57, v111, v31
	v_mul_u32_u24_sdwa v127, v72, s27 dst_sel:DWORD dst_unused:UNUSED_PAD src0_sel:WORD_1 src1_sel:DWORD
	s_waitcnt lgkmcnt(2)
	v_pk_fma_f16 v31, v68, v112, v31
	v_mul_u32_u24_sdwa v128, v73, s27 dst_sel:DWORD dst_unused:UNUSED_PAD src0_sel:WORD_0 src1_sel:DWORD
	v_pk_fma_f16 v31, v69, v113, v31
	;; [unrolled: 24-line block ×5, first 2 shown]
	v_mul_u32_u24_sdwa v153, v85, s27 dst_sel:DWORD dst_unused:UNUSED_PAD src0_sel:WORD_1 src1_sel:DWORD
	ds_read2_b32 v[68:69], v51 offset0:128 offset1:160
	ds_read2_b32 v[84:85], v51 offset0:192 offset1:224
	s_waitcnt lgkmcnt(3)
	v_pk_fma_f16 v31, v56, v138, v31
	ds_read2_b32 v[58:59], v52 offset1:32
	ds_read2_b32 v[86:87], v52 offset0:64 offset1:96
	v_pk_fma_f16 v31, v57, v139, v31
	ds_read2_b32 v[70:71], v52 offset0:128 offset1:160
	ds_read2_b32 v[88:89], v52 offset0:192 offset1:224
	s_waitcnt lgkmcnt(6)
	v_pk_fma_f16 v31, v82, v140, v31
	s_waitcnt lgkmcnt(0)
	v_pk_fma_f16 v31, v83, v141, v31
	s_barrier
	v_pk_fma_f16 v31, v68, v142, v31
	s_nop 0
	v_pk_fma_f16 v31, v69, v143, v31
	s_load_dword s4, s[8:9], 0x4
	v_pk_fma_f16 v31, v84, v144, v31
	s_waitcnt lgkmcnt(0)
	s_lshl_b32 s4, s4, 6
	v_pk_fma_f16 v31, v85, v145, v31
	s_add_i32 s2, s4, s2
	v_pk_fma_f16 v31, v58, v146, v31
	s_cmp_ge_i32 s2, s28
	v_pk_fma_f16 v31, v59, v147, v31
	s_nop 0
	v_pk_fma_f16 v31, v86, v148, v31
	s_nop 0
	;; [unrolled: 2-line block ×6, first 2 shown]
	v_pk_fma_f16 v31, v89, v153, v31
	s_cbranch_scc0 .LBB30_9
.LBB30_10:
	v_cmp_lt_i32_e32 vcc, v32, v26
	s_cmp_lg_u64 s[12:13], 0
	s_cselect_b64 s[4:5], -1, 0
	v_cndmask_b32_e32 v0, v13, v32, vcc
	v_lshlrev_b32_e32 v0, 2, v0
	ds_bpermute_b32 v0, v0, v23
	v_cmp_lt_i32_e32 vcc, v30, v26
	s_cmp_eq_u32 s3, 0
	s_cselect_b64 s[6:7], -1, 0
	v_cndmask_b32_e32 v1, v13, v30, vcc
	v_lshlrev_b32_e32 v1, 2, v1
	s_waitcnt lgkmcnt(0)
	v_add_f32_e32 v0, v23, v0
	ds_bpermute_b32 v1, v1, v0
	v_cmp_lt_i32_e32 vcc, v29, v26
	s_and_b64 s[4:5], s[6:7], s[4:5]
	v_lshlrev_b32_e32 v6, 1, v2
	v_cndmask_b32_e32 v4, v13, v29, vcc
	v_lshlrev_b32_e32 v4, 2, v4
	s_waitcnt lgkmcnt(0)
	v_add_f32_e32 v0, v0, v1
	ds_bpermute_b32 v1, v4, v0
	v_cmp_lt_i32_e32 vcc, v27, v26
	s_waitcnt lgkmcnt(0)
	v_add_f32_e32 v1, v0, v1
	v_cndmask_b32_e32 v4, v13, v27, vcc
	v_lshlrev_b32_e32 v4, 2, v4
	ds_bpermute_b32 v4, v4, v1
	v_cmp_lt_i32_e32 vcc, v28, v26
	v_add_u32_e32 v0, s29, v24
	s_waitcnt lgkmcnt(0)
	v_add_f32_e32 v1, v1, v4
	v_cndmask_b32_e32 v5, v13, v28, vcc
	v_lshlrev_b32_e32 v5, 2, v5
	ds_bpermute_b32 v4, v5, v1
	s_and_b64 vcc, exec, s[4:5]
	s_waitcnt lgkmcnt(0)
	v_add_f32_e32 v23, v1, v4
	s_cbranch_vccz .LBB30_12
; %bb.11:
	v_ashrrev_i32_e32 v1, 31, v0
	v_lshl_add_u64 v[4:5], v[0:1], 2, s[12:13]
	global_load_dword v1, v[4:5], off
	v_max_f32_e32 v4, v22, v22
	s_mov_b32 s2, 0x3fb8aa3b
	s_mov_b32 s4, 0xc2ce8ed0
	s_waitcnt vmcnt(0)
	v_max_f32_e32 v5, v1, v1
	v_max_f32_e32 v4, v4, v5
	v_sub_f32_e32 v5, v22, v4
	v_sub_f32_e32 v1, v1, v4
	v_mul_f32_e32 v7, 0x3fb8aa3b, v5
	v_mul_f32_e32 v8, 0x3fb8aa3b, v1
	v_fma_f32 v9, v5, s2, -v7
	v_rndne_f32_e32 v10, v7
	v_fma_f32 v11, v1, s2, -v8
	v_rndne_f32_e32 v12, v8
	v_fmac_f32_e32 v9, 0x32a5705f, v5
	v_sub_f32_e32 v7, v7, v10
	v_fmac_f32_e32 v11, 0x32a5705f, v1
	v_sub_f32_e32 v8, v8, v12
	v_add_f32_e32 v7, v7, v9
	v_cvt_i32_f32_e32 v10, v10
	v_add_f32_e32 v8, v8, v11
	v_exp_f32_e32 v7, v7
	v_cvt_i32_f32_e32 v12, v12
	v_exp_f32_e32 v8, v8
	v_cmp_ngt_f32_e32 vcc, s4, v5
	v_ldexp_f32 v7, v7, v10
	s_mov_b32 s2, 0x42b17218
	v_ldexp_f32 v8, v8, v12
	v_cndmask_b32_e32 v7, 0, v7, vcc
	v_cmp_ngt_f32_e32 vcc, s4, v1
	v_mov_b32_e32 v9, 0x7f800000
	s_nop 0
	v_cndmask_b32_e32 v8, 0, v8, vcc
	v_cmp_nlt_f32_e32 vcc, s2, v5
	s_nop 1
	v_cndmask_b32_e32 v7, v9, v7, vcc
	v_cvt_f16_f32_e32 v10, v7
	v_cmp_nlt_f32_e32 vcc, s2, v1
	v_mul_u32_u24_e32 v1, 0x10001, v10
	s_nop 0
	v_cndmask_b32_e32 v5, v9, v8, vcc
	v_fmac_f32_e32 v5, v23, v7
	v_pk_mul_f16 v31, v31, v1
	v_mov_b64_e32 v[22:23], v[4:5]
	s_branch .LBB30_13
.LBB30_12:
	v_mov_b32_e32 v5, v23
.LBB30_13:
	s_load_dword s2, s[0:1], 0xd4
	v_div_scale_f32 v1, s[0:1], v5, v5, 1.0
	v_rcp_f32_e32 v4, v1
	s_mul_i32 s33, s33, s22
	s_waitcnt lgkmcnt(0)
	s_cmp_lg_u32 s2, 1
	s_cselect_b64 s[0:1], -1, 0
	v_fma_f32 v7, -v1, v4, 1.0
	v_fmac_f32_e32 v4, v7, v4
	v_div_scale_f32 v7, vcc, 1.0, v5, 1.0
	v_mul_f32_e32 v10, v7, v4
	v_fma_f32 v11, -v1, v10, v7
	v_fmac_f32_e32 v10, v11, v4
	v_fma_f32 v1, -v1, v10, v7
	v_div_fmas_f32 v1, v1, v4, v10
	v_div_fixup_f32 v1, v1, v5, 1.0
	v_cndmask_b32_e64 v4, v1, 1.0, s[0:1]
	v_add_u32_e32 v1, s33, v3
	v_mad_u64_u32 v[0:1], s[4:5], v1, s23, v[0:1]
	v_cvt_f32_f16_sdwa v11, v31 dst_sel:DWORD dst_unused:UNUSED_PAD src0_sel:WORD_1
	v_cvt_f32_f16_e32 v10, v31
	v_mul_lo_u32 v0, s2, v0
	v_add_u32_e32 v0, s3, v0
	v_mov_b32_e32 v8, s16
	v_mov_b32_e32 v9, s17
	v_lshl_add_u32 v6, v0, 6, v6
	v_mov_b32_e32 v7, 0
	v_cmp_eq_u32_e32 vcc, 0, v2
	v_lshl_add_u64 v[6:7], v[6:7], 2, v[8:9]
	s_and_b64 s[0:1], vcc, s[0:1]
	v_pk_mul_f32 v[2:3], v[4:5], v[10:11] op_sel_hi:[0,1]
	global_store_dwordx2 v[6:7], v[2:3], off
	s_and_saveexec_b64 s[2:3], s[0:1]
	s_cbranch_execz .LBB30_15
; %bb.14:
	v_mov_b32_e32 v2, s18
	v_mov_b32_e32 v3, s19
	v_ashrrev_i32_e32 v1, 31, v0
	v_lshl_add_u64 v[0:1], v[0:1], 3, v[2:3]
	global_store_dwordx2 v[0:1], v[22:23], off
.LBB30_15:
	s_endpgm
	.section	.rodata,"a",@progbits
	.p2align	6, 0x0
	.amdhsa_kernel _ZL15flash_attn_tileILi64ELi64ELi1ELi4ELb0EEvPKcS1_S1_S1_S1_PKiPfP15HIP_vector_typeIfLj2EEffffjfiS5_IjLj3EEiiiiiiiiiiiliiliiiiil
		.amdhsa_group_segment_fixed_size 10240
		.amdhsa_private_segment_fixed_size 0
		.amdhsa_kernarg_size 464
		.amdhsa_user_sgpr_count 2
		.amdhsa_user_sgpr_dispatch_ptr 0
		.amdhsa_user_sgpr_queue_ptr 0
		.amdhsa_user_sgpr_kernarg_segment_ptr 1
		.amdhsa_user_sgpr_dispatch_id 0
		.amdhsa_user_sgpr_kernarg_preload_length 0
		.amdhsa_user_sgpr_kernarg_preload_offset 0
		.amdhsa_user_sgpr_private_segment_size 0
		.amdhsa_uses_dynamic_stack 0
		.amdhsa_enable_private_segment 0
		.amdhsa_system_sgpr_workgroup_id_x 1
		.amdhsa_system_sgpr_workgroup_id_y 1
		.amdhsa_system_sgpr_workgroup_id_z 1
		.amdhsa_system_sgpr_workgroup_info 0
		.amdhsa_system_vgpr_workitem_id 1
		.amdhsa_next_free_vgpr 154
		.amdhsa_next_free_sgpr 39
		.amdhsa_accum_offset 156
		.amdhsa_reserve_vcc 1
		.amdhsa_float_round_mode_32 0
		.amdhsa_float_round_mode_16_64 0
		.amdhsa_float_denorm_mode_32 3
		.amdhsa_float_denorm_mode_16_64 3
		.amdhsa_dx10_clamp 1
		.amdhsa_ieee_mode 1
		.amdhsa_fp16_overflow 0
		.amdhsa_tg_split 0
		.amdhsa_exception_fp_ieee_invalid_op 0
		.amdhsa_exception_fp_denorm_src 0
		.amdhsa_exception_fp_ieee_div_zero 0
		.amdhsa_exception_fp_ieee_overflow 0
		.amdhsa_exception_fp_ieee_underflow 0
		.amdhsa_exception_fp_ieee_inexact 0
		.amdhsa_exception_int_div_zero 0
	.end_amdhsa_kernel
	.section	.text._ZL15flash_attn_tileILi64ELi64ELi1ELi4ELb0EEvPKcS1_S1_S1_S1_PKiPfP15HIP_vector_typeIfLj2EEffffjfiS5_IjLj3EEiiiiiiiiiiiliiliiiiil,"axG",@progbits,_ZL15flash_attn_tileILi64ELi64ELi1ELi4ELb0EEvPKcS1_S1_S1_S1_PKiPfP15HIP_vector_typeIfLj2EEffffjfiS5_IjLj3EEiiiiiiiiiiiliiliiiiil,comdat
.Lfunc_end30:
	.size	_ZL15flash_attn_tileILi64ELi64ELi1ELi4ELb0EEvPKcS1_S1_S1_S1_PKiPfP15HIP_vector_typeIfLj2EEffffjfiS5_IjLj3EEiiiiiiiiiiiliiliiiiil, .Lfunc_end30-_ZL15flash_attn_tileILi64ELi64ELi1ELi4ELb0EEvPKcS1_S1_S1_S1_PKiPfP15HIP_vector_typeIfLj2EEffffjfiS5_IjLj3EEiiiiiiiiiiiliiliiiiil
                                        ; -- End function
	.set _ZL15flash_attn_tileILi64ELi64ELi1ELi4ELb0EEvPKcS1_S1_S1_S1_PKiPfP15HIP_vector_typeIfLj2EEffffjfiS5_IjLj3EEiiiiiiiiiiiliiliiiiil.num_vgpr, 154
	.set _ZL15flash_attn_tileILi64ELi64ELi1ELi4ELb0EEvPKcS1_S1_S1_S1_PKiPfP15HIP_vector_typeIfLj2EEffffjfiS5_IjLj3EEiiiiiiiiiiiliiliiiiil.num_agpr, 0
	.set _ZL15flash_attn_tileILi64ELi64ELi1ELi4ELb0EEvPKcS1_S1_S1_S1_PKiPfP15HIP_vector_typeIfLj2EEffffjfiS5_IjLj3EEiiiiiiiiiiiliiliiiiil.numbered_sgpr, 39
	.set _ZL15flash_attn_tileILi64ELi64ELi1ELi4ELb0EEvPKcS1_S1_S1_S1_PKiPfP15HIP_vector_typeIfLj2EEffffjfiS5_IjLj3EEiiiiiiiiiiiliiliiiiil.num_named_barrier, 0
	.set _ZL15flash_attn_tileILi64ELi64ELi1ELi4ELb0EEvPKcS1_S1_S1_S1_PKiPfP15HIP_vector_typeIfLj2EEffffjfiS5_IjLj3EEiiiiiiiiiiiliiliiiiil.private_seg_size, 0
	.set _ZL15flash_attn_tileILi64ELi64ELi1ELi4ELb0EEvPKcS1_S1_S1_S1_PKiPfP15HIP_vector_typeIfLj2EEffffjfiS5_IjLj3EEiiiiiiiiiiiliiliiiiil.uses_vcc, 1
	.set _ZL15flash_attn_tileILi64ELi64ELi1ELi4ELb0EEvPKcS1_S1_S1_S1_PKiPfP15HIP_vector_typeIfLj2EEffffjfiS5_IjLj3EEiiiiiiiiiiiliiliiiiil.uses_flat_scratch, 0
	.set _ZL15flash_attn_tileILi64ELi64ELi1ELi4ELb0EEvPKcS1_S1_S1_S1_PKiPfP15HIP_vector_typeIfLj2EEffffjfiS5_IjLj3EEiiiiiiiiiiiliiliiiiil.has_dyn_sized_stack, 0
	.set _ZL15flash_attn_tileILi64ELi64ELi1ELi4ELb0EEvPKcS1_S1_S1_S1_PKiPfP15HIP_vector_typeIfLj2EEffffjfiS5_IjLj3EEiiiiiiiiiiiliiliiiiil.has_recursion, 0
	.set _ZL15flash_attn_tileILi64ELi64ELi1ELi4ELb0EEvPKcS1_S1_S1_S1_PKiPfP15HIP_vector_typeIfLj2EEffffjfiS5_IjLj3EEiiiiiiiiiiiliiliiiiil.has_indirect_call, 0
	.section	.AMDGPU.csdata,"",@progbits
; Kernel info:
; codeLenInByte = 6084
; TotalNumSgprs: 45
; NumVgprs: 154
; NumAgprs: 0
; TotalNumVgprs: 154
; ScratchSize: 0
; MemoryBound: 0
; FloatMode: 240
; IeeeMode: 1
; LDSByteSize: 10240 bytes/workgroup (compile time only)
; SGPRBlocks: 5
; VGPRBlocks: 19
; NumSGPRsForWavesPerEU: 45
; NumVGPRsForWavesPerEU: 154
; AccumOffset: 156
; Occupancy: 3
; WaveLimiterHint : 1
; COMPUTE_PGM_RSRC2:SCRATCH_EN: 0
; COMPUTE_PGM_RSRC2:USER_SGPR: 2
; COMPUTE_PGM_RSRC2:TRAP_HANDLER: 0
; COMPUTE_PGM_RSRC2:TGID_X_EN: 1
; COMPUTE_PGM_RSRC2:TGID_Y_EN: 1
; COMPUTE_PGM_RSRC2:TGID_Z_EN: 1
; COMPUTE_PGM_RSRC2:TIDIG_COMP_CNT: 1
; COMPUTE_PGM_RSRC3_GFX90A:ACCUM_OFFSET: 38
; COMPUTE_PGM_RSRC3_GFX90A:TG_SPLIT: 0
	.section	.text._ZL33flash_attn_stream_k_fixup_uniformILi64ELi1ELi4EEvPfPK15HIP_vector_typeIfLj2EEiiiiiiS1_IjLj3EES5_S5_,"axG",@progbits,_ZL33flash_attn_stream_k_fixup_uniformILi64ELi1ELi4EEvPfPK15HIP_vector_typeIfLj2EEiiiiiiS1_IjLj3EES5_S5_,comdat
	.globl	_ZL33flash_attn_stream_k_fixup_uniformILi64ELi1ELi4EEvPfPK15HIP_vector_typeIfLj2EEiiiiiiS1_IjLj3EES5_S5_ ; -- Begin function _ZL33flash_attn_stream_k_fixup_uniformILi64ELi1ELi4EEvPfPK15HIP_vector_typeIfLj2EEiiiiiiS1_IjLj3EES5_S5_
	.p2align	8
	.type	_ZL33flash_attn_stream_k_fixup_uniformILi64ELi1ELi4EEvPfPK15HIP_vector_typeIfLj2EEiiiiiiS1_IjLj3EES5_S5_,@function
_ZL33flash_attn_stream_k_fixup_uniformILi64ELi1ELi4EEvPfPK15HIP_vector_typeIfLj2EEiiiiiiS1_IjLj3EES5_S5_: ; @_ZL33flash_attn_stream_k_fixup_uniformILi64ELi1ELi4EEvPfPK15HIP_vector_typeIfLj2EEiiiiiiS1_IjLj3EES5_S5_
; %bb.0:
	s_load_dwordx8 s[8:15], s[0:1], 0x1c
	s_load_dwordx2 s[6:7], s[0:1], 0x10
	s_load_dwordx4 s[16:19], s[0:1], 0x3c
	s_waitcnt lgkmcnt(0)
	s_mul_hi_u32 s5, s11, s2
	s_add_i32 s5, s2, s5
	s_lshr_b32 s5, s5, s12
	s_mul_i32 s11, s5, s13
	s_sub_i32 s12, s2, s11
	s_mul_hi_u32 s11, s12, s14
	s_add_i32 s11, s12, s11
	s_lshr_b32 s11, s11, s15
	s_mul_i32 s13, s11, s16
	s_sub_i32 s12, s12, s13
	s_mul_hi_u32 s13, s12, s17
	s_add_i32 s13, s12, s13
	s_lshr_b32 s13, s13, s18
	s_mul_i32 s14, s13, s19
	s_sub_i32 s17, s12, s14
	s_lshl_b32 s16, s13, 2
	s_add_i32 s17, s17, s3
	s_cmp_lt_i32 s17, s6
	s_cselect_b64 s[12:13], -1, 0
	s_add_i32 s16, s16, s4
	s_cmp_lt_i32 s16, s9
	s_cselect_b64 s[14:15], -1, 0
	s_and_b64 s[12:13], s[12:13], s[14:15]
	s_andn2_b64 vcc, exec, s[12:13]
	s_cbranch_vccnz .LBB31_6
; %bb.1:
	s_load_dwordx4 s[12:15], s[0:1], 0x0
	s_mul_i32 s5, s5, s6
	s_mul_i32 s11, s11, s9
	s_add_i32 s0, s17, s5
	s_mul_i32 s0, s0, s7
	s_add_i32 s1, s16, s11
	s_add_i32 s1, s1, s0
	v_lshl_or_b32 v4, s1, 6, v0
	s_waitcnt lgkmcnt(0)
	v_mov_b32_e32 v2, s12
	v_mov_b32_e32 v3, s13
	v_ashrrev_i32_e32 v5, 31, v4
	v_lshl_add_u64 v[2:3], v[4:5], 2, v[2:3]
	global_load_dword v5, v[2:3], off
	s_mul_i32 s9, s10, s2
	s_add_i32 s5, s9, s10
	s_add_i32 s0, s3, s5
	s_lshl_b32 s0, s0, 2
	s_add_i32 s0, s0, s4
	s_add_i32 s0, s0, -4
	s_ashr_i32 s1, s0, 31
	s_lshl_b64 s[0:1], s[0:1], 3
	s_add_u32 s0, s14, s0
	s_addc_u32 s1, s15, s1
	s_load_dword s12, s[0:1], 0x4
	s_add_i32 s6, s5, -2
	s_cmp_lt_i32 s6, s9
	s_cbranch_scc1 .LBB31_4
; %bb.2:
	s_lshl_b32 s6, s8, 4
	s_ashr_i32 s7, s6, 31
	s_lshl_b64 s[6:7], s[6:7], 2
	s_add_u32 s6, s14, s6
	s_addc_u32 s7, s15, s7
	s_load_dword s0, s[0:1], 0x0
	s_add_i32 s2, s2, 1
	s_lshl_b32 s1, s4, 6
	s_add_i32 s8, s3, s8
	s_mul_i32 s2, s10, s2
	s_lshl_b32 s3, s3, 8
	s_add_i32 s8, s8, s5
	s_lshl_b32 s2, s2, 8
	s_add_i32 s1, s1, s3
	s_add_i32 s11, s5, -1
	s_lshl_b32 s5, s8, 2
	s_add_i32 s1, s1, s2
	s_add_i32 s4, s4, s5
	v_or_b32_e32 v0, s1, v0
	s_add_i32 s4, s4, -8
	v_add_u32_e32 v0, 0xfffffe00, v0
	s_waitcnt lgkmcnt(0)
	v_mov_b32_e32 v7, s0
	v_mov_b32_e32 v4, s12
	s_mov_b32 s2, 0x3fb8aa3b
	s_mov_b32 s3, 0xc2ce8ed0
	;; [unrolled: 1-line block ×3, first 2 shown]
	v_mov_b32_e32 v6, 0x7f800000
	s_mov_b32 s10, 0xc1a00000
.LBB31_3:                               ; =>This Inner Loop Header: Depth=1
	v_ashrrev_i32_e32 v1, 31, v0
	v_lshl_add_u64 v[8:9], v[0:1], 2, s[6:7]
	global_load_dword v9, v[8:9], off
	s_ashr_i32 s5, s4, 31
	s_lshl_b64 s[0:1], s[4:5], 3
	s_add_u32 s0, s14, s0
	s_addc_u32 s1, s15, s1
	s_load_dwordx2 s[0:1], s[0:1], 0x0
	v_max_f32_e32 v1, v7, v7
	s_add_i32 s11, s11, -1
	s_add_i32 s4, s4, -4
	v_add_u32_e32 v0, 0xffffff00, v0
	s_waitcnt lgkmcnt(0)
	v_max_f32_e64 v10, s0, s0
	v_max_f32_e32 v1, v1, v10
	v_sub_f32_e32 v11, s0, v1
	v_sub_f32_e32 v10, v7, v1
	v_mul_f32_e32 v12, 0x3fb8aa3b, v11
	v_mov_b32_e32 v7, v1
	v_mul_f32_e32 v1, 0x3fb8aa3b, v10
	v_fma_f32 v15, v11, s2, -v12
	v_rndne_f32_e32 v16, v12
	v_fma_f32 v13, v10, s2, -v1
	v_rndne_f32_e32 v14, v1
	v_fmac_f32_e32 v15, 0x32a5705f, v11
	v_sub_f32_e32 v12, v12, v16
	v_fmac_f32_e32 v13, 0x32a5705f, v10
	v_sub_f32_e32 v1, v1, v14
	v_add_f32_e32 v12, v12, v15
	v_cvt_i32_f32_e32 v16, v16
	v_add_f32_e32 v1, v1, v13
	v_exp_f32_e32 v12, v12
	v_cvt_i32_f32_e32 v14, v14
	v_exp_f32_e32 v1, v1
	v_cmp_ngt_f32_e32 vcc, s3, v11
	v_ldexp_f32 v12, v12, v16
	v_mov_b32_e32 v8, s1
	v_ldexp_f32 v1, v1, v14
	v_cmp_ngt_f32_e64 s[0:1], s3, v10
	v_cndmask_b32_e32 v12, 0, v12, vcc
	v_cmp_nlt_f32_e32 vcc, s8, v11
	v_cndmask_b32_e64 v1, 0, v1, s[0:1]
	v_cmp_nlt_f32_e64 s[0:1], s8, v10
	v_cndmask_b32_e32 v12, v6, v12, vcc
	v_cmp_le_f32_e32 vcc, s10, v11
	v_cndmask_b32_e64 v1, v6, v1, s[0:1]
	v_cmp_le_f32_e64 s[0:1], s10, v10
	v_cndmask_b32_e32 v12, 0, v12, vcc
	s_cmp_le_i32 s11, s9
	v_cndmask_b32_e64 v10, 0, v1, s[0:1]
	s_waitcnt vmcnt(0)
	v_pk_mul_f32 v[8:9], v[8:9], v[12:13] op_sel_hi:[1,0]
	s_nop 0
	v_pk_fma_f32 v[4:5], v[4:5], v[10:11], v[8:9] op_sel_hi:[1,0,1]
	s_cbranch_scc0 .LBB31_3
	s_branch .LBB31_5
.LBB31_4:
	s_waitcnt lgkmcnt(0)
	v_mov_b32_e32 v4, s12
.LBB31_5:
	s_waitcnt vmcnt(0)
	v_div_scale_f32 v0, s[0:1], v4, v4, v5
	v_rcp_f32_e32 v1, v0
	v_div_scale_f32 v6, vcc, v5, v4, v5
	v_fma_f32 v7, -v0, v1, 1.0
	v_fmac_f32_e32 v1, v7, v1
	v_mul_f32_e32 v7, v6, v1
	v_fma_f32 v8, -v0, v7, v6
	v_fmac_f32_e32 v7, v8, v1
	v_fma_f32 v0, -v0, v7, v6
	v_div_fmas_f32 v0, v0, v1, v7
	v_div_fixup_f32 v0, v0, v4, v5
	global_store_dword v[2:3], v0, off
.LBB31_6:
	s_endpgm
	.section	.rodata,"a",@progbits
	.p2align	6, 0x0
	.amdhsa_kernel _ZL33flash_attn_stream_k_fixup_uniformILi64ELi1ELi4EEvPfPK15HIP_vector_typeIfLj2EEiiiiiiS1_IjLj3EES5_S5_
		.amdhsa_group_segment_fixed_size 0
		.amdhsa_private_segment_fixed_size 0
		.amdhsa_kernarg_size 76
		.amdhsa_user_sgpr_count 2
		.amdhsa_user_sgpr_dispatch_ptr 0
		.amdhsa_user_sgpr_queue_ptr 0
		.amdhsa_user_sgpr_kernarg_segment_ptr 1
		.amdhsa_user_sgpr_dispatch_id 0
		.amdhsa_user_sgpr_kernarg_preload_length 0
		.amdhsa_user_sgpr_kernarg_preload_offset 0
		.amdhsa_user_sgpr_private_segment_size 0
		.amdhsa_uses_dynamic_stack 0
		.amdhsa_enable_private_segment 0
		.amdhsa_system_sgpr_workgroup_id_x 1
		.amdhsa_system_sgpr_workgroup_id_y 1
		.amdhsa_system_sgpr_workgroup_id_z 1
		.amdhsa_system_sgpr_workgroup_info 0
		.amdhsa_system_vgpr_workitem_id 0
		.amdhsa_next_free_vgpr 17
		.amdhsa_next_free_sgpr 20
		.amdhsa_accum_offset 20
		.amdhsa_reserve_vcc 1
		.amdhsa_float_round_mode_32 0
		.amdhsa_float_round_mode_16_64 0
		.amdhsa_float_denorm_mode_32 3
		.amdhsa_float_denorm_mode_16_64 3
		.amdhsa_dx10_clamp 1
		.amdhsa_ieee_mode 1
		.amdhsa_fp16_overflow 0
		.amdhsa_tg_split 0
		.amdhsa_exception_fp_ieee_invalid_op 0
		.amdhsa_exception_fp_denorm_src 0
		.amdhsa_exception_fp_ieee_div_zero 0
		.amdhsa_exception_fp_ieee_overflow 0
		.amdhsa_exception_fp_ieee_underflow 0
		.amdhsa_exception_fp_ieee_inexact 0
		.amdhsa_exception_int_div_zero 0
	.end_amdhsa_kernel
	.section	.text._ZL33flash_attn_stream_k_fixup_uniformILi64ELi1ELi4EEvPfPK15HIP_vector_typeIfLj2EEiiiiiiS1_IjLj3EES5_S5_,"axG",@progbits,_ZL33flash_attn_stream_k_fixup_uniformILi64ELi1ELi4EEvPfPK15HIP_vector_typeIfLj2EEiiiiiiS1_IjLj3EES5_S5_,comdat
.Lfunc_end31:
	.size	_ZL33flash_attn_stream_k_fixup_uniformILi64ELi1ELi4EEvPfPK15HIP_vector_typeIfLj2EEiiiiiiS1_IjLj3EES5_S5_, .Lfunc_end31-_ZL33flash_attn_stream_k_fixup_uniformILi64ELi1ELi4EEvPfPK15HIP_vector_typeIfLj2EEiiiiiiS1_IjLj3EES5_S5_
                                        ; -- End function
	.set _ZL33flash_attn_stream_k_fixup_uniformILi64ELi1ELi4EEvPfPK15HIP_vector_typeIfLj2EEiiiiiiS1_IjLj3EES5_S5_.num_vgpr, 17
	.set _ZL33flash_attn_stream_k_fixup_uniformILi64ELi1ELi4EEvPfPK15HIP_vector_typeIfLj2EEiiiiiiS1_IjLj3EES5_S5_.num_agpr, 0
	.set _ZL33flash_attn_stream_k_fixup_uniformILi64ELi1ELi4EEvPfPK15HIP_vector_typeIfLj2EEiiiiiiS1_IjLj3EES5_S5_.numbered_sgpr, 20
	.set _ZL33flash_attn_stream_k_fixup_uniformILi64ELi1ELi4EEvPfPK15HIP_vector_typeIfLj2EEiiiiiiS1_IjLj3EES5_S5_.num_named_barrier, 0
	.set _ZL33flash_attn_stream_k_fixup_uniformILi64ELi1ELi4EEvPfPK15HIP_vector_typeIfLj2EEiiiiiiS1_IjLj3EES5_S5_.private_seg_size, 0
	.set _ZL33flash_attn_stream_k_fixup_uniformILi64ELi1ELi4EEvPfPK15HIP_vector_typeIfLj2EEiiiiiiS1_IjLj3EES5_S5_.uses_vcc, 1
	.set _ZL33flash_attn_stream_k_fixup_uniformILi64ELi1ELi4EEvPfPK15HIP_vector_typeIfLj2EEiiiiiiS1_IjLj3EES5_S5_.uses_flat_scratch, 0
	.set _ZL33flash_attn_stream_k_fixup_uniformILi64ELi1ELi4EEvPfPK15HIP_vector_typeIfLj2EEiiiiiiS1_IjLj3EES5_S5_.has_dyn_sized_stack, 0
	.set _ZL33flash_attn_stream_k_fixup_uniformILi64ELi1ELi4EEvPfPK15HIP_vector_typeIfLj2EEiiiiiiS1_IjLj3EES5_S5_.has_recursion, 0
	.set _ZL33flash_attn_stream_k_fixup_uniformILi64ELi1ELi4EEvPfPK15HIP_vector_typeIfLj2EEiiiiiiS1_IjLj3EES5_S5_.has_indirect_call, 0
	.section	.AMDGPU.csdata,"",@progbits
; Kernel info:
; codeLenInByte = 808
; TotalNumSgprs: 26
; NumVgprs: 17
; NumAgprs: 0
; TotalNumVgprs: 17
; ScratchSize: 0
; MemoryBound: 0
; FloatMode: 240
; IeeeMode: 1
; LDSByteSize: 0 bytes/workgroup (compile time only)
; SGPRBlocks: 3
; VGPRBlocks: 2
; NumSGPRsForWavesPerEU: 26
; NumVGPRsForWavesPerEU: 17
; AccumOffset: 20
; Occupancy: 8
; WaveLimiterHint : 0
; COMPUTE_PGM_RSRC2:SCRATCH_EN: 0
; COMPUTE_PGM_RSRC2:USER_SGPR: 2
; COMPUTE_PGM_RSRC2:TRAP_HANDLER: 0
; COMPUTE_PGM_RSRC2:TGID_X_EN: 1
; COMPUTE_PGM_RSRC2:TGID_Y_EN: 1
; COMPUTE_PGM_RSRC2:TGID_Z_EN: 1
; COMPUTE_PGM_RSRC2:TIDIG_COMP_CNT: 0
; COMPUTE_PGM_RSRC3_GFX90A:ACCUM_OFFSET: 4
; COMPUTE_PGM_RSRC3_GFX90A:TG_SPLIT: 0
	.section	.text._ZL33flash_attn_stream_k_fixup_generalILi64ELi1ELi4EEvPfPK15HIP_vector_typeIfLj2EEiiiiS1_IjLj3EES5_S5_S5_,"axG",@progbits,_ZL33flash_attn_stream_k_fixup_generalILi64ELi1ELi4EEvPfPK15HIP_vector_typeIfLj2EEiiiiS1_IjLj3EES5_S5_S5_,comdat
	.globl	_ZL33flash_attn_stream_k_fixup_generalILi64ELi1ELi4EEvPfPK15HIP_vector_typeIfLj2EEiiiiS1_IjLj3EES5_S5_S5_ ; -- Begin function _ZL33flash_attn_stream_k_fixup_generalILi64ELi1ELi4EEvPfPK15HIP_vector_typeIfLj2EEiiiiS1_IjLj3EES5_S5_S5_
	.p2align	8
	.type	_ZL33flash_attn_stream_k_fixup_generalILi64ELi1ELi4EEvPfPK15HIP_vector_typeIfLj2EEiiiiS1_IjLj3EES5_S5_S5_,@function
_ZL33flash_attn_stream_k_fixup_generalILi64ELi1ELi4EEvPfPK15HIP_vector_typeIfLj2EEiiiiS1_IjLj3EES5_S5_S5_: ; @_ZL33flash_attn_stream_k_fixup_generalILi64ELi1ELi4EEvPfPK15HIP_vector_typeIfLj2EEiiiiS1_IjLj3EES5_S5_S5_
; %bb.0:
	s_load_dwordx4 s[8:11], s[0:1], 0x10
	s_load_dword s5, s[0:1], 0x50
	s_mov_b32 s12, 0
	s_waitcnt lgkmcnt(0)
	s_mul_hi_i32 s13, s11, s2
	s_cmp_lg_u64 s[12:13], 0
	s_mul_i32 s18, s11, s2
	s_cbranch_scc0 .LBB32_20
; %bb.1:
	s_add_u32 s6, s5, 0
	s_addc_u32 s7, 0, 0
	s_xor_b64 s[6:7], s[6:7], 0
	v_cvt_f32_u32_e32 v1, s6
	v_cvt_f32_u32_e32 v2, s7
	s_sub_u32 s12, 0, s6
	s_subb_u32 s19, 0, s7
	v_fmamk_f32 v1, v2, 0x4f800000, v1
	v_rcp_f32_e32 v1, v1
	s_nop 0
	v_mul_f32_e32 v1, 0x5f7ffffc, v1
	v_mul_f32_e32 v2, 0x2f800000, v1
	v_trunc_f32_e32 v2, v2
	v_fmamk_f32 v1, v2, 0xcf800000, v1
	v_cvt_u32_f32_e32 v2, v2
	v_cvt_u32_f32_e32 v1, v1
	v_readfirstlane_b32 s20, v2
	v_readfirstlane_b32 s14, v1
	s_mul_i32 s15, s12, s20
	s_mul_hi_u32 s22, s12, s14
	s_mul_i32 s21, s19, s14
	s_add_i32 s15, s22, s15
	s_add_i32 s15, s15, s21
	s_mul_i32 s23, s12, s14
	s_mul_i32 s22, s14, s15
	s_mul_hi_u32 s24, s14, s23
	s_mul_hi_u32 s21, s14, s15
	s_add_u32 s22, s24, s22
	s_addc_u32 s21, 0, s21
	s_mul_hi_u32 s25, s20, s23
	s_mul_i32 s23, s20, s23
	s_add_u32 s22, s22, s23
	s_mul_hi_u32 s24, s20, s15
	s_addc_u32 s21, s21, s25
	s_addc_u32 s22, s24, 0
	s_mul_i32 s15, s20, s15
	s_add_u32 s15, s21, s15
	s_addc_u32 s21, 0, s22
	s_add_u32 s22, s14, s15
	s_cselect_b64 s[14:15], -1, 0
	s_cmp_lg_u64 s[14:15], 0
	s_addc_u32 s20, s20, s21
	s_mul_i32 s14, s12, s20
	s_mul_hi_u32 s15, s12, s22
	s_add_i32 s14, s15, s14
	s_mul_i32 s19, s19, s22
	s_add_i32 s14, s14, s19
	s_mul_i32 s12, s12, s22
	s_mul_hi_u32 s19, s20, s12
	s_mul_i32 s21, s20, s12
	s_mul_i32 s24, s22, s14
	s_mul_hi_u32 s12, s22, s12
	s_mul_hi_u32 s23, s22, s14
	s_add_u32 s12, s12, s24
	s_addc_u32 s23, 0, s23
	s_add_u32 s12, s12, s21
	s_mul_hi_u32 s15, s20, s14
	s_addc_u32 s12, s23, s19
	s_addc_u32 s15, s15, 0
	s_mul_i32 s14, s20, s14
	s_add_u32 s12, s12, s14
	s_addc_u32 s19, 0, s15
	s_add_u32 s21, s22, s12
	s_cselect_b64 s[14:15], -1, 0
	s_cmp_lg_u64 s[14:15], 0
	s_addc_u32 s19, s20, s19
	s_ashr_i32 s14, s13, 31
	s_add_u32 s12, s18, s14
	s_mov_b32 s15, s14
	s_addc_u32 s13, s13, s14
	s_xor_b64 s[12:13], s[12:13], s[14:15]
	s_mul_i32 s22, s12, s19
	s_mul_hi_u32 s23, s12, s21
	s_mul_hi_u32 s20, s12, s19
	s_add_u32 s22, s23, s22
	s_addc_u32 s20, 0, s20
	s_mul_hi_u32 s24, s13, s21
	s_mul_i32 s21, s13, s21
	s_add_u32 s21, s22, s21
	s_mul_hi_u32 s23, s13, s19
	s_addc_u32 s20, s20, s24
	s_addc_u32 s21, s23, 0
	s_mul_i32 s19, s13, s19
	s_add_u32 s19, s20, s19
	s_addc_u32 s24, 0, s21
	s_mul_i32 s20, s6, s24
	s_mul_hi_u32 s21, s6, s19
	s_add_i32 s20, s21, s20
	s_mul_i32 s21, s7, s19
	s_add_i32 s25, s20, s21
	s_sub_i32 s22, s13, s25
	s_mul_i32 s20, s6, s19
	s_sub_u32 s12, s12, s20
	s_cselect_b64 s[20:21], -1, 0
	s_cmp_lg_u64 s[20:21], 0
	s_subb_u32 s26, s22, s7
	s_sub_u32 s27, s12, s6
	s_cselect_b64 s[22:23], -1, 0
	s_cmp_lg_u64 s[22:23], 0
	s_subb_u32 s22, s26, 0
	s_cmp_ge_u32 s22, s7
	s_cselect_b32 s23, -1, 0
	s_cmp_ge_u32 s27, s6
	s_cselect_b32 s26, -1, 0
	s_cmp_eq_u32 s22, s7
	s_cselect_b32 s22, s26, s23
	s_add_u32 s23, s19, 1
	s_addc_u32 s26, s24, 0
	s_add_u32 s27, s19, 2
	s_addc_u32 s28, s24, 0
	s_cmp_lg_u32 s22, 0
	s_cselect_b32 s22, s27, s23
	s_cselect_b32 s23, s28, s26
	s_cmp_lg_u64 s[20:21], 0
	s_subb_u32 s13, s13, s25
	s_cmp_ge_u32 s13, s7
	s_cselect_b32 s20, -1, 0
	s_cmp_ge_u32 s12, s6
	s_cselect_b32 s6, -1, 0
	s_cmp_eq_u32 s13, s7
	s_cselect_b32 s6, s6, s20
	s_cmp_lg_u32 s6, 0
	s_cselect_b32 s7, s23, s24
	s_cselect_b32 s6, s22, s19
	s_xor_b64 s[12:13], s[14:15], 0
	s_xor_b64 s[6:7], s[6:7], s[12:13]
	s_sub_u32 s6, s6, s12
	s_load_dwordx4 s[12:15], s[0:1], 0x44
	s_cbranch_execnz .LBB32_3
.LBB32_2:
	v_cvt_f32_u32_e32 v1, s5
	s_sub_i32 s6, 0, s5
	v_rcp_iflag_f32_e32 v1, v1
	s_nop 0
	v_mul_f32_e32 v1, 0x4f7ffffe, v1
	v_cvt_u32_f32_e32 v1, v1
	s_nop 0
	v_readfirstlane_b32 s7, v1
	s_mul_i32 s6, s6, s7
	s_mul_hi_u32 s6, s7, s6
	s_add_i32 s7, s7, s6
	s_mul_hi_u32 s6, s18, s7
	s_waitcnt lgkmcnt(0)
	s_mul_i32 s15, s6, s5
	s_sub_i32 s15, s18, s15
	s_add_i32 s7, s6, 1
	s_sub_i32 s16, s15, s5
	s_cmp_ge_u32 s15, s5
	s_cselect_b32 s6, s7, s6
	s_cselect_b32 s15, s16, s15
	s_add_i32 s7, s6, 1
	s_cmp_ge_u32 s15, s5
	s_cselect_b32 s6, s7, s6
.LBB32_3:
	s_add_i32 s7, s2, 1
	s_mul_hi_i32 s21, s11, s7
	s_mov_b32 s20, 0
	s_cmp_lg_u64 s[20:21], 0
	s_mul_i32 s7, s11, s7
	s_cbranch_scc0 .LBB32_21
; %bb.4:
	s_add_u32 s16, s5, 0
	s_addc_u32 s17, 0, 0
	s_xor_b64 s[18:19], s[16:17], 0
	v_cvt_f32_u32_e32 v1, s18
	v_cvt_f32_u32_e32 v2, s19
	s_waitcnt lgkmcnt(0)
	s_sub_u32 s15, 0, s18
	s_subb_u32 s20, 0, s19
	v_fmamk_f32 v1, v2, 0x4f800000, v1
	v_rcp_f32_e32 v1, v1
	s_nop 0
	v_mul_f32_e32 v1, 0x5f7ffffc, v1
	v_mul_f32_e32 v2, 0x2f800000, v1
	v_trunc_f32_e32 v2, v2
	v_fmamk_f32 v1, v2, 0xcf800000, v1
	v_cvt_u32_f32_e32 v2, v2
	v_cvt_u32_f32_e32 v1, v1
	v_readfirstlane_b32 s24, v2
	v_readfirstlane_b32 s22, v1
	s_mul_i32 s23, s15, s24
	s_mul_hi_u32 s26, s15, s22
	s_mul_i32 s25, s20, s22
	s_add_i32 s23, s26, s23
	s_add_i32 s23, s23, s25
	s_mul_i32 s27, s15, s22
	s_mul_i32 s26, s22, s23
	s_mul_hi_u32 s28, s22, s27
	s_mul_hi_u32 s25, s22, s23
	s_add_u32 s26, s28, s26
	s_addc_u32 s25, 0, s25
	s_mul_hi_u32 s29, s24, s27
	s_mul_i32 s27, s24, s27
	s_add_u32 s26, s26, s27
	s_mul_hi_u32 s28, s24, s23
	s_addc_u32 s25, s25, s29
	s_addc_u32 s26, s28, 0
	s_mul_i32 s23, s24, s23
	s_add_u32 s23, s25, s23
	s_addc_u32 s25, 0, s26
	s_add_u32 s26, s22, s23
	s_cselect_b64 s[22:23], -1, 0
	s_cmp_lg_u64 s[22:23], 0
	s_addc_u32 s24, s24, s25
	s_mul_i32 s22, s15, s24
	s_mul_hi_u32 s23, s15, s26
	s_add_i32 s22, s23, s22
	s_mul_i32 s20, s20, s26
	s_add_i32 s22, s22, s20
	s_mul_i32 s15, s15, s26
	s_mul_hi_u32 s23, s24, s15
	s_mul_i32 s25, s24, s15
	s_mul_i32 s28, s26, s22
	s_mul_hi_u32 s15, s26, s15
	s_mul_hi_u32 s27, s26, s22
	s_add_u32 s15, s15, s28
	s_addc_u32 s27, 0, s27
	s_add_u32 s15, s15, s25
	s_mul_hi_u32 s20, s24, s22
	s_addc_u32 s15, s27, s23
	s_addc_u32 s20, s20, 0
	s_mul_i32 s22, s24, s22
	s_add_u32 s15, s15, s22
	s_addc_u32 s20, 0, s20
	s_add_u32 s15, s26, s15
	s_cselect_b64 s[22:23], -1, 0
	s_cmp_lg_u64 s[22:23], 0
	s_addc_u32 s24, s24, s20
	s_ashr_i32 s22, s21, 31
	s_add_u32 s20, s7, s22
	s_mov_b32 s23, s22
	s_addc_u32 s21, s21, s22
	s_xor_b64 s[20:21], s[20:21], s[22:23]
	s_mul_i32 s26, s20, s24
	s_mul_hi_u32 s27, s20, s15
	s_mul_hi_u32 s25, s20, s24
	s_add_u32 s26, s27, s26
	s_addc_u32 s25, 0, s25
	s_mul_hi_u32 s28, s21, s15
	s_mul_i32 s15, s21, s15
	s_add_u32 s15, s26, s15
	s_mul_hi_u32 s27, s21, s24
	s_addc_u32 s15, s25, s28
	s_addc_u32 s25, s27, 0
	s_mul_i32 s24, s21, s24
	s_add_u32 s15, s15, s24
	s_addc_u32 s28, 0, s25
	s_mul_i32 s24, s18, s28
	s_mul_hi_u32 s25, s18, s15
	s_add_i32 s24, s25, s24
	s_mul_i32 s25, s19, s15
	s_add_i32 s29, s24, s25
	s_sub_i32 s26, s21, s29
	s_mul_i32 s24, s18, s15
	s_sub_u32 s20, s20, s24
	s_cselect_b64 s[24:25], -1, 0
	s_cmp_lg_u64 s[24:25], 0
	s_subb_u32 s30, s26, s19
	s_sub_u32 s31, s20, s18
	s_cselect_b64 s[26:27], -1, 0
	s_cmp_lg_u64 s[26:27], 0
	s_subb_u32 s26, s30, 0
	s_cmp_ge_u32 s26, s19
	s_cselect_b32 s27, -1, 0
	s_cmp_ge_u32 s31, s18
	s_cselect_b32 s30, -1, 0
	s_cmp_eq_u32 s26, s19
	s_cselect_b32 s26, s30, s27
	s_add_u32 s27, s15, 1
	s_addc_u32 s30, s28, 0
	s_add_u32 s31, s15, 2
	s_addc_u32 s33, s28, 0
	s_cmp_lg_u32 s26, 0
	s_cselect_b32 s26, s31, s27
	s_cselect_b32 s27, s33, s30
	s_cmp_lg_u64 s[24:25], 0
	s_subb_u32 s21, s21, s29
	s_cmp_ge_u32 s21, s19
	s_cselect_b32 s24, -1, 0
	s_cmp_ge_u32 s20, s18
	s_cselect_b32 s18, -1, 0
	s_cmp_eq_u32 s21, s19
	s_cselect_b32 s18, s18, s24
	s_cmp_lg_u32 s18, 0
	s_cselect_b32 s19, s27, s28
	s_cselect_b32 s18, s26, s15
	s_xor_b64 s[20:21], s[22:23], 0
	s_xor_b64 s[18:19], s[18:19], s[20:21]
	s_sub_u32 s18, s18, s20
	s_cbranch_execnz .LBB32_6
.LBB32_5:
	v_cvt_f32_u32_e32 v1, s5
	s_waitcnt lgkmcnt(0)
	s_sub_i32 s15, 0, s5
	v_rcp_iflag_f32_e32 v1, v1
	s_nop 0
	v_mul_f32_e32 v1, 0x4f7ffffe, v1
	v_cvt_u32_f32_e32 v1, v1
	s_nop 0
	v_readfirstlane_b32 s16, v1
	s_mul_i32 s15, s15, s16
	s_mul_hi_u32 s15, s16, s15
	s_add_i32 s16, s16, s15
	s_mul_hi_u32 s15, s7, s16
	s_mul_i32 s17, s15, s5
	s_sub_i32 s7, s7, s17
	s_add_i32 s16, s15, 1
	s_sub_i32 s17, s7, s5
	s_cmp_ge_u32 s7, s5
	s_cselect_b32 s15, s16, s15
	s_cselect_b32 s7, s17, s7
	s_add_i32 s16, s15, 1
	s_cmp_ge_u32 s7, s5
	s_cselect_b32 s18, s16, s15
.LBB32_6:
	s_cmp_eq_u32 s6, s18
	s_waitcnt lgkmcnt(0)
	s_mul_hi_u32 s7, s6, s12
	s_cselect_b64 s[16:17], -1, 0
	s_add_i32 s7, s7, s6
	s_lshr_b32 s7, s7, s13
	s_mul_i32 s15, s7, s14
	s_cmp_eq_u32 s15, s6
	s_mul_hi_u32 s15, s18, s12
	s_cselect_b64 s[20:21], -1, 0
	s_add_i32 s15, s15, s18
	s_lshr_b32 s15, s15, s13
	s_cmp_eq_u32 s7, s15
	s_mul_i32 s15, s15, s14
	s_cselect_b64 s[22:23], -1, 0
	s_cmp_lg_u32 s15, s18
	s_cselect_b64 s[18:19], -1, 0
	s_and_b64 s[18:19], s[22:23], s[18:19]
	s_or_b64 s[16:17], s[16:17], s[20:21]
	s_or_b64 s[16:17], s[16:17], s[18:19]
	s_and_b64 vcc, exec, s[16:17]
	s_cbranch_vccnz .LBB32_23
; %bb.7:
	s_load_dwordx8 s[16:23], s[0:1], 0x20
	s_load_dword s24, s[0:1], 0x40
	s_waitcnt lgkmcnt(0)
	s_mul_hi_u32 s15, s6, s16
	s_add_i32 s15, s15, s6
	s_lshr_b32 s15, s15, s17
	s_mul_i32 s16, s15, s18
	s_sub_i32 s16, s6, s16
	s_mul_hi_u32 s17, s16, s19
	s_add_i32 s17, s16, s17
	s_lshr_b32 s20, s17, s20
	s_mul_i32 s17, s20, s21
	s_sub_i32 s16, s16, s17
	;; [unrolled: 5-line block ×3, first 2 shown]
	s_lshl_b32 s22, s17, 2
	s_mul_hi_u32 s17, s16, s12
	s_add_i32 s16, s16, s17
	s_lshr_b32 s21, s16, s13
	s_add_i32 s21, s21, s3
	s_cmp_lt_i32 s21, s8
	s_cselect_b64 s[16:17], -1, 0
	s_add_i32 s22, s22, s4
	s_cmp_lt_i32 s22, s10
	s_cselect_b64 s[18:19], -1, 0
	s_and_b64 s[16:17], s[16:17], s[18:19]
	s_andn2_b64 vcc, exec, s[16:17]
	s_cbranch_vccnz .LBB32_23
; %bb.8:
	s_load_dwordx4 s[16:19], s[0:1], 0x0
	s_mov_b32 s0, 0
	s_lshl_b32 s24, s5, 4
	s_mov_b32 s25, s0
	s_mul_i32 s15, s15, s8
	s_waitcnt lgkmcnt(0)
	v_mov_b32_e32 v2, s16
	v_mov_b32_e32 v3, s17
	s_lshl_b64 s[16:17], s[24:25], 2
	s_add_u32 s16, s18, s16
	s_addc_u32 s17, s19, s17
	s_mul_i32 s20, s20, s10
	s_add_i32 s1, s21, s15
	s_mul_i32 s1, s1, s9
	s_add_i32 s8, s22, s20
	s_add_i32 s8, s8, s1
	v_lshl_or_b32 v4, s8, 6, v0
	v_ashrrev_i32_e32 v5, 31, v4
	v_lshl_add_u64 v[2:3], v[4:5], 2, v[2:3]
	global_load_dword v1, v[2:3], off
	s_add_i32 s1, s3, s2
	v_cvt_f32_u32_e32 v4, s5
	s_lshl_b32 s1, s1, 2
	s_add_i32 s8, s1, s4
	s_ashr_i32 s9, s8, 31
	s_lshl_b64 s[8:9], s[8:9], 3
	v_rcp_iflag_f32_e32 v4, v4
	s_add_u32 s8, s18, s8
	s_addc_u32 s9, s19, s9
	s_load_dwordx2 s[8:9], s[8:9], 0x0
	v_mul_f32_e32 v4, 0x4f7ffffe, v4
	v_cvt_u32_f32_e32 v7, v4
	s_add_i32 s25, s2, -1
	v_lshl_or_b32 v6, s4, 6, v0
	s_waitcnt lgkmcnt(0)
	v_mov_b32_e32 v0, s9
	v_mov_b32_e32 v9, s8
	s_mov_b32 s2, 0x3fb8aa3b
	s_mov_b32 s10, 0xc2ce8ed0
	;; [unrolled: 1-line block ×4, first 2 shown]
	v_mov_b32_e32 v8, 0x7f800000
	s_mul_hi_i32 s1, s25, s11
	s_cmp_lg_u64 s[0:1], 0
	s_mul_i32 s22, s25, s11
	s_cbranch_scc0 .LBB32_19
.LBB32_9:
	s_add_u32 s8, s5, 0
	s_addc_u32 s9, 0, 0
	s_xor_b64 s[8:9], s[8:9], 0
	v_cvt_f32_u32_e32 v4, s8
	v_cvt_f32_u32_e32 v5, s9
	s_sub_u32 s23, 0, s8
	s_subb_u32 s26, 0, s9
	v_fmac_f32_e32 v4, 0x4f800000, v5
	v_rcp_f32_e32 v4, v4
	s_nop 0
	v_mul_f32_e32 v4, 0x5f7ffffc, v4
	v_mul_f32_e32 v5, 0x2f800000, v4
	v_trunc_f32_e32 v5, v5
	v_fmac_f32_e32 v4, 0xcf800000, v5
	v_cvt_u32_f32_e32 v5, v5
	v_cvt_u32_f32_e32 v4, v4
	v_readfirstlane_b32 s27, v5
	v_readfirstlane_b32 s20, v4
	s_mul_i32 s21, s23, s27
	s_mul_hi_u32 s29, s23, s20
	s_mul_i32 s28, s26, s20
	s_add_i32 s21, s29, s21
	s_mul_i32 s30, s23, s20
	s_add_i32 s21, s21, s28
	s_mul_i32 s29, s20, s21
	s_mul_hi_u32 s31, s20, s30
	s_mul_hi_u32 s28, s20, s21
	s_add_u32 s29, s31, s29
	s_addc_u32 s28, 0, s28
	s_mul_hi_u32 s33, s27, s30
	s_mul_i32 s30, s27, s30
	s_add_u32 s29, s29, s30
	s_mul_hi_u32 s31, s27, s21
	s_addc_u32 s28, s28, s33
	s_addc_u32 s29, s31, 0
	s_mul_i32 s21, s27, s21
	s_add_u32 s21, s28, s21
	s_addc_u32 s28, 0, s29
	s_add_u32 s29, s20, s21
	s_cselect_b64 s[20:21], -1, 0
	s_cmp_lg_u64 s[20:21], 0
	s_addc_u32 s27, s27, s28
	s_mul_i32 s20, s23, s27
	s_mul_hi_u32 s21, s23, s29
	s_add_i32 s20, s21, s20
	s_mul_i32 s26, s26, s29
	s_add_i32 s20, s20, s26
	s_mul_i32 s23, s23, s29
	s_mul_hi_u32 s26, s27, s23
	s_mul_i32 s28, s27, s23
	s_mul_i32 s31, s29, s20
	s_mul_hi_u32 s23, s29, s23
	s_mul_hi_u32 s30, s29, s20
	s_add_u32 s23, s23, s31
	s_addc_u32 s30, 0, s30
	s_add_u32 s23, s23, s28
	s_mul_hi_u32 s21, s27, s20
	s_addc_u32 s23, s30, s26
	s_addc_u32 s21, s21, 0
	s_mul_i32 s20, s27, s20
	s_add_u32 s20, s23, s20
	s_addc_u32 s23, 0, s21
	s_add_u32 s28, s29, s20
	s_cselect_b64 s[20:21], -1, 0
	s_cmp_lg_u64 s[20:21], 0
	s_addc_u32 s23, s27, s23
	s_ashr_i32 s20, s1, 31
	s_add_u32 s26, s22, s20
	s_mov_b32 s21, s20
	s_addc_u32 s27, s1, s20
	s_xor_b64 s[26:27], s[26:27], s[20:21]
	s_mul_i32 s29, s26, s23
	s_mul_hi_u32 s30, s26, s28
	s_mul_hi_u32 s1, s26, s23
	s_add_u32 s29, s30, s29
	s_addc_u32 s1, 0, s1
	s_mul_hi_u32 s31, s27, s28
	s_mul_i32 s28, s27, s28
	s_add_u32 s28, s29, s28
	s_mul_hi_u32 s30, s27, s23
	s_addc_u32 s1, s1, s31
	s_addc_u32 s28, s30, 0
	s_mul_i32 s23, s27, s23
	s_add_u32 s1, s1, s23
	s_addc_u32 s23, 0, s28
	s_mul_i32 s28, s8, s23
	s_mul_hi_u32 s29, s8, s1
	s_add_i32 s28, s29, s28
	s_mul_i32 s29, s9, s1
	s_add_i32 s33, s28, s29
	s_sub_i32 s30, s27, s33
	s_mul_i32 s28, s8, s1
	s_sub_u32 s26, s26, s28
	s_cselect_b64 s[28:29], -1, 0
	s_cmp_lg_u64 s[28:29], 0
	s_subb_u32 s34, s30, s9
	s_sub_u32 s35, s26, s8
	s_cselect_b64 s[30:31], -1, 0
	s_cmp_lg_u64 s[30:31], 0
	s_subb_u32 s30, s34, 0
	s_cmp_ge_u32 s30, s9
	s_cselect_b32 s31, -1, 0
	s_cmp_ge_u32 s35, s8
	s_cselect_b32 s34, -1, 0
	s_cmp_eq_u32 s30, s9
	s_cselect_b32 s30, s34, s31
	s_add_u32 s31, s1, 1
	s_addc_u32 s34, s23, 0
	s_add_u32 s35, s1, 2
	s_addc_u32 s36, s23, 0
	s_cmp_lg_u32 s30, 0
	s_cselect_b32 s30, s35, s31
	s_cselect_b32 s31, s36, s34
	s_cmp_lg_u64 s[28:29], 0
	s_subb_u32 s27, s27, s33
	s_cmp_ge_u32 s27, s9
	s_cselect_b32 s28, -1, 0
	s_cmp_ge_u32 s26, s8
	s_cselect_b32 s8, -1, 0
	s_cmp_eq_u32 s27, s9
	s_cselect_b32 s8, s8, s28
	s_cmp_lg_u32 s8, 0
	s_cselect_b32 s9, s31, s23
	s_cselect_b32 s8, s30, s1
	s_xor_b64 s[20:21], s[20:21], 0
	s_xor_b64 s[8:9], s[8:9], s[20:21]
	s_sub_u32 s20, s8, s20
	s_cbranch_execnz .LBB32_11
.LBB32_10:
	s_sub_i32 s1, 0, s5
	v_readfirstlane_b32 s8, v7
	s_mul_i32 s1, s1, s8
	s_mul_hi_u32 s1, s8, s1
	s_add_i32 s8, s8, s1
	s_mul_hi_u32 s1, s22, s8
	s_mul_i32 s9, s1, s5
	s_sub_i32 s9, s22, s9
	s_add_i32 s8, s1, 1
	s_sub_i32 s20, s9, s5
	s_cmp_ge_u32 s9, s5
	s_cselect_b32 s1, s8, s1
	s_cselect_b32 s9, s20, s9
	s_add_i32 s8, s1, 1
	s_cmp_ge_u32 s9, s5
	s_cselect_b32 s20, s8, s1
.LBB32_11:
	s_cmp_lg_u32 s6, s20
	s_cbranch_scc0 .LBB32_15
; %bb.12:
	s_add_i32 s21, s25, s3
	s_add_i32 s1, s21, s5
	s_lshl_b32 s1, s1, 2
	s_add_i32 s8, s1, s4
	s_mov_b32 s9, s0
	s_lshl_b64 s[8:9], s[8:9], 3
	s_add_u32 s22, s18, s8
	s_mul_hi_u32 s1, s20, s12
	s_addc_u32 s23, s19, s9
	s_add_i32 s1, s1, s20
	s_lshr_b32 s1, s1, s13
	s_mul_i32 s8, s1, s14
	s_cmp_eq_u32 s8, s20
	s_cselect_b64 s[8:9], -1, 0
	s_cmp_lt_u32 s1, s7
	s_cselect_b64 s[26:27], -1, 0
	s_or_b64 s[26:27], s[26:27], s[8:9]
	s_mov_b64 s[8:9], -1
	s_and_b64 vcc, exec, s[26:27]
	s_mov_b32 s1, s25
	s_mov_b32 s26, s6
	s_cbranch_vccnz .LBB32_14
; %bb.13:
	s_add_i32 s1, s25, -1
	s_mov_b64 s[8:9], 0
	s_mov_b32 s26, s20
.LBB32_14:
	v_lshl_add_u32 v4, s21, 8, v6
	v_ashrrev_i32_e32 v5, 31, v4
	v_lshl_add_u64 v[4:5], v[4:5], 2, s[16:17]
	global_load_dword v5, v[4:5], off
	s_load_dwordx2 s[20:21], s[22:23], 0x0
	v_max_f32_e32 v4, v9, v9
	s_waitcnt lgkmcnt(0)
	v_max_f32_e64 v10, s20, s20
	v_max_f32_e32 v10, v4, v10
	v_sub_f32_e32 v11, v9, v10
	v_sub_f32_e32 v13, s20, v10
	v_mul_f32_e32 v4, 0x3fb8aa3b, v11
	v_mul_f32_e32 v12, 0x3fb8aa3b, v13
	v_fma_f32 v14, v11, s2, -v4
	v_rndne_f32_e32 v15, v4
	v_fma_f32 v16, v13, s2, -v12
	v_rndne_f32_e32 v17, v12
	v_fmac_f32_e32 v14, 0x32a5705f, v11
	v_sub_f32_e32 v4, v4, v15
	v_fmac_f32_e32 v16, 0x32a5705f, v13
	v_sub_f32_e32 v12, v12, v17
	v_add_f32_e32 v4, v4, v14
	v_cvt_i32_f32_e32 v15, v15
	v_add_f32_e32 v12, v12, v16
	v_exp_f32_e32 v14, v4
	v_cvt_i32_f32_e32 v17, v17
	v_exp_f32_e32 v12, v12
	v_cmp_ngt_f32_e32 vcc, s10, v11
	v_ldexp_f32 v14, v14, v15
	v_mov_b32_e32 v4, s21
	v_ldexp_f32 v12, v12, v17
	v_cndmask_b32_e32 v14, 0, v14, vcc
	v_cmp_ngt_f32_e32 vcc, s10, v13
	s_nop 1
	v_cndmask_b32_e32 v12, 0, v12, vcc
	v_cmp_nlt_f32_e32 vcc, s15, v11
	s_nop 1
	v_cndmask_b32_e32 v14, v8, v14, vcc
	v_cmp_nlt_f32_e32 vcc, s15, v13
	s_nop 1
	v_cndmask_b32_e32 v15, v8, v12, vcc
	v_cmp_le_f32_e32 vcc, s24, v11
	s_nop 1
	v_cndmask_b32_e32 v12, 0, v14, vcc
	v_cmp_le_f32_e32 vcc, s24, v13
	s_nop 1
	v_cndmask_b32_e32 v14, 0, v15, vcc
	s_waitcnt vmcnt(0)
	v_pk_mul_f32 v[4:5], v[4:5], v[14:15] op_sel_hi:[1,0]
	s_nop 0
	v_pk_fma_f32 v[4:5], v[0:1], v[12:13], v[4:5] op_sel_hi:[1,0,1]
	s_cbranch_execz .LBB32_16
	s_branch .LBB32_17
.LBB32_15:
                                        ; implicit-def: $vgpr4_vgpr5
                                        ; implicit-def: $sgpr8_sgpr9
                                        ; implicit-def: $vgpr10
                                        ; implicit-def: $sgpr1
                                        ; implicit-def: $sgpr26
.LBB32_16:
	s_add_i32 s1, s25, -1
	s_mov_b64 s[8:9], 0
	s_mov_b32 s26, s6
	v_mov_b32_e32 v10, v9
	s_waitcnt vmcnt(0)
	v_mov_b64_e32 v[4:5], v[0:1]
.LBB32_17:
	s_andn2_b64 vcc, exec, s[8:9]
	s_cbranch_vccz .LBB32_22
; %bb.18:
	s_mov_b32 s6, s26
	s_mov_b32 s25, s1
	v_mov_b32_e32 v9, v10
	s_waitcnt vmcnt(0)
	v_mov_b64_e32 v[0:1], v[4:5]
	s_mul_hi_i32 s1, s25, s11
	s_cmp_lg_u64 s[0:1], 0
	s_mul_i32 s22, s25, s11
	s_cbranch_scc1 .LBB32_9
.LBB32_19:
                                        ; implicit-def: $sgpr20_sgpr21
	s_branch .LBB32_10
.LBB32_20:
                                        ; implicit-def: $sgpr6_sgpr7
	s_load_dwordx4 s[12:15], s[0:1], 0x44
	s_branch .LBB32_2
.LBB32_21:
                                        ; implicit-def: $sgpr18_sgpr19
	s_branch .LBB32_5
.LBB32_22:
	v_div_scale_f32 v0, s[0:1], v4, v4, v5
	s_waitcnt vmcnt(0)
	v_rcp_f32_e32 v1, v0
	v_div_scale_f32 v6, vcc, v5, v4, v5
	v_fma_f32 v7, -v0, v1, 1.0
	v_fmac_f32_e32 v1, v7, v1
	v_mul_f32_e32 v7, v6, v1
	v_fma_f32 v8, -v0, v7, v6
	v_fmac_f32_e32 v7, v8, v1
	v_fma_f32 v0, -v0, v7, v6
	v_div_fmas_f32 v0, v0, v1, v7
	v_div_fixup_f32 v0, v0, v4, v5
	global_store_dword v[2:3], v0, off
.LBB32_23:
	s_endpgm
	.section	.rodata,"a",@progbits
	.p2align	6, 0x0
	.amdhsa_kernel _ZL33flash_attn_stream_k_fixup_generalILi64ELi1ELi4EEvPfPK15HIP_vector_typeIfLj2EEiiiiS1_IjLj3EES5_S5_S5_
		.amdhsa_group_segment_fixed_size 0
		.amdhsa_private_segment_fixed_size 0
		.amdhsa_kernarg_size 336
		.amdhsa_user_sgpr_count 2
		.amdhsa_user_sgpr_dispatch_ptr 0
		.amdhsa_user_sgpr_queue_ptr 0
		.amdhsa_user_sgpr_kernarg_segment_ptr 1
		.amdhsa_user_sgpr_dispatch_id 0
		.amdhsa_user_sgpr_kernarg_preload_length 0
		.amdhsa_user_sgpr_kernarg_preload_offset 0
		.amdhsa_user_sgpr_private_segment_size 0
		.amdhsa_uses_dynamic_stack 0
		.amdhsa_enable_private_segment 0
		.amdhsa_system_sgpr_workgroup_id_x 1
		.amdhsa_system_sgpr_workgroup_id_y 1
		.amdhsa_system_sgpr_workgroup_id_z 1
		.amdhsa_system_sgpr_workgroup_info 0
		.amdhsa_system_vgpr_workitem_id 0
		.amdhsa_next_free_vgpr 18
		.amdhsa_next_free_sgpr 37
		.amdhsa_accum_offset 20
		.amdhsa_reserve_vcc 1
		.amdhsa_float_round_mode_32 0
		.amdhsa_float_round_mode_16_64 0
		.amdhsa_float_denorm_mode_32 3
		.amdhsa_float_denorm_mode_16_64 3
		.amdhsa_dx10_clamp 1
		.amdhsa_ieee_mode 1
		.amdhsa_fp16_overflow 0
		.amdhsa_tg_split 0
		.amdhsa_exception_fp_ieee_invalid_op 0
		.amdhsa_exception_fp_denorm_src 0
		.amdhsa_exception_fp_ieee_div_zero 0
		.amdhsa_exception_fp_ieee_overflow 0
		.amdhsa_exception_fp_ieee_underflow 0
		.amdhsa_exception_fp_ieee_inexact 0
		.amdhsa_exception_int_div_zero 0
	.end_amdhsa_kernel
	.section	.text._ZL33flash_attn_stream_k_fixup_generalILi64ELi1ELi4EEvPfPK15HIP_vector_typeIfLj2EEiiiiS1_IjLj3EES5_S5_S5_,"axG",@progbits,_ZL33flash_attn_stream_k_fixup_generalILi64ELi1ELi4EEvPfPK15HIP_vector_typeIfLj2EEiiiiS1_IjLj3EES5_S5_S5_,comdat
.Lfunc_end32:
	.size	_ZL33flash_attn_stream_k_fixup_generalILi64ELi1ELi4EEvPfPK15HIP_vector_typeIfLj2EEiiiiS1_IjLj3EES5_S5_S5_, .Lfunc_end32-_ZL33flash_attn_stream_k_fixup_generalILi64ELi1ELi4EEvPfPK15HIP_vector_typeIfLj2EEiiiiS1_IjLj3EES5_S5_S5_
                                        ; -- End function
	.set _ZL33flash_attn_stream_k_fixup_generalILi64ELi1ELi4EEvPfPK15HIP_vector_typeIfLj2EEiiiiS1_IjLj3EES5_S5_S5_.num_vgpr, 18
	.set _ZL33flash_attn_stream_k_fixup_generalILi64ELi1ELi4EEvPfPK15HIP_vector_typeIfLj2EEiiiiS1_IjLj3EES5_S5_S5_.num_agpr, 0
	.set _ZL33flash_attn_stream_k_fixup_generalILi64ELi1ELi4EEvPfPK15HIP_vector_typeIfLj2EEiiiiS1_IjLj3EES5_S5_S5_.numbered_sgpr, 37
	.set _ZL33flash_attn_stream_k_fixup_generalILi64ELi1ELi4EEvPfPK15HIP_vector_typeIfLj2EEiiiiS1_IjLj3EES5_S5_S5_.num_named_barrier, 0
	.set _ZL33flash_attn_stream_k_fixup_generalILi64ELi1ELi4EEvPfPK15HIP_vector_typeIfLj2EEiiiiS1_IjLj3EES5_S5_S5_.private_seg_size, 0
	.set _ZL33flash_attn_stream_k_fixup_generalILi64ELi1ELi4EEvPfPK15HIP_vector_typeIfLj2EEiiiiS1_IjLj3EES5_S5_S5_.uses_vcc, 1
	.set _ZL33flash_attn_stream_k_fixup_generalILi64ELi1ELi4EEvPfPK15HIP_vector_typeIfLj2EEiiiiS1_IjLj3EES5_S5_S5_.uses_flat_scratch, 0
	.set _ZL33flash_attn_stream_k_fixup_generalILi64ELi1ELi4EEvPfPK15HIP_vector_typeIfLj2EEiiiiS1_IjLj3EES5_S5_S5_.has_dyn_sized_stack, 0
	.set _ZL33flash_attn_stream_k_fixup_generalILi64ELi1ELi4EEvPfPK15HIP_vector_typeIfLj2EEiiiiS1_IjLj3EES5_S5_S5_.has_recursion, 0
	.set _ZL33flash_attn_stream_k_fixup_generalILi64ELi1ELi4EEvPfPK15HIP_vector_typeIfLj2EEiiiiS1_IjLj3EES5_S5_S5_.has_indirect_call, 0
	.section	.AMDGPU.csdata,"",@progbits
; Kernel info:
; codeLenInByte = 2924
; TotalNumSgprs: 43
; NumVgprs: 18
; NumAgprs: 0
; TotalNumVgprs: 18
; ScratchSize: 0
; MemoryBound: 0
; FloatMode: 240
; IeeeMode: 1
; LDSByteSize: 0 bytes/workgroup (compile time only)
; SGPRBlocks: 5
; VGPRBlocks: 2
; NumSGPRsForWavesPerEU: 43
; NumVGPRsForWavesPerEU: 18
; AccumOffset: 20
; Occupancy: 8
; WaveLimiterHint : 0
; COMPUTE_PGM_RSRC2:SCRATCH_EN: 0
; COMPUTE_PGM_RSRC2:USER_SGPR: 2
; COMPUTE_PGM_RSRC2:TRAP_HANDLER: 0
; COMPUTE_PGM_RSRC2:TGID_X_EN: 1
; COMPUTE_PGM_RSRC2:TGID_Y_EN: 1
; COMPUTE_PGM_RSRC2:TGID_Z_EN: 1
; COMPUTE_PGM_RSRC2:TIDIG_COMP_CNT: 0
; COMPUTE_PGM_RSRC3_GFX90A:ACCUM_OFFSET: 4
; COMPUTE_PGM_RSRC3_GFX90A:TG_SPLIT: 0
	.section	.text._ZL15flash_attn_tileILi64ELi64ELi32ELi2ELb0EEvPKcS1_S1_S1_S1_PKiPfP15HIP_vector_typeIfLj2EEffffjfiS5_IjLj3EEiiiiiiiiiiiliiliiiiil,"axG",@progbits,_ZL15flash_attn_tileILi64ELi64ELi32ELi2ELb0EEvPKcS1_S1_S1_S1_PKiPfP15HIP_vector_typeIfLj2EEffffjfiS5_IjLj3EEiiiiiiiiiiiliiliiiiil,comdat
	.globl	_ZL15flash_attn_tileILi64ELi64ELi32ELi2ELb0EEvPKcS1_S1_S1_S1_PKiPfP15HIP_vector_typeIfLj2EEffffjfiS5_IjLj3EEiiiiiiiiiiiliiliiiiil ; -- Begin function _ZL15flash_attn_tileILi64ELi64ELi32ELi2ELb0EEvPKcS1_S1_S1_S1_PKiPfP15HIP_vector_typeIfLj2EEffffjfiS5_IjLj3EEiiiiiiiiiiiliiliiiiil
	.p2align	8
	.type	_ZL15flash_attn_tileILi64ELi64ELi32ELi2ELb0EEvPKcS1_S1_S1_S1_PKiPfP15HIP_vector_typeIfLj2EEffffjfiS5_IjLj3EEiiiiiiiiiiiliiliiiiil,@function
_ZL15flash_attn_tileILi64ELi64ELi32ELi2ELb0EEvPKcS1_S1_S1_S1_PKiPfP15HIP_vector_typeIfLj2EEffffjfiS5_IjLj3EEiiiiiiiiiiiliiliiiiil: ; @_ZL15flash_attn_tileILi64ELi64ELi32ELi2ELb0EEvPKcS1_S1_S1_S1_PKiPfP15HIP_vector_typeIfLj2EEffffjfiS5_IjLj3EEiiiiiiiiiiiliiliiiiil
; %bb.0:
	s_load_dwordx4 s[20:23], s[0:1], 0x5c
	s_load_dwordx2 s[30:31], s[0:1], 0x80
	s_load_dwordx2 s[36:37], s[0:1], 0xb8
	s_mov_b64 s[34:35], 0
	s_waitcnt lgkmcnt(0)
	s_lshr_b32 s5, s23, 31
	s_add_i32 s5, s23, s5
	s_ashr_i32 s5, s5, 1
	v_cvt_f32_u32_e32 v1, s5
	s_sub_i32 s6, 0, s5
	v_rcp_iflag_f32_e32 v1, v1
	s_nop 0
	v_mul_f32_e32 v1, 0x4f7ffffe, v1
	v_cvt_u32_f32_e32 v1, v1
	s_nop 0
	v_readfirstlane_b32 s7, v1
	s_mul_i32 s6, s6, s7
	s_mul_hi_u32 s6, s7, s6
	s_add_i32 s7, s7, s6
	s_mul_hi_u32 s6, s4, s7
	s_mul_i32 s7, s6, s5
	s_sub_i32 s7, s4, s7
	s_add_i32 s8, s6, 1
	s_sub_i32 s9, s7, s5
	s_cmp_ge_u32 s7, s5
	s_cselect_b32 s6, s8, s6
	s_cselect_b32 s7, s9, s7
	s_add_i32 s8, s6, 1
	s_cmp_ge_u32 s7, s5
	s_cselect_b32 s33, s8, s6
	s_abs_i32 s5, s31
	v_cvt_f32_u32_e32 v1, s5
	s_lshl_b32 s4, s4, 1
	s_mul_i32 s8, s33, s23
	s_sub_i32 s9, 0, s5
	v_rcp_iflag_f32_e32 v1, v1
	s_sub_i32 s28, s4, s8
	s_abs_i32 s7, s23
	s_xor_b32 s6, s23, s31
	v_mul_f32_e32 v1, 0x4f7ffffe, v1
	v_cvt_u32_f32_e32 v1, v1
	s_ashr_i32 s6, s6, 31
	v_readfirstlane_b32 s4, v1
	s_mul_i32 s9, s9, s4
	s_mul_hi_u32 s8, s4, s9
	s_add_i32 s4, s4, s8
	s_mul_hi_u32 s4, s7, s4
	s_mul_i32 s8, s4, s5
	s_sub_i32 s7, s7, s8
	s_add_i32 s9, s4, 1
	s_sub_i32 s8, s7, s5
	s_cmp_ge_u32 s7, s5
	s_cselect_b32 s4, s9, s4
	s_cselect_b32 s7, s8, s7
	s_add_i32 s8, s4, 1
	s_cmp_ge_u32 s7, s5
	s_cselect_b32 s4, s8, s4
	s_xor_b32 s4, s4, s6
	s_sub_i32 s31, s4, s6
	s_abs_i32 s29, s31
	v_cvt_f32_u32_e32 v1, s29
	s_load_dwordx16 s[4:19], s[0:1], 0x0
	v_rcp_iflag_f32_e32 v1, v1
	s_waitcnt lgkmcnt(0)
	s_cmp_eq_u64 s[10:11], 0
	v_mul_f32_e32 v1, 0x4f7ffffe, v1
	v_cvt_u32_f32_e32 v1, v1
	s_nop 0
	v_readfirstlane_b32 s38, v1
	s_cbranch_scc1 .LBB33_2
; %bb.1:
	s_abs_i32 s26, s36
	v_cvt_f32_u32_e32 v1, s26
	s_sub_i32 s35, 0, s26
	s_abs_i32 s34, s33
	s_ashr_i32 s27, s33, 31
	v_rcp_iflag_f32_e32 v1, v1
	s_load_dwordx2 s[24:25], s[0:1], 0xc8
	v_mul_f32_e32 v1, 0x4f7ffffe, v1
	v_cvt_u32_f32_e32 v1, v1
	s_nop 0
	v_readfirstlane_b32 s36, v1
	s_mul_i32 s35, s35, s36
	s_mul_hi_u32 s35, s36, s35
	s_add_i32 s36, s36, s35
	s_mul_hi_u32 s35, s34, s36
	s_mul_i32 s35, s35, s26
	s_sub_i32 s34, s34, s35
	s_sub_i32 s35, s34, s26
	s_cmp_ge_u32 s34, s26
	s_cselect_b32 s34, s35, s34
	s_sub_i32 s35, s34, s26
	s_cmp_ge_u32 s34, s26
	s_cselect_b32 s26, s35, s34
	s_xor_b32 s26, s26, s27
	s_sub_i32 s26, s26, s27
	s_ashr_i32 s27, s26, 31
	s_waitcnt lgkmcnt(0)
	s_mul_hi_u32 s34, s24, s26
	s_mul_i32 s27, s24, s27
	s_mul_i32 s25, s25, s26
	s_add_i32 s27, s34, s27
	s_add_i32 s27, s27, s25
	s_mul_i32 s24, s24, s26
	s_add_u32 s34, s10, s24
	s_addc_u32 s35, s11, s27
.LBB33_2:
	s_load_dwordx4 s[24:27], s[0:1], 0x70
	v_bfe_u32 v1, v0, 10, 10
	v_lshlrev_b32_e32 v24, 3, v1
	v_or_b32_e32 v25, 2, v24
	s_waitcnt lgkmcnt(0)
	s_lshl_b32 s27, s2, 5
	s_mul_i32 s10, s33, s26
	v_lshrrev_b32_e32 v68, 1, v25
	s_ashr_i32 s26, s10, 31
	v_add_u32_e32 v69, s27, v68
	s_mul_i32 s11, s28, s25
	s_add_u32 s4, s4, s10
	v_mul_hi_u32 v8, v69, s20
	s_addc_u32 s5, s5, s26
	s_ashr_i32 s26, s11, 31
	v_add_u32_e32 v8, v69, v8
	s_add_u32 s10, s4, s11
	v_lshrrev_b32_e32 v8, s21, v8
	s_addc_u32 s11, s5, s26
	s_ashr_i32 s41, s24, 31
	s_mov_b32 s40, s24
	v_mul_lo_u32 v8, v8, s22
	s_lshr_b64 s[4:5], s[40:41], 2
	v_lshlrev_b32_e32 v70, 2, v1
	v_sub_u32_e32 v11, v69, v8
	v_add_u32_e32 v72, s27, v70
	s_lshr_b32 s36, s41, 2
	v_mad_u64_u32 v[8:9], s[40:41], s4, v11, 0
	v_or_b32_e32 v26, 3, v24
	v_and_b32_e32 v71, 0x3ff, v0
	v_mul_hi_u32 v0, v72, s20
	v_mov_b32_e32 v10, v9
	v_lshrrev_b32_e32 v66, 1, v26
	v_add_u32_e32 v0, v72, v0
	v_mad_u64_u32 v[10:11], s[40:41], s36, v11, v[10:11]
	v_add_u32_e32 v67, s27, v66
	v_lshrrev_b32_e32 v0, s21, v0
	v_mov_b32_e32 v9, v10
	v_mul_hi_u32 v10, v67, s20
	v_mul_lo_u32 v0, v0, s22
	v_add_u32_e32 v10, v67, v10
	v_sub_u32_e32 v0, v72, v0
	v_lshrrev_b32_e32 v10, s21, v10
	v_mad_u64_u32 v[2:3], s[42:43], s4, v0, 0
	v_mul_lo_u32 v10, v10, s22
	v_mov_b32_e32 v4, v3
	v_sub_u32_e32 v13, v67, v10
	s_ashr_i32 s26, s25, 31
	v_mad_u64_u32 v[4:5], s[40:41], s36, v0, v[4:5]
	s_and_b32 s5, s25, -4
	v_mad_u64_u32 v[10:11], s[40:41], s4, v13, 0
	v_mov_b32_e32 v3, v4
	s_add_u32 s24, s10, s5
	v_mov_b32_e32 v12, v11
	v_lshlrev_b64 v[2:3], 2, v[2:3]
	s_addc_u32 s25, s11, s26
	v_mad_u64_u32 v[12:13], s[40:41], s36, v13, v[12:13]
	v_or_b32_e32 v27, 4, v24
	v_lshl_add_u64 v[4:5], s[10:11], 0, v[2:3]
	v_lshlrev_b32_e32 v6, 3, v71
	v_mov_b32_e32 v7, 0
	v_lshl_add_u64 v[2:3], s[24:25], 0, v[2:3]
	v_mov_b32_e32 v11, v12
	v_lshrrev_b32_e32 v64, 1, v27
	v_lshl_add_u64 v[4:5], v[4:5], 0, v[6:7]
	v_lshl_add_u64 v[2:3], v[2:3], 0, v[6:7]
	;; [unrolled: 1-line block ×4, first 2 shown]
	v_add_u32_e32 v65, s27, v64
	v_lshl_add_u64 v[8:9], v[8:9], 0, v[6:7]
	v_lshl_add_u64 v[10:11], v[10:11], 0, v[6:7]
	global_load_dwordx2 v[12:13], v[4:5], off
	global_load_dwordx2 v[14:15], v[2:3], off
	;; [unrolled: 1-line block ×4, first 2 shown]
	v_mul_hi_u32 v2, v65, s20
	v_add_u32_e32 v2, v65, v2
	v_lshrrev_b32_e32 v2, s21, v2
	v_mul_lo_u32 v2, v2, s22
	v_sub_u32_e32 v5, v65, v2
	v_mad_u64_u32 v[2:3], s[40:41], s4, v5, 0
	v_or_b32_e32 v28, 5, v24
	v_mov_b32_e32 v4, v3
	v_lshrrev_b32_e32 v62, 1, v28
	v_mad_u64_u32 v[4:5], s[40:41], s36, v5, v[4:5]
	v_add_u32_e32 v63, s27, v62
	v_mov_b32_e32 v3, v4
	v_mul_hi_u32 v4, v63, s20
	v_add_u32_e32 v4, v63, v4
	v_lshrrev_b32_e32 v4, s21, v4
	v_mul_lo_u32 v4, v4, s22
	v_sub_u32_e32 v9, v63, v4
	v_mad_u64_u32 v[4:5], s[40:41], s4, v9, 0
	v_or_b32_e32 v29, 6, v24
	v_mov_b32_e32 v8, v5
	v_lshrrev_b32_e32 v60, 1, v29
	v_mad_u64_u32 v[8:9], s[40:41], s36, v9, v[8:9]
	v_add_u32_e32 v61, s27, v60
	v_mov_b32_e32 v5, v8
	v_mul_hi_u32 v8, v61, s20
	v_add_u32_e32 v8, v61, v8
	v_lshrrev_b32_e32 v8, s21, v8
	v_mul_lo_u32 v8, v8, s22
	v_sub_u32_e32 v11, v61, v8
	v_mad_u64_u32 v[8:9], s[40:41], s4, v11, 0
	v_mov_b32_e32 v10, v9
	v_mad_u64_u32 v[10:11], s[40:41], s36, v11, v[10:11]
	v_mov_b32_e32 v9, v10
	v_lshl_add_u64 v[2:3], v[2:3], 2, s[10:11]
	v_lshl_add_u64 v[8:9], v[8:9], 2, s[10:11]
	;; [unrolled: 1-line block ×6, first 2 shown]
	global_load_dwordx2 v[10:11], v[2:3], off
	global_load_dwordx2 v[20:21], v[4:5], off
	;; [unrolled: 1-line block ×3, first 2 shown]
	v_or_b32_e32 v8, 7, v24
	v_lshrrev_b32_e32 v58, 1, v8
	v_add_u32_e32 v59, s27, v58
	v_mul_hi_u32 v2, v59, s20
	v_add_u32_e32 v2, v59, v2
	v_lshrrev_b32_e32 v2, s21, v2
	v_mul_lo_u32 v2, v2, s22
	v_sub_u32_e32 v5, v59, v2
	v_mad_u64_u32 v[2:3], s[4:5], s4, v5, 0
	v_mov_b32_e32 v4, v3
	v_mad_u64_u32 v[4:5], s[4:5], s36, v5, v[4:5]
	v_mov_b32_e32 v3, v4
	v_lshl_add_u64 v[2:3], v[2:3], 2, s[24:25]
	v_lshl_add_u64 v[2:3], v[2:3], 0, v[6:7]
	global_load_dwordx2 v[2:3], v[2:3], off
	s_load_dword s4, s[0:1], 0x40
	v_mov_b32_e32 v4, 0x4400
	v_lshl_add_u32 v4, v71, 2, v4
	v_lshlrev_b32_e32 v1, 10, v1
	v_add_u32_e32 v5, v4, v1
	s_cmp_eq_u64 s[14:15], 0
	s_waitcnt vmcnt(7) lgkmcnt(0)
	v_fma_mixlo_f16 v7, s4, v13, 0
	v_fma_mixlo_f16 v6, s4, v12, 0
	v_lshlrev_b32_e32 v7, 16, v7
	s_waitcnt vmcnt(6)
	v_fma_mixlo_f16 v9, s4, v15, 0
	v_or_b32_sdwa v6, v7, v6 dst_sel:DWORD dst_unused:UNUSED_PAD src0_sel:DWORD src1_sel:WORD_0
	v_fma_mixlo_f16 v7, s4, v14, 0
	v_lshlrev_b32_e32 v9, 16, v9
	v_or_b32_sdwa v7, v9, v7 dst_sel:DWORD dst_unused:UNUSED_PAD src0_sel:DWORD src1_sel:WORD_0
	ds_write2_b32 v5, v6, v7 offset1:32
	s_waitcnt vmcnt(5)
	v_fma_mixlo_f16 v7, s4, v17, 0
	v_fma_mixlo_f16 v6, s4, v16, 0
	v_lshlrev_b32_e32 v7, 16, v7
	v_lshl_add_u32 v5, v25, 7, v4
	v_or_b32_sdwa v6, v7, v6 dst_sel:DWORD dst_unused:UNUSED_PAD src0_sel:DWORD src1_sel:WORD_0
	s_waitcnt vmcnt(4)
	v_fma_mixlo_f16 v7, s4, v19, 0
	ds_write_b32 v5, v6
	v_fma_mixlo_f16 v6, s4, v18, 0
	v_lshlrev_b32_e32 v7, 16, v7
	v_lshl_add_u32 v5, v26, 7, v4
	v_or_b32_sdwa v6, v7, v6 dst_sel:DWORD dst_unused:UNUSED_PAD src0_sel:DWORD src1_sel:WORD_0
	ds_write_b32 v5, v6
	v_lshl_add_u32 v5, v27, 7, v4
	s_waitcnt vmcnt(3)
	v_fma_mixlo_f16 v7, s4, v11, 0
	v_fma_mixlo_f16 v6, s4, v10, 0
	v_lshlrev_b32_e32 v7, 16, v7
	v_or_b32_sdwa v6, v7, v6 dst_sel:DWORD dst_unused:UNUSED_PAD src0_sel:DWORD src1_sel:WORD_0
	s_waitcnt vmcnt(2)
	v_fma_mixlo_f16 v7, s4, v21, 0
	ds_write_b32 v5, v6
	v_fma_mixlo_f16 v6, s4, v20, 0
	v_lshlrev_b32_e32 v7, 16, v7
	v_lshl_add_u32 v5, v28, 7, v4
	v_or_b32_sdwa v6, v7, v6 dst_sel:DWORD dst_unused:UNUSED_PAD src0_sel:DWORD src1_sel:WORD_0
	s_waitcnt vmcnt(1)
	v_fma_mixlo_f16 v7, s4, v23, 0
	ds_write_b32 v5, v6
	v_fma_mixlo_f16 v6, s4, v22, 0
	v_lshlrev_b32_e32 v7, 16, v7
	v_lshl_add_u32 v5, v29, 7, v4
	v_or_b32_sdwa v6, v7, v6 dst_sel:DWORD dst_unused:UNUSED_PAD src0_sel:DWORD src1_sel:WORD_0
	v_lshl_add_u32 v4, v8, 7, v4
	ds_write_b32 v5, v6
	s_waitcnt vmcnt(0)
	v_fma_mixlo_f16 v3, s4, v3, 0
	v_fma_mixlo_f16 v2, s4, v2, 0
	v_lshlrev_b32_e32 v3, 16, v3
	v_or_b32_sdwa v2, v3, v2 dst_sel:DWORD dst_unused:UNUSED_PAD src0_sel:DWORD src1_sel:WORD_0
	ds_write_b32 v4, v2
	s_waitcnt lgkmcnt(0)
	s_barrier
	s_cbranch_scc1 .LBB33_4
; %bb.3:
	s_load_dword s4, s[0:1], 0xd0
	s_mov_b32 s5, 0
	s_waitcnt lgkmcnt(0)
	s_mul_i32 s4, s4, s33
	s_add_i32 s4, s4, s2
	s_lshl_b64 s[4:5], s[4:5], 2
	s_add_u32 s4, s14, s4
	s_addc_u32 s5, s15, s5
	s_load_dword s30, s[4:5], 0x0
.LBB33_4:
	s_lshl_b32 s2, s3, 6
	s_waitcnt lgkmcnt(0)
	s_cmp_lt_i32 s2, s30
	v_mbcnt_lo_u32_b32 v2, -1, 0
	s_cbranch_scc1 .LBB33_7
; %bb.5:
	v_mbcnt_hi_u32_b32 v73, -1, v2
	v_and_b32_e32 v3, 0x60, v73
	v_add_u32_e32 v74, 32, v3
	v_xor_b32_e32 v78, 16, v73
	v_xor_b32_e32 v79, 8, v73
	;; [unrolled: 1-line block ×5, first 2 shown]
	s_cbranch_execz .LBB33_8
; %bb.6:
	v_mov_b32_e32 v41, 0
	v_mov_b32_e32 v108, 0
	;; [unrolled: 1-line block ×24, first 2 shown]
	s_branch .LBB33_10
.LBB33_7:
                                        ; implicit-def: $vgpr73
                                        ; implicit-def: $vgpr74
                                        ; implicit-def: $vgpr78
                                        ; implicit-def: $vgpr79
                                        ; implicit-def: $vgpr77
                                        ; implicit-def: $vgpr76
                                        ; implicit-def: $vgpr75
.LBB33_8:
	s_sub_i32 s4, 0, s29
	s_mul_i32 s4, s4, s38
	s_mul_hi_u32 s4, s38, s4
	s_add_i32 s38, s38, s4
	s_load_dwordx2 s[4:5], s[0:1], 0x8c
	s_load_dwordx4 s[40:43], s[0:1], 0x98
	s_abs_i32 s24, s28
	s_mul_hi_u32 s25, s24, s38
	s_ashr_i32 s36, s37, 1
	s_waitcnt lgkmcnt(0)
	s_ashr_i32 s11, s4, 2
	s_ashr_i32 s4, s33, 31
	s_mul_hi_u32 s37, s40, s33
	s_mul_i32 s38, s40, s4
	s_add_i32 s37, s37, s38
	s_mul_i32 s38, s41, s33
	s_ashr_i32 s26, s28, 31
	s_ashr_i32 s31, s31, 31
	;; [unrolled: 1-line block ×3, first 2 shown]
	s_add_i32 s37, s37, s38
	s_mul_i32 s38, s40, s33
	s_add_u32 s6, s6, s38
	s_addc_u32 s7, s7, s37
	s_xor_b32 s26, s26, s31
	s_mul_i32 s31, s25, s29
	s_sub_i32 s24, s24, s31
	s_add_i32 s31, s25, 1
	s_sub_i32 s37, s24, s29
	v_mul_lo_u32 v85, v0, s36
	v_add_u32_e32 v0, 1, v72
	s_cmp_ge_u32 s24, s29
	v_mul_hi_u32 v6, s20, v0
	s_cselect_b32 s25, s31, s25
	v_add_u32_e32 v6, v0, v6
	s_cselect_b32 s24, s37, s24
	s_add_i32 s31, s25, 1
	v_lshrrev_b32_e32 v6, s21, v6
	s_cmp_ge_u32 s24, s29
	v_mul_lo_u32 v6, v6, s22
	s_load_dwordx2 s[14:15], s[0:1], 0xa8
	s_cselect_b32 s24, s31, s25
	v_sub_u32_e32 v0, v0, v6
	s_xor_b32 s24, s24, s26
	v_mul_lo_u32 v86, v0, s36
	v_add_u32_e32 v0, 2, v72
	s_sub_i32 s24, s24, s26
	v_mul_hi_u32 v6, s20, v0
	s_mul_i32 s5, s24, s5
	v_add_u32_e32 v6, v0, v6
	s_ashr_i32 s25, s5, 31
	v_lshrrev_b32_e32 v6, s21, v6
	s_add_u32 s6, s6, s5
	s_waitcnt lgkmcnt(0)
	s_mul_hi_u32 s5, s14, s33
	s_mul_i32 s4, s14, s4
	v_mul_lo_u32 v6, v6, s22
	s_addc_u32 s7, s7, s25
	s_add_i32 s4, s5, s4
	s_mul_i32 s5, s15, s33
	v_sub_u32_e32 v0, v0, v6
	s_add_i32 s4, s4, s5
	s_mul_i32 s5, s14, s33
	v_mul_lo_u32 v87, v0, s36
	v_add_u32_e32 v0, 3, v72
	s_add_u32 s5, s8, s5
	s_mul_i32 s24, s24, s43
	v_mul_hi_u32 v6, s20, v0
	s_addc_u32 s4, s9, s4
	s_ashr_i32 s9, s24, 31
	v_lshrrev_b32_e32 v3, 3, v71
	v_lshlrev_b32_e32 v80, 2, v71
	v_add_u32_e32 v6, v0, v6
	s_add_u32 s8, s5, s24
	v_add_u32_e32 v3, v3, v70
	v_and_b32_e32 v4, 28, v80
	v_lshrrev_b32_e32 v6, s21, v6
	s_addc_u32 s9, s4, s9
	v_lshlrev_b32_e32 v5, 2, v4
	s_movk_i32 s4, 0x90
	v_mul_lo_u32 v50, s11, v3
	v_mul_lo_u32 v6, v6, s22
	v_mul_lo_u32 v54, s10, v3
	v_mbcnt_hi_u32_b32 v73, -1, v2
	v_mov_b32_e32 v49, 0
	v_mad_u32_u24 v81, v3, s4, v5
	v_lshl_add_u32 v52, s11, 5, v50
	v_add_u32_e32 v83, 0x4400, v1
	v_sub_u32_e32 v0, v0, v6
	v_add_u32_e32 v89, 0x2400, v1
	v_lshlrev_b32_e32 v1, 4, v71
	v_lshl_or_b32 v90, v3, 7, v5
	v_lshl_add_u32 v56, s10, 5, v54
	s_add_u32 s4, s0, 0xd0
	v_and_b32_e32 v2, 0x60, v73
	v_ashrrev_i32_e32 v51, 31, v50
	v_add_u32_e32 v82, 0x1200, v81
	v_ashrrev_i32_e32 v53, 31, v52
	v_mul_u32_u24_e32 v84, 0x90, v71
	v_mul_lo_u32 v88, v0, s36
	v_ashrrev_i32_e32 v55, 31, v54
	v_add_u32_e32 v91, 0x1000, v90
	v_ashrrev_i32_e32 v57, 31, v56
	s_addc_u32 s5, s1, 0
	v_mov_b32_e32 v0, 0xfeffffff
	v_lshlrev_b32_e32 v48, 2, v4
	v_add_u32_e32 v74, 32, v2
	v_xor_b32_e32 v78, 16, v73
	v_xor_b32_e32 v79, 8, v73
	v_xor_b32_e32 v77, 4, v73
	v_xor_b32_e32 v76, 2, v73
	v_xor_b32_e32 v75, 1, v73
	s_mov_b32 s14, 0x3fb8aa3b
	s_mov_b32 s15, 0xc2ce8ed0
	;; [unrolled: 1-line block ×3, first 2 shown]
	v_mov_b32_e32 v92, 0x7f800000
	s_mov_b32 s21, 0x10001
	v_add_u32_e32 v93, v89, v1
	v_add_u32_e32 v94, 0x400, v80
	;; [unrolled: 1-line block ×8, first 2 shown]
	v_mov_b32_e32 v101, v49
	v_mov_b32_e32 v102, v49
	;; [unrolled: 1-line block ×23, first 2 shown]
.LBB33_9:                               ; =>This Inner Loop Header: Depth=1
	s_mul_hi_i32 s25, s2, s11
	s_mul_i32 s24, s2, s11
	s_lshl_b64 s[24:25], s[24:25], 2
	s_add_u32 s24, s6, s24
	s_addc_u32 s25, s7, s25
	v_mov_b32_e32 v115, v1
	v_mov_b32_e32 v116, v0
	v_lshl_add_u64 v[0:1], v[50:51], 2, s[24:25]
	v_lshl_add_u64 v[0:1], v[0:1], 0, v[48:49]
	v_mov_b32_e32 v113, v3
	v_mov_b32_e32 v114, v2
	global_load_dwordx4 v[0:3], v[0:1], off
	v_mov_b32_e32 v117, 0
	v_mov_b32_e32 v109, v7
	;; [unrolled: 1-line block ×12, first 2 shown]
	v_cmp_lt_i32_e32 vcc, v78, v74
	s_waitcnt vmcnt(0)
	ds_write_b128 v81, v[0:3]
	v_lshl_add_u64 v[0:1], v[52:53], 2, s[24:25]
	v_lshl_add_u64 v[0:1], v[0:1], 0, v[48:49]
	global_load_dwordx4 v[0:3], v[0:1], off
	s_mul_hi_i32 s25, s2, s10
	s_mul_i32 s24, s2, s10
	s_lshl_b64 s[24:25], s[24:25], 2
	s_add_u32 s24, s8, s24
	s_addc_u32 s25, s9, s25
	s_waitcnt vmcnt(0)
	ds_write_b128 v82, v[0:3]
	s_waitcnt lgkmcnt(0)
	s_barrier
	ds_read_b128 v[36:39], v84
	ds_read_b128 v[0:3], v84 offset:4608
	ds_read_b128 v[32:35], v83
	ds_read_b128 v[28:31], v83 offset:128
	ds_read_b128 v[24:27], v83 offset:256
	;; [unrolled: 1-line block ×7, first 2 shown]
	s_waitcnt lgkmcnt(7)
	;;#ASMSTART
	v_dot2_f32_f16 v117, v36, v32, v117
	;;#ASMEND
	s_nop 0
	;;#ASMSTART
	v_dot2_f32_f16 v117, v37, v33, v117
	;;#ASMEND
	s_nop 0
	;;#ASMSTART
	v_dot2_f32_f16 v117, v38, v34, v117
	;;#ASMEND
	s_nop 0
	;;#ASMSTART
	v_dot2_f32_f16 v117, v39, v35, v117
	;;#ASMEND
	s_waitcnt lgkmcnt(6)
	;;#ASMSTART
	v_dot2_f32_f16 v119, v36, v28, v119
	;;#ASMEND
	s_nop 0
	;;#ASMSTART
	v_dot2_f32_f16 v119, v37, v29, v119
	;;#ASMEND
	s_nop 0
	;;#ASMSTART
	v_dot2_f32_f16 v119, v38, v30, v119
	;;#ASMEND
	s_nop 0
	;;#ASMSTART
	v_dot2_f32_f16 v119, v39, v31, v119
	;;#ASMEND
	s_waitcnt lgkmcnt(5)
	;;#ASMSTART
	v_dot2_f32_f16 v118, v36, v24, v118
	;;#ASMEND
	s_nop 0
	;;#ASMSTART
	v_dot2_f32_f16 v118, v37, v25, v118
	;;#ASMEND
	s_nop 0
	;;#ASMSTART
	v_dot2_f32_f16 v118, v38, v26, v118
	;;#ASMEND
	s_nop 0
	;;#ASMSTART
	v_dot2_f32_f16 v118, v39, v27, v118
	;;#ASMEND
	s_waitcnt lgkmcnt(4)
	;;#ASMSTART
	v_dot2_f32_f16 v121, v36, v20, v121
	;;#ASMEND
	s_nop 0
	;;#ASMSTART
	v_dot2_f32_f16 v121, v37, v21, v121
	;;#ASMEND
	s_nop 0
	;;#ASMSTART
	v_dot2_f32_f16 v121, v38, v22, v121
	;;#ASMEND
	s_nop 0
	;;#ASMSTART
	v_dot2_f32_f16 v121, v39, v23, v121
	;;#ASMEND
	s_waitcnt lgkmcnt(3)
	;;#ASMSTART
	v_dot2_f32_f16 v120, v36, v16, v120
	;;#ASMEND
	s_nop 0
	;;#ASMSTART
	v_dot2_f32_f16 v120, v37, v17, v120
	;;#ASMEND
	s_nop 0
	;;#ASMSTART
	v_dot2_f32_f16 v120, v38, v18, v120
	;;#ASMEND
	s_nop 0
	;;#ASMSTART
	v_dot2_f32_f16 v120, v39, v19, v120
	;;#ASMEND
	s_waitcnt lgkmcnt(2)
	;;#ASMSTART
	v_dot2_f32_f16 v123, v36, v12, v123
	;;#ASMEND
	s_nop 0
	;;#ASMSTART
	v_dot2_f32_f16 v123, v37, v13, v123
	;;#ASMEND
	s_nop 0
	;;#ASMSTART
	v_dot2_f32_f16 v123, v38, v14, v123
	;;#ASMEND
	s_nop 0
	;;#ASMSTART
	v_dot2_f32_f16 v123, v39, v15, v123
	;;#ASMEND
	s_waitcnt lgkmcnt(1)
	;;#ASMSTART
	v_dot2_f32_f16 v122, v36, v8, v122
	;;#ASMEND
	s_nop 0
	;;#ASMSTART
	v_dot2_f32_f16 v122, v37, v9, v122
	;;#ASMEND
	s_nop 0
	;;#ASMSTART
	v_dot2_f32_f16 v122, v38, v10, v122
	;;#ASMEND
	s_nop 0
	;;#ASMSTART
	v_dot2_f32_f16 v122, v39, v11, v122
	;;#ASMEND
	s_waitcnt lgkmcnt(0)
	;;#ASMSTART
	v_dot2_f32_f16 v124, v36, v4, v124
	;;#ASMEND
	v_mov_b32_e32 v36, 0
	;;#ASMSTART
	v_dot2_f32_f16 v124, v37, v5, v124
	;;#ASMEND
	s_nop 0
	;;#ASMSTART
	v_dot2_f32_f16 v124, v38, v6, v124
	;;#ASMEND
	s_nop 0
	;;#ASMSTART
	v_dot2_f32_f16 v124, v39, v7, v124
	;;#ASMEND
	;;#ASMSTART
	v_dot2_f32_f16 v36, v0, v32, v36
	;;#ASMEND
	v_mov_b32_e32 v32, 0
	;;#ASMSTART
	v_dot2_f32_f16 v36, v1, v33, v36
	;;#ASMEND
	s_nop 0
	;;#ASMSTART
	v_dot2_f32_f16 v36, v2, v34, v36
	;;#ASMEND
	s_nop 0
	;;#ASMSTART
	v_dot2_f32_f16 v36, v3, v35, v36
	;;#ASMEND
	;;#ASMSTART
	v_dot2_f32_f16 v32, v0, v28, v32
	;;#ASMEND
	v_mov_b32_e32 v28, 0
	;;#ASMSTART
	v_dot2_f32_f16 v32, v1, v29, v32
	;;#ASMEND
	s_nop 0
	;;#ASMSTART
	v_dot2_f32_f16 v32, v2, v30, v32
	;;#ASMEND
	s_nop 0
	;;#ASMSTART
	v_dot2_f32_f16 v32, v3, v31, v32
	;;#ASMEND
	;;#ASMSTART
	v_dot2_f32_f16 v28, v0, v24, v28
	;;#ASMEND
	v_mov_b32_e32 v24, 0
	;;#ASMSTART
	v_dot2_f32_f16 v28, v1, v25, v28
	;;#ASMEND
	s_nop 0
	;;#ASMSTART
	v_dot2_f32_f16 v28, v2, v26, v28
	;;#ASMEND
	s_nop 0
	;;#ASMSTART
	v_dot2_f32_f16 v28, v3, v27, v28
	;;#ASMEND
	;;#ASMSTART
	v_dot2_f32_f16 v24, v0, v20, v24
	;;#ASMEND
	v_mov_b32_e32 v20, 0
	;;#ASMSTART
	v_dot2_f32_f16 v24, v1, v21, v24
	;;#ASMEND
	s_nop 0
	;;#ASMSTART
	v_dot2_f32_f16 v24, v2, v22, v24
	;;#ASMEND
	s_nop 0
	;;#ASMSTART
	v_dot2_f32_f16 v24, v3, v23, v24
	;;#ASMEND
	;;#ASMSTART
	v_dot2_f32_f16 v20, v0, v16, v20
	;;#ASMEND
	v_mov_b32_e32 v16, 0
	;;#ASMSTART
	v_dot2_f32_f16 v20, v1, v17, v20
	;;#ASMEND
	s_nop 0
	;;#ASMSTART
	v_dot2_f32_f16 v20, v2, v18, v20
	;;#ASMEND
	s_nop 0
	;;#ASMSTART
	v_dot2_f32_f16 v20, v3, v19, v20
	;;#ASMEND
	;;#ASMSTART
	v_dot2_f32_f16 v16, v0, v12, v16
	;;#ASMEND
	v_mov_b32_e32 v12, 0
	;;#ASMSTART
	v_dot2_f32_f16 v16, v1, v13, v16
	;;#ASMEND
	s_nop 0
	;;#ASMSTART
	v_dot2_f32_f16 v16, v2, v14, v16
	;;#ASMEND
	s_nop 0
	;;#ASMSTART
	v_dot2_f32_f16 v16, v3, v15, v16
	;;#ASMEND
	;;#ASMSTART
	v_dot2_f32_f16 v12, v0, v8, v12
	;;#ASMEND
	v_mov_b32_e32 v8, 0
	;;#ASMSTART
	v_dot2_f32_f16 v12, v1, v9, v12
	;;#ASMEND
	s_nop 0
	;;#ASMSTART
	v_dot2_f32_f16 v12, v2, v10, v12
	;;#ASMEND
	s_nop 0
	;;#ASMSTART
	v_dot2_f32_f16 v12, v3, v11, v12
	;;#ASMEND
	;;#ASMSTART
	v_dot2_f32_f16 v8, v0, v4, v8
	;;#ASMEND
	s_nop 0
	;;#ASMSTART
	v_dot2_f32_f16 v8, v1, v5, v8
	;;#ASMEND
	s_nop 0
	;; [unrolled: 4-line block ×3, first 2 shown]
	;;#ASMSTART
	v_dot2_f32_f16 v8, v3, v7, v8
	;;#ASMEND
	ds_read_b128 v[0:3], v84 offset:16
	ds_read_b128 v[4:7], v84 offset:4624
	;; [unrolled: 1-line block ×10, first 2 shown]
	s_waitcnt lgkmcnt(7)
	;;#ASMSTART
	v_dot2_f32_f16 v117, v0, v126, v117
	;;#ASMEND
	s_nop 0
	;;#ASMSTART
	v_dot2_f32_f16 v117, v1, v127, v117
	;;#ASMEND
	s_nop 0
	;;#ASMSTART
	v_dot2_f32_f16 v117, v2, v128, v117
	;;#ASMEND
	s_nop 0
	;;#ASMSTART
	v_dot2_f32_f16 v117, v3, v129, v117
	;;#ASMEND
	s_waitcnt lgkmcnt(6)
	;;#ASMSTART
	v_dot2_f32_f16 v119, v0, v130, v119
	;;#ASMEND
	s_nop 0
	;;#ASMSTART
	v_dot2_f32_f16 v119, v1, v131, v119
	;;#ASMEND
	s_nop 0
	;;#ASMSTART
	v_dot2_f32_f16 v119, v2, v132, v119
	;;#ASMEND
	s_nop 0
	;;#ASMSTART
	v_dot2_f32_f16 v119, v3, v133, v119
	;;#ASMEND
	;; [unrolled: 16-line block ×8, first 2 shown]
	;;#ASMSTART
	v_dot2_f32_f16 v36, v4, v126, v36
	;;#ASMEND
	s_nop 0
	;;#ASMSTART
	v_dot2_f32_f16 v36, v5, v127, v36
	;;#ASMEND
	s_nop 0
	;;#ASMSTART
	v_dot2_f32_f16 v36, v6, v128, v36
	;;#ASMEND
	s_nop 0
	;;#ASMSTART
	v_dot2_f32_f16 v36, v7, v129, v36
	;;#ASMEND
	;;#ASMSTART
	v_dot2_f32_f16 v32, v4, v130, v32
	;;#ASMEND
	s_nop 0
	;;#ASMSTART
	v_dot2_f32_f16 v32, v5, v131, v32
	;;#ASMEND
	s_nop 0
	;;#ASMSTART
	v_dot2_f32_f16 v32, v6, v132, v32
	;;#ASMEND
	s_nop 0
	;;#ASMSTART
	v_dot2_f32_f16 v32, v7, v133, v32
	;;#ASMEND
	;; [unrolled: 15-line block ×8, first 2 shown]
	ds_read_b128 v[0:3], v84 offset:32
	ds_read_b128 v[4:7], v84 offset:4640
	ds_read_b128 v[126:129], v83 offset:32
	ds_read_b128 v[130:133], v83 offset:160
	ds_read_b128 v[134:137], v83 offset:288
	ds_read_b128 v[138:141], v83 offset:416
	ds_read_b128 v[142:145], v83 offset:544
	ds_read_b128 v[146:149], v83 offset:672
	ds_read_b128 v[150:153], v83 offset:800
	ds_read_b128 v[154:157], v83 offset:928
	s_waitcnt lgkmcnt(7)
	;;#ASMSTART
	v_dot2_f32_f16 v117, v0, v126, v117
	;;#ASMEND
	s_nop 0
	;;#ASMSTART
	v_dot2_f32_f16 v117, v1, v127, v117
	;;#ASMEND
	s_nop 0
	;;#ASMSTART
	v_dot2_f32_f16 v117, v2, v128, v117
	;;#ASMEND
	s_nop 0
	;;#ASMSTART
	v_dot2_f32_f16 v117, v3, v129, v117
	;;#ASMEND
	s_waitcnt lgkmcnt(6)
	;;#ASMSTART
	v_dot2_f32_f16 v119, v0, v130, v119
	;;#ASMEND
	s_nop 0
	;;#ASMSTART
	v_dot2_f32_f16 v119, v1, v131, v119
	;;#ASMEND
	s_nop 0
	;;#ASMSTART
	v_dot2_f32_f16 v119, v2, v132, v119
	;;#ASMEND
	s_nop 0
	;;#ASMSTART
	v_dot2_f32_f16 v119, v3, v133, v119
	;;#ASMEND
	;; [unrolled: 16-line block ×8, first 2 shown]
	;;#ASMSTART
	v_dot2_f32_f16 v36, v4, v126, v36
	;;#ASMEND
	s_nop 0
	;;#ASMSTART
	v_dot2_f32_f16 v36, v5, v127, v36
	;;#ASMEND
	s_nop 0
	;;#ASMSTART
	v_dot2_f32_f16 v36, v6, v128, v36
	;;#ASMEND
	s_nop 0
	;;#ASMSTART
	v_dot2_f32_f16 v36, v7, v129, v36
	;;#ASMEND
	;;#ASMSTART
	v_dot2_f32_f16 v32, v4, v130, v32
	;;#ASMEND
	s_nop 0
	;;#ASMSTART
	v_dot2_f32_f16 v32, v5, v131, v32
	;;#ASMEND
	s_nop 0
	;;#ASMSTART
	v_dot2_f32_f16 v32, v6, v132, v32
	;;#ASMEND
	s_nop 0
	;;#ASMSTART
	v_dot2_f32_f16 v32, v7, v133, v32
	;;#ASMEND
	;; [unrolled: 15-line block ×8, first 2 shown]
	ds_read_b128 v[0:3], v84 offset:48
	ds_read_b128 v[4:7], v84 offset:4656
	;; [unrolled: 1-line block ×10, first 2 shown]
	s_waitcnt lgkmcnt(7)
	;;#ASMSTART
	v_dot2_f32_f16 v117, v0, v126, v117
	;;#ASMEND
	s_nop 0
	;;#ASMSTART
	v_dot2_f32_f16 v117, v1, v127, v117
	;;#ASMEND
	s_nop 0
	;;#ASMSTART
	v_dot2_f32_f16 v117, v2, v128, v117
	;;#ASMEND
	s_nop 0
	;;#ASMSTART
	v_dot2_f32_f16 v117, v3, v129, v117
	;;#ASMEND
	s_waitcnt lgkmcnt(6)
	;;#ASMSTART
	v_dot2_f32_f16 v119, v0, v130, v119
	;;#ASMEND
	s_nop 0
	;;#ASMSTART
	v_dot2_f32_f16 v119, v1, v131, v119
	;;#ASMEND
	s_nop 0
	;;#ASMSTART
	v_dot2_f32_f16 v119, v2, v132, v119
	;;#ASMEND
	s_nop 0
	;;#ASMSTART
	v_dot2_f32_f16 v119, v3, v133, v119
	;;#ASMEND
	;; [unrolled: 16-line block ×8, first 2 shown]
	;;#ASMSTART
	v_dot2_f32_f16 v36, v4, v126, v36
	;;#ASMEND
	s_nop 0
	;;#ASMSTART
	v_dot2_f32_f16 v36, v5, v127, v36
	;;#ASMEND
	s_nop 0
	;;#ASMSTART
	v_dot2_f32_f16 v36, v6, v128, v36
	;;#ASMEND
	s_nop 0
	;;#ASMSTART
	v_dot2_f32_f16 v36, v7, v129, v36
	;;#ASMEND
	;;#ASMSTART
	v_dot2_f32_f16 v32, v4, v130, v32
	;;#ASMEND
	s_nop 0
	;;#ASMSTART
	v_dot2_f32_f16 v32, v5, v131, v32
	;;#ASMEND
	s_nop 0
	;;#ASMSTART
	v_dot2_f32_f16 v32, v6, v132, v32
	;;#ASMEND
	s_nop 0
	;;#ASMSTART
	v_dot2_f32_f16 v32, v7, v133, v32
	;;#ASMEND
	;; [unrolled: 15-line block ×8, first 2 shown]
	ds_read_b128 v[0:3], v84 offset:64
	ds_read_b128 v[4:7], v84 offset:4672
	;; [unrolled: 1-line block ×10, first 2 shown]
	s_waitcnt lgkmcnt(7)
	;;#ASMSTART
	v_dot2_f32_f16 v117, v0, v126, v117
	;;#ASMEND
	s_nop 0
	;;#ASMSTART
	v_dot2_f32_f16 v117, v1, v127, v117
	;;#ASMEND
	s_nop 0
	;;#ASMSTART
	v_dot2_f32_f16 v117, v2, v128, v117
	;;#ASMEND
	s_nop 0
	;;#ASMSTART
	v_dot2_f32_f16 v117, v3, v129, v117
	;;#ASMEND
	s_waitcnt lgkmcnt(6)
	;;#ASMSTART
	v_dot2_f32_f16 v119, v0, v130, v119
	;;#ASMEND
	s_nop 0
	;;#ASMSTART
	v_dot2_f32_f16 v119, v1, v131, v119
	;;#ASMEND
	s_nop 0
	;;#ASMSTART
	v_dot2_f32_f16 v119, v2, v132, v119
	;;#ASMEND
	s_nop 0
	;;#ASMSTART
	v_dot2_f32_f16 v119, v3, v133, v119
	;;#ASMEND
	;; [unrolled: 16-line block ×8, first 2 shown]
	;;#ASMSTART
	v_dot2_f32_f16 v36, v4, v126, v36
	;;#ASMEND
	s_nop 0
	;;#ASMSTART
	v_dot2_f32_f16 v36, v5, v127, v36
	;;#ASMEND
	s_nop 0
	;;#ASMSTART
	v_dot2_f32_f16 v36, v6, v128, v36
	;;#ASMEND
	s_nop 0
	;;#ASMSTART
	v_dot2_f32_f16 v36, v7, v129, v36
	;;#ASMEND
	;;#ASMSTART
	v_dot2_f32_f16 v32, v4, v130, v32
	;;#ASMEND
	s_nop 0
	;;#ASMSTART
	v_dot2_f32_f16 v32, v5, v131, v32
	;;#ASMEND
	s_nop 0
	;;#ASMSTART
	v_dot2_f32_f16 v32, v6, v132, v32
	;;#ASMEND
	s_nop 0
	;;#ASMSTART
	v_dot2_f32_f16 v32, v7, v133, v32
	;;#ASMEND
	;; [unrolled: 15-line block ×8, first 2 shown]
	ds_read_b128 v[0:3], v84 offset:80
	ds_read_b128 v[4:7], v84 offset:4688
	;; [unrolled: 1-line block ×10, first 2 shown]
	s_waitcnt lgkmcnt(7)
	;;#ASMSTART
	v_dot2_f32_f16 v117, v0, v126, v117
	;;#ASMEND
	s_nop 0
	;;#ASMSTART
	v_dot2_f32_f16 v117, v1, v127, v117
	;;#ASMEND
	s_nop 0
	;;#ASMSTART
	v_dot2_f32_f16 v117, v2, v128, v117
	;;#ASMEND
	s_nop 0
	;;#ASMSTART
	v_dot2_f32_f16 v117, v3, v129, v117
	;;#ASMEND
	s_waitcnt lgkmcnt(6)
	;;#ASMSTART
	v_dot2_f32_f16 v119, v0, v130, v119
	;;#ASMEND
	s_nop 0
	;;#ASMSTART
	v_dot2_f32_f16 v119, v1, v131, v119
	;;#ASMEND
	s_nop 0
	;;#ASMSTART
	v_dot2_f32_f16 v119, v2, v132, v119
	;;#ASMEND
	s_nop 0
	;;#ASMSTART
	v_dot2_f32_f16 v119, v3, v133, v119
	;;#ASMEND
	s_waitcnt lgkmcnt(5)
	;;#ASMSTART
	v_dot2_f32_f16 v118, v0, v134, v118
	;;#ASMEND
	s_nop 0
	;;#ASMSTART
	v_dot2_f32_f16 v118, v1, v135, v118
	;;#ASMEND
	s_nop 0
	;;#ASMSTART
	v_dot2_f32_f16 v118, v2, v136, v118
	;;#ASMEND
	s_nop 0
	;;#ASMSTART
	v_dot2_f32_f16 v118, v3, v137, v118
	;;#ASMEND
	s_waitcnt lgkmcnt(4)
	;;#ASMSTART
	v_dot2_f32_f16 v121, v0, v138, v121
	;;#ASMEND
	s_nop 0
	;;#ASMSTART
	v_dot2_f32_f16 v121, v1, v139, v121
	;;#ASMEND
	s_nop 0
	;;#ASMSTART
	v_dot2_f32_f16 v121, v2, v140, v121
	;;#ASMEND
	s_nop 0
	;;#ASMSTART
	v_dot2_f32_f16 v121, v3, v141, v121
	;;#ASMEND
	s_waitcnt lgkmcnt(3)
	;;#ASMSTART
	v_dot2_f32_f16 v120, v0, v142, v120
	;;#ASMEND
	s_nop 0
	;;#ASMSTART
	v_dot2_f32_f16 v120, v1, v143, v120
	;;#ASMEND
	s_nop 0
	;;#ASMSTART
	v_dot2_f32_f16 v120, v2, v144, v120
	;;#ASMEND
	s_nop 0
	;;#ASMSTART
	v_dot2_f32_f16 v120, v3, v145, v120
	;;#ASMEND
	s_waitcnt lgkmcnt(2)
	;;#ASMSTART
	v_dot2_f32_f16 v123, v0, v146, v123
	;;#ASMEND
	s_nop 0
	;;#ASMSTART
	v_dot2_f32_f16 v123, v1, v147, v123
	;;#ASMEND
	s_nop 0
	;;#ASMSTART
	v_dot2_f32_f16 v123, v2, v148, v123
	;;#ASMEND
	s_nop 0
	;;#ASMSTART
	v_dot2_f32_f16 v123, v3, v149, v123
	;;#ASMEND
	s_waitcnt lgkmcnt(1)
	;;#ASMSTART
	v_dot2_f32_f16 v122, v0, v150, v122
	;;#ASMEND
	s_nop 0
	;;#ASMSTART
	v_dot2_f32_f16 v122, v1, v151, v122
	;;#ASMEND
	s_nop 0
	;;#ASMSTART
	v_dot2_f32_f16 v122, v2, v152, v122
	;;#ASMEND
	s_nop 0
	;;#ASMSTART
	v_dot2_f32_f16 v122, v3, v153, v122
	;;#ASMEND
	s_waitcnt lgkmcnt(0)
	;;#ASMSTART
	v_dot2_f32_f16 v124, v0, v154, v124
	;;#ASMEND
	s_nop 0
	;;#ASMSTART
	v_dot2_f32_f16 v124, v1, v155, v124
	;;#ASMEND
	s_nop 0
	;;#ASMSTART
	v_dot2_f32_f16 v124, v2, v156, v124
	;;#ASMEND
	s_nop 0
	;;#ASMSTART
	v_dot2_f32_f16 v124, v3, v157, v124
	;;#ASMEND
	;;#ASMSTART
	v_dot2_f32_f16 v36, v4, v126, v36
	;;#ASMEND
	s_nop 0
	;;#ASMSTART
	v_dot2_f32_f16 v36, v5, v127, v36
	;;#ASMEND
	s_nop 0
	;;#ASMSTART
	v_dot2_f32_f16 v36, v6, v128, v36
	;;#ASMEND
	s_nop 0
	;;#ASMSTART
	v_dot2_f32_f16 v36, v7, v129, v36
	;;#ASMEND
	;;#ASMSTART
	v_dot2_f32_f16 v32, v4, v130, v32
	;;#ASMEND
	s_nop 0
	;;#ASMSTART
	v_dot2_f32_f16 v32, v5, v131, v32
	;;#ASMEND
	s_nop 0
	;;#ASMSTART
	v_dot2_f32_f16 v32, v6, v132, v32
	;;#ASMEND
	s_nop 0
	;;#ASMSTART
	v_dot2_f32_f16 v32, v7, v133, v32
	;;#ASMEND
	;; [unrolled: 15-line block ×8, first 2 shown]
	ds_read_b128 v[0:3], v84 offset:96
	ds_read_b128 v[4:7], v84 offset:4704
	ds_read_b128 v[126:129], v83 offset:96
	ds_read_b128 v[130:133], v83 offset:224
	ds_read_b128 v[134:137], v83 offset:352
	ds_read_b128 v[138:141], v83 offset:480
	ds_read_b128 v[142:145], v83 offset:608
	ds_read_b128 v[146:149], v83 offset:736
	ds_read_b128 v[150:153], v83 offset:864
	ds_read_b128 v[154:157], v83 offset:992
	s_waitcnt lgkmcnt(7)
	;;#ASMSTART
	v_dot2_f32_f16 v117, v0, v126, v117
	;;#ASMEND
	s_nop 0
	;;#ASMSTART
	v_dot2_f32_f16 v117, v1, v127, v117
	;;#ASMEND
	s_nop 0
	;;#ASMSTART
	v_dot2_f32_f16 v117, v2, v128, v117
	;;#ASMEND
	s_nop 0
	;;#ASMSTART
	v_dot2_f32_f16 v117, v3, v129, v117
	;;#ASMEND
	s_waitcnt lgkmcnt(6)
	;;#ASMSTART
	v_dot2_f32_f16 v119, v0, v130, v119
	;;#ASMEND
	s_nop 0
	;;#ASMSTART
	v_dot2_f32_f16 v119, v1, v131, v119
	;;#ASMEND
	s_nop 0
	;;#ASMSTART
	v_dot2_f32_f16 v119, v2, v132, v119
	;;#ASMEND
	s_nop 0
	;;#ASMSTART
	v_dot2_f32_f16 v119, v3, v133, v119
	;;#ASMEND
	;; [unrolled: 16-line block ×8, first 2 shown]
	;;#ASMSTART
	v_dot2_f32_f16 v36, v4, v126, v36
	;;#ASMEND
	s_nop 0
	;;#ASMSTART
	v_dot2_f32_f16 v36, v5, v127, v36
	;;#ASMEND
	s_nop 0
	;;#ASMSTART
	v_dot2_f32_f16 v36, v6, v128, v36
	;;#ASMEND
	s_nop 0
	;;#ASMSTART
	v_dot2_f32_f16 v36, v7, v129, v36
	;;#ASMEND
	;;#ASMSTART
	v_dot2_f32_f16 v32, v4, v130, v32
	;;#ASMEND
	s_nop 0
	;;#ASMSTART
	v_dot2_f32_f16 v32, v5, v131, v32
	;;#ASMEND
	s_nop 0
	;;#ASMSTART
	v_dot2_f32_f16 v32, v6, v132, v32
	;;#ASMEND
	s_nop 0
	;;#ASMSTART
	v_dot2_f32_f16 v32, v7, v133, v32
	;;#ASMEND
	;; [unrolled: 15-line block ×8, first 2 shown]
	ds_read_b128 v[0:3], v84 offset:112
	ds_read_b128 v[4:7], v84 offset:4720
	;; [unrolled: 1-line block ×10, first 2 shown]
	s_waitcnt lgkmcnt(7)
	;;#ASMSTART
	v_dot2_f32_f16 v117, v0, v126, v117
	;;#ASMEND
	s_nop 0
	;;#ASMSTART
	v_dot2_f32_f16 v117, v1, v127, v117
	;;#ASMEND
	s_nop 0
	;;#ASMSTART
	v_dot2_f32_f16 v117, v2, v128, v117
	;;#ASMEND
	s_nop 0
	;;#ASMSTART
	v_dot2_f32_f16 v117, v3, v129, v117
	;;#ASMEND
	s_waitcnt lgkmcnt(6)
	;;#ASMSTART
	v_dot2_f32_f16 v119, v0, v130, v119
	;;#ASMEND
	s_nop 0
	;;#ASMSTART
	v_dot2_f32_f16 v119, v1, v131, v119
	;;#ASMEND
	s_nop 0
	;;#ASMSTART
	v_dot2_f32_f16 v119, v2, v132, v119
	;;#ASMEND
	s_nop 0
	;;#ASMSTART
	v_dot2_f32_f16 v119, v3, v133, v119
	;;#ASMEND
	;; [unrolled: 16-line block ×7, first 2 shown]
	s_waitcnt lgkmcnt(0)
	;;#ASMSTART
	v_dot2_f32_f16 v124, v0, v154, v124
	;;#ASMEND
	v_cndmask_b32_e32 v0, v73, v78, vcc
	;;#ASMSTART
	v_dot2_f32_f16 v124, v1, v155, v124
	;;#ASMEND
	v_cmp_lt_i32_e32 vcc, v79, v74
	;;#ASMSTART
	v_dot2_f32_f16 v124, v2, v156, v124
	;;#ASMEND
	v_lshlrev_b32_e32 v9, 2, v0
	;;#ASMSTART
	v_dot2_f32_f16 v124, v3, v157, v124
	;;#ASMEND
	;;#ASMSTART
	v_dot2_f32_f16 v36, v4, v126, v36
	;;#ASMEND
	s_nop 0
	;;#ASMSTART
	v_dot2_f32_f16 v36, v5, v127, v36
	;;#ASMEND
	v_cndmask_b32_e32 v0, v73, v79, vcc
	;;#ASMSTART
	v_dot2_f32_f16 v36, v6, v128, v36
	;;#ASMEND
	v_cmp_lt_i32_e32 vcc, v77, v74
	;;#ASMSTART
	v_dot2_f32_f16 v36, v7, v129, v36
	;;#ASMEND
	;;#ASMSTART
	v_dot2_f32_f16 v32, v4, v130, v32
	;;#ASMEND
	v_lshlrev_b32_e32 v10, 2, v0
	;;#ASMSTART
	v_dot2_f32_f16 v32, v5, v131, v32
	;;#ASMEND
	s_nop 0
	;;#ASMSTART
	v_dot2_f32_f16 v32, v6, v132, v32
	;;#ASMEND
	v_cndmask_b32_e32 v0, v73, v77, vcc
	;;#ASMSTART
	v_dot2_f32_f16 v32, v7, v133, v32
	;;#ASMEND
	;;#ASMSTART
	v_dot2_f32_f16 v28, v4, v134, v28
	;;#ASMEND
	v_cmp_lt_i32_e32 vcc, v76, v74
	;;#ASMSTART
	v_dot2_f32_f16 v28, v5, v135, v28
	;;#ASMEND
	v_lshlrev_b32_e32 v11, 2, v0
	;;#ASMSTART
	v_dot2_f32_f16 v28, v6, v136, v28
	;;#ASMEND
	s_nop 0
	;;#ASMSTART
	v_dot2_f32_f16 v28, v7, v137, v28
	;;#ASMEND
	;;#ASMSTART
	v_dot2_f32_f16 v24, v4, v138, v24
	;;#ASMEND
	v_cndmask_b32_e32 v0, v73, v76, vcc
	;;#ASMSTART
	v_dot2_f32_f16 v24, v5, v139, v24
	;;#ASMEND
	v_cmp_lt_i32_e32 vcc, v75, v74
	;;#ASMSTART
	v_dot2_f32_f16 v24, v6, v140, v24
	;;#ASMEND
	v_lshlrev_b32_e32 v13, 2, v0
	;;#ASMSTART
	v_dot2_f32_f16 v24, v7, v141, v24
	;;#ASMEND
	;;#ASMSTART
	v_dot2_f32_f16 v20, v4, v142, v20
	;;#ASMEND
	s_nop 0
	;;#ASMSTART
	v_dot2_f32_f16 v20, v5, v143, v20
	;;#ASMEND
	v_cndmask_b32_e32 v0, v73, v75, vcc
	;;#ASMSTART
	v_dot2_f32_f16 v20, v6, v144, v20
	;;#ASMEND
	v_lshlrev_b32_e32 v14, 2, v0
	;;#ASMSTART
	v_dot2_f32_f16 v20, v7, v145, v20
	;;#ASMEND
	;;#ASMSTART
	v_dot2_f32_f16 v16, v4, v146, v16
	;;#ASMEND
	s_nop 0
	;;#ASMSTART
	v_dot2_f32_f16 v16, v5, v147, v16
	;;#ASMEND
	s_nop 0
	;; [unrolled: 4-line block ×3, first 2 shown]
	;;#ASMSTART
	v_dot2_f32_f16 v16, v7, v149, v16
	;;#ASMEND
	;;#ASMSTART
	v_dot2_f32_f16 v12, v4, v150, v12
	;;#ASMEND
	s_nop 0
	;;#ASMSTART
	v_dot2_f32_f16 v12, v5, v151, v12
	;;#ASMEND
	s_nop 0
	;; [unrolled: 4-line block ×3, first 2 shown]
	;;#ASMSTART
	v_dot2_f32_f16 v12, v7, v153, v12
	;;#ASMEND
	;;#ASMSTART
	v_dot2_f32_f16 v8, v4, v154, v8
	;;#ASMEND
	s_nop 0
	;;#ASMSTART
	v_dot2_f32_f16 v8, v5, v155, v8
	;;#ASMEND
	s_nop 0
	;;#ASMSTART
	v_dot2_f32_f16 v8, v6, v156, v8
	;;#ASMEND
	v_add_u32_e32 v6, s2, v71
	v_add_u32_e32 v0, v6, v85
	v_ashrrev_i32_e32 v1, 31, v0
	v_lshl_add_u64 v[0:1], v[0:1], 1, s[34:35]
	;;#ASMSTART
	v_dot2_f32_f16 v8, v7, v157, v8
	;;#ASMEND
	global_load_ushort v2, v[0:1], off
	s_waitcnt vmcnt(0)
	v_cvt_f32_f16_e32 v2, v2
	global_load_ushort v0, v[0:1], off offset:64
	v_add_f32_e32 v19, v119, v2
	v_add_f32_e32 v15, v117, v2
	;; [unrolled: 1-line block ×4, first 2 shown]
	s_waitcnt vmcnt(0)
	v_cvt_f32_f16_e32 v1, v0
	v_add_f32_e32 v21, v32, v1
	v_add_f32_e32 v17, v36, v1
	;; [unrolled: 1-line block ×4, first 2 shown]
	v_max3_f32 v1, v115, v2, v1
	v_max3_f32 v0, v116, v3, v0
	ds_bpermute_b32 v2, v9, v1
	ds_bpermute_b32 v3, v9, v0
	s_waitcnt lgkmcnt(1)
	v_max_f32_e32 v2, v2, v2
	s_waitcnt lgkmcnt(0)
	v_max_f32_e32 v3, v3, v3
	v_max_f32_e32 v1, v1, v2
	v_max_f32_e32 v0, v0, v3
	ds_bpermute_b32 v2, v10, v1
	ds_bpermute_b32 v3, v10, v0
	s_waitcnt lgkmcnt(1)
	v_max_f32_e32 v2, v2, v2
	s_waitcnt lgkmcnt(0)
	v_max_f32_e32 v3, v3, v3
	v_max_f32_e32 v1, v1, v2
	v_max_f32_e32 v0, v0, v3
	;; [unrolled: 8-line block ×4, first 2 shown]
	ds_bpermute_b32 v2, v14, v1
	ds_bpermute_b32 v3, v14, v0
	s_waitcnt lgkmcnt(1)
	v_max_f32_e32 v2, v2, v2
	s_waitcnt lgkmcnt(0)
	v_max_f32_e32 v3, v3, v3
	v_max_f32_e32 v1, v1, v2
	v_add_u32_e32 v2, v6, v86
	v_max_f32_e32 v0, v0, v3
	v_ashrrev_i32_e32 v3, 31, v2
	v_lshl_add_u64 v[2:3], v[2:3], 1, s[34:35]
	global_load_ushort v4, v[2:3], off
	s_waitcnt vmcnt(0)
	v_cvt_f32_f16_e32 v4, v4
	global_load_ushort v2, v[2:3], off offset:64
	v_add_f32_e32 v25, v121, v4
	v_add_f32_e32 v22, v118, v4
	v_add_f32_e32 v4, 0x40051340, v25
	v_add_f32_e32 v5, 0x40051340, v22
	s_waitcnt vmcnt(0)
	v_cvt_f32_f16_e32 v3, v2
	v_add_f32_e32 v24, v24, v3
	v_add_f32_e32 v23, v28, v3
	;; [unrolled: 1-line block ×4, first 2 shown]
	v_max3_f32 v3, v113, v4, v3
	v_max3_f32 v2, v114, v5, v2
	ds_bpermute_b32 v4, v9, v3
	ds_bpermute_b32 v5, v9, v2
	s_waitcnt lgkmcnt(1)
	v_max_f32_e32 v4, v4, v4
	s_waitcnt lgkmcnt(0)
	v_max_f32_e32 v5, v5, v5
	v_max_f32_e32 v3, v3, v4
	v_max_f32_e32 v2, v2, v5
	ds_bpermute_b32 v4, v10, v3
	ds_bpermute_b32 v5, v10, v2
	s_waitcnt lgkmcnt(1)
	v_max_f32_e32 v4, v4, v4
	s_waitcnt lgkmcnt(0)
	v_max_f32_e32 v5, v5, v5
	v_max_f32_e32 v3, v3, v4
	v_max_f32_e32 v2, v2, v5
	;; [unrolled: 8-line block ×4, first 2 shown]
	ds_bpermute_b32 v4, v14, v3
	ds_bpermute_b32 v5, v14, v2
	s_waitcnt lgkmcnt(1)
	v_max_f32_e32 v4, v4, v4
	s_waitcnt lgkmcnt(0)
	v_max_f32_e32 v5, v5, v5
	v_max_f32_e32 v3, v3, v4
	v_add_u32_e32 v4, v6, v87
	v_max_f32_e32 v2, v2, v5
	v_ashrrev_i32_e32 v5, 31, v4
	v_lshl_add_u64 v[4:5], v[4:5], 1, s[34:35]
	global_load_ushort v7, v[4:5], off
	v_add_u32_e32 v6, v6, v88
	global_load_ushort v4, v[4:5], off offset:64
	s_waitcnt vmcnt(1)
	v_cvt_f32_f16_e32 v7, v7
	s_waitcnt vmcnt(0)
	v_cvt_f32_f16_e32 v5, v4
	v_add_f32_e32 v31, v123, v7
	v_add_f32_e32 v28, v120, v7
	;; [unrolled: 1-line block ×6, first 2 shown]
	v_max3_f32 v5, v111, v7, v5
	ds_bpermute_b32 v7, v9, v5
	v_add_f32_e32 v18, 0x40051340, v28
	v_add_f32_e32 v4, 0x40051340, v29
	v_max3_f32 v4, v112, v18, v4
	ds_bpermute_b32 v18, v9, v4
	s_waitcnt lgkmcnt(1)
	v_max_f32_e32 v7, v7, v7
	v_max_f32_e32 v5, v5, v7
	ds_bpermute_b32 v7, v10, v5
	s_waitcnt lgkmcnt(1)
	v_max_f32_e32 v18, v18, v18
	v_max_f32_e32 v4, v4, v18
	;; [unrolled: 4-line block ×9, first 2 shown]
	v_ashrrev_i32_e32 v7, 31, v6
	v_lshl_add_u64 v[6:7], v[6:7], 1, s[34:35]
	global_load_ushort v16, v[6:7], off
	s_waitcnt lgkmcnt(0)
	v_max_f32_e32 v18, v18, v18
	global_load_ushort v6, v[6:7], off offset:64
	v_max_f32_e32 v4, v4, v18
	s_barrier
	s_waitcnt vmcnt(1)
	v_cvt_f32_f16_e32 v16, v16
	s_waitcnt vmcnt(0)
	v_cvt_f32_f16_e32 v7, v6
	v_add_f32_e32 v34, v122, v16
	v_add_f32_e32 v18, 0x40051340, v34
	;; [unrolled: 1-line block ×4, first 2 shown]
	v_max3_f32 v6, v110, v18, v6
	ds_bpermute_b32 v12, v9, v6
	v_add_f32_e32 v37, v124, v16
	v_add_f32_e32 v39, v8, v7
	;; [unrolled: 1-line block ×3, first 2 shown]
	s_waitcnt lgkmcnt(0)
	v_max_f32_e32 v12, v12, v12
	v_max_f32_e32 v6, v6, v12
	ds_bpermute_b32 v12, v10, v6
	s_waitcnt lgkmcnt(0)
	v_max_f32_e32 v12, v12, v12
	v_max_f32_e32 v6, v6, v12
	ds_bpermute_b32 v12, v11, v6
	;; [unrolled: 4-line block ×4, first 2 shown]
	s_waitcnt lgkmcnt(0)
	v_max_f32_e32 v12, v12, v12
	v_max_f32_e32 v6, v6, v12
	v_add_f32_e32 v12, 0x40051340, v37
	v_max3_f32 v7, v109, v12, v7
	ds_bpermute_b32 v8, v9, v7
	v_sub_f32_e32 v9, v116, v0
	s_waitcnt lgkmcnt(0)
	v_max_f32_e32 v8, v8, v8
	v_max_f32_e32 v7, v7, v8
	ds_bpermute_b32 v8, v10, v7
	s_waitcnt lgkmcnt(0)
	v_max_f32_e32 v8, v8, v8
	v_max_f32_e32 v7, v7, v8
	ds_bpermute_b32 v8, v11, v7
	;; [unrolled: 4-line block ×4, first 2 shown]
	s_waitcnt lgkmcnt(0)
	v_max_f32_e32 v8, v8, v8
	v_max_f32_e32 v7, v7, v8
	v_sub_f32_e32 v8, v15, v0
	v_mul_f32_e32 v10, 0x3fb8aa3b, v8
	v_fma_f32 v11, v8, s14, -v10
	v_rndne_f32_e32 v12, v10
	v_fmac_f32_e32 v11, 0x32a5705f, v8
	v_sub_f32_e32 v10, v10, v12
	v_add_f32_e32 v10, v10, v11
	v_exp_f32_e32 v10, v10
	v_cvt_i32_f32_e32 v11, v12
	v_cmp_ngt_f32_e32 vcc, s15, v8
	v_ldexp_f32 v10, v10, v11
	s_nop 0
	v_cndmask_b32_e32 v10, 0, v10, vcc
	v_cmp_nlt_f32_e32 vcc, s20, v8
	s_nop 1
	v_cndmask_b32_e32 v8, v92, v10, vcc
	v_sub_f32_e32 v10, v17, v0
	v_mul_f32_e32 v11, 0x3fb8aa3b, v10
	v_fma_f32 v12, v10, s14, -v11
	v_rndne_f32_e32 v13, v11
	v_fmac_f32_e32 v12, 0x32a5705f, v10
	v_sub_f32_e32 v11, v11, v13
	v_add_f32_e32 v11, v11, v12
	v_exp_f32_e32 v11, v11
	v_cvt_i32_f32_e32 v12, v13
	v_cmp_ngt_f32_e32 vcc, s15, v10
	v_ldexp_f32 v11, v11, v12
	s_nop 0
	v_cndmask_b32_e32 v11, 0, v11, vcc
	v_cmp_nlt_f32_e32 vcc, s20, v10
	s_nop 1
	v_cndmask_b32_e32 v10, v92, v11, vcc
	v_mul_f32_e32 v11, 0x3fb8aa3b, v9
	v_fma_f32 v12, v9, s14, -v11
	v_rndne_f32_e32 v13, v11
	v_fmac_f32_e32 v12, 0x32a5705f, v9
	v_sub_f32_e32 v11, v11, v13
	v_add_f32_e32 v11, v11, v12
	v_exp_f32_e32 v11, v11
	v_cvt_i32_f32_e32 v12, v13
	v_cmp_ngt_f32_e32 vcc, s15, v9
	v_sub_f32_e32 v13, v115, v1
	v_ldexp_f32 v11, v11, v12
	v_cndmask_b32_e32 v11, 0, v11, vcc
	v_cmp_nlt_f32_e32 vcc, s20, v9
	s_nop 1
	v_cndmask_b32_e32 v12, v92, v11, vcc
	v_cvt_f16_f32_e32 v9, v12
	v_mul_u32_u24_e32 v9, 0x10001, v9
	v_pk_mul_f16 v18, v108, v9
	v_sub_f32_e32 v9, v19, v1
	v_mul_f32_e32 v11, 0x3fb8aa3b, v9
	v_fma_f32 v14, v9, s14, -v11
	v_rndne_f32_e32 v15, v11
	v_fmac_f32_e32 v14, 0x32a5705f, v9
	v_sub_f32_e32 v11, v11, v15
	v_add_f32_e32 v11, v11, v14
	v_exp_f32_e32 v11, v11
	v_cvt_i32_f32_e32 v14, v15
	v_cmp_ngt_f32_e32 vcc, s15, v9
	v_ldexp_f32 v11, v11, v14
	s_nop 0
	v_cndmask_b32_e32 v11, 0, v11, vcc
	v_cmp_nlt_f32_e32 vcc, s20, v9
	s_nop 1
	v_cndmask_b32_e32 v9, v92, v11, vcc
	v_sub_f32_e32 v11, v21, v1
	v_mul_f32_e32 v14, 0x3fb8aa3b, v11
	v_fma_f32 v15, v11, s14, -v14
	v_rndne_f32_e32 v16, v14
	v_fmac_f32_e32 v15, 0x32a5705f, v11
	v_sub_f32_e32 v14, v14, v16
	v_add_f32_e32 v14, v14, v15
	v_exp_f32_e32 v14, v14
	v_cvt_i32_f32_e32 v15, v16
	v_cmp_ngt_f32_e32 vcc, s15, v11
	v_ldexp_f32 v14, v14, v15
	s_nop 0
	v_cndmask_b32_e32 v14, 0, v14, vcc
	v_cmp_nlt_f32_e32 vcc, s20, v11
	s_nop 1
	v_cndmask_b32_e32 v11, v92, v14, vcc
	v_mul_f32_e32 v14, 0x3fb8aa3b, v13
	v_fma_f32 v15, v13, s14, -v14
	v_rndne_f32_e32 v16, v14
	v_fmac_f32_e32 v15, 0x32a5705f, v13
	v_sub_f32_e32 v14, v14, v16
	v_add_f32_e32 v14, v14, v15
	v_exp_f32_e32 v14, v14
	v_cvt_i32_f32_e32 v15, v16
	v_cmp_ngt_f32_e32 vcc, s15, v13
	v_ldexp_f32 v14, v14, v15
	s_nop 0
	v_cndmask_b32_e32 v14, 0, v14, vcc
	v_cmp_nlt_f32_e32 vcc, s20, v13
	v_sub_f32_e32 v15, v114, v2
	s_nop 0
	v_cndmask_b32_e32 v13, v92, v14, vcc
	v_cvt_f16_f32_e32 v14, v13
	v_mul_u32_u24_e32 v14, 0x10001, v14
	v_pk_mul_f16 v19, v107, v14
	v_sub_f32_e32 v14, v22, v2
	v_mul_f32_e32 v16, 0x3fb8aa3b, v14
	v_fma_f32 v17, v14, s14, -v16
	v_rndne_f32_e32 v20, v16
	v_fmac_f32_e32 v17, 0x32a5705f, v14
	v_sub_f32_e32 v16, v16, v20
	v_add_f32_e32 v16, v16, v17
	v_exp_f32_e32 v16, v16
	v_cvt_i32_f32_e32 v17, v20
	v_cmp_ngt_f32_e32 vcc, s15, v14
	v_ldexp_f32 v16, v16, v17
	s_nop 0
	v_cndmask_b32_e32 v16, 0, v16, vcc
	v_cmp_nlt_f32_e32 vcc, s20, v14
	s_nop 1
	v_cndmask_b32_e32 v14, v92, v16, vcc
	v_sub_f32_e32 v16, v23, v2
	v_mul_f32_e32 v17, 0x3fb8aa3b, v16
	v_fma_f32 v20, v16, s14, -v17
	v_rndne_f32_e32 v21, v17
	v_fmac_f32_e32 v20, 0x32a5705f, v16
	v_sub_f32_e32 v17, v17, v21
	v_add_f32_e32 v17, v17, v20
	v_exp_f32_e32 v17, v17
	v_cvt_i32_f32_e32 v20, v21
	v_cmp_ngt_f32_e32 vcc, s15, v16
	v_ldexp_f32 v17, v17, v20
	s_nop 0
	v_cndmask_b32_e32 v17, 0, v17, vcc
	v_cmp_nlt_f32_e32 vcc, s20, v16
	s_nop 1
	v_cndmask_b32_e32 v16, v92, v17, vcc
	v_mul_f32_e32 v17, 0x3fb8aa3b, v15
	v_fma_f32 v20, v15, s14, -v17
	v_rndne_f32_e32 v21, v17
	v_fmac_f32_e32 v20, 0x32a5705f, v15
	v_sub_f32_e32 v17, v17, v21
	v_add_f32_e32 v17, v17, v20
	v_exp_f32_e32 v17, v17
	v_cvt_i32_f32_e32 v20, v21
	v_cmp_ngt_f32_e32 vcc, s15, v15
	v_sub_f32_e32 v21, v113, v3
	v_ldexp_f32 v17, v17, v20
	v_cndmask_b32_e32 v17, 0, v17, vcc
	v_cmp_nlt_f32_e32 vcc, s20, v15
	s_nop 1
	v_cndmask_b32_e32 v26, v92, v17, vcc
	v_cvt_f16_f32_e32 v15, v26
	v_mul_u32_u24_e32 v15, 0x10001, v15
	v_pk_mul_f16 v20, v106, v15
	v_sub_f32_e32 v15, v25, v3
	v_mul_f32_e32 v17, 0x3fb8aa3b, v15
	v_fma_f32 v22, v15, s14, -v17
	v_rndne_f32_e32 v23, v17
	v_fmac_f32_e32 v22, 0x32a5705f, v15
	v_sub_f32_e32 v17, v17, v23
	v_add_f32_e32 v17, v17, v22
	v_exp_f32_e32 v17, v17
	v_cvt_i32_f32_e32 v22, v23
	v_cmp_ngt_f32_e32 vcc, s15, v15
	v_ldexp_f32 v17, v17, v22
	s_nop 0
	v_cndmask_b32_e32 v17, 0, v17, vcc
	v_cmp_nlt_f32_e32 vcc, s20, v15
	s_nop 1
	v_cndmask_b32_e32 v15, v92, v17, vcc
	v_sub_f32_e32 v17, v24, v3
	v_mul_f32_e32 v22, 0x3fb8aa3b, v17
	v_fma_f32 v23, v17, s14, -v22
	v_rndne_f32_e32 v24, v22
	v_fmac_f32_e32 v23, 0x32a5705f, v17
	v_sub_f32_e32 v22, v22, v24
	v_add_f32_e32 v22, v22, v23
	v_exp_f32_e32 v22, v22
	v_cvt_i32_f32_e32 v23, v24
	v_cmp_ngt_f32_e32 vcc, s15, v17
	v_ldexp_f32 v22, v22, v23
	s_nop 0
	v_cndmask_b32_e32 v22, 0, v22, vcc
	v_cmp_nlt_f32_e32 vcc, s20, v17
	s_nop 1
	v_cndmask_b32_e32 v17, v92, v22, vcc
	v_mul_f32_e32 v22, 0x3fb8aa3b, v21
	v_fma_f32 v23, v21, s14, -v22
	v_rndne_f32_e32 v24, v22
	v_fmac_f32_e32 v23, 0x32a5705f, v21
	v_sub_f32_e32 v22, v22, v24
	v_add_f32_e32 v22, v22, v23
	v_exp_f32_e32 v22, v22
	v_cvt_i32_f32_e32 v23, v24
	v_cmp_ngt_f32_e32 vcc, s15, v21
	v_ldexp_f32 v22, v22, v23
	v_sub_f32_e32 v23, v28, v4
	v_mul_f32_e32 v24, 0x3fb8aa3b, v23
	v_fma_f32 v25, v23, s14, -v24
	v_rndne_f32_e32 v28, v24
	v_fmac_f32_e32 v25, 0x32a5705f, v23
	v_sub_f32_e32 v24, v24, v28
	v_add_f32_e32 v24, v24, v25
	v_exp_f32_e32 v24, v24
	v_cvt_i32_f32_e32 v25, v28
	v_cndmask_b32_e32 v22, 0, v22, vcc
	v_cmp_nlt_f32_e32 vcc, s20, v21
	v_ldexp_f32 v24, v24, v25
	s_nop 0
	v_cndmask_b32_e32 v27, v92, v22, vcc
	v_cmp_ngt_f32_e32 vcc, s15, v23
	v_sub_f32_e32 v22, v112, v4
	v_cvt_f16_f32_e32 v21, v27
	v_cndmask_b32_e32 v24, 0, v24, vcc
	v_cmp_nlt_f32_e32 vcc, s20, v23
	v_sub_f32_e32 v23, v29, v4
	v_mul_u32_u24_e32 v21, 0x10001, v21
	v_cndmask_b32_e32 v30, v92, v24, vcc
	v_mul_f32_e32 v24, 0x3fb8aa3b, v23
	v_fma_f32 v25, v23, s14, -v24
	v_rndne_f32_e32 v28, v24
	v_fmac_f32_e32 v25, 0x32a5705f, v23
	v_sub_f32_e32 v24, v24, v28
	v_add_f32_e32 v24, v24, v25
	v_exp_f32_e32 v24, v24
	v_cvt_i32_f32_e32 v25, v28
	v_cmp_ngt_f32_e32 vcc, s15, v23
	v_pk_mul_f16 v21, v105, v21
	v_ldexp_f32 v24, v24, v25
	v_cndmask_b32_e32 v24, 0, v24, vcc
	v_cmp_nlt_f32_e32 vcc, s20, v23
	v_mul_f32_e32 v23, 0x3fb8aa3b, v22
	v_rndne_f32_e32 v25, v23
	v_cndmask_b32_e32 v32, v92, v24, vcc
	v_fma_f32 v24, v22, s14, -v23
	v_fmac_f32_e32 v24, 0x32a5705f, v22
	v_sub_f32_e32 v23, v23, v25
	v_add_f32_e32 v23, v23, v24
	v_exp_f32_e32 v23, v23
	v_cvt_i32_f32_e32 v24, v25
	v_cmp_ngt_f32_e32 vcc, s15, v22
	v_ldexp_f32 v23, v23, v24
	v_sub_f32_e32 v24, v31, v5
	v_mul_f32_e32 v25, 0x3fb8aa3b, v24
	v_fma_f32 v29, v24, s14, -v25
	v_rndne_f32_e32 v31, v25
	v_fmac_f32_e32 v29, 0x32a5705f, v24
	v_sub_f32_e32 v25, v25, v31
	v_add_f32_e32 v25, v25, v29
	v_exp_f32_e32 v25, v25
	v_cvt_i32_f32_e32 v29, v31
	v_cndmask_b32_e32 v23, 0, v23, vcc
	v_cmp_nlt_f32_e32 vcc, s20, v22
	v_ldexp_f32 v25, v25, v29
	s_nop 0
	v_cndmask_b32_e32 v28, v92, v23, vcc
	v_cmp_ngt_f32_e32 vcc, s15, v24
	v_sub_f32_e32 v23, v111, v5
	v_cvt_f16_f32_e32 v22, v28
	v_cndmask_b32_e32 v25, 0, v25, vcc
	v_cmp_nlt_f32_e32 vcc, s20, v24
	v_sub_f32_e32 v24, v33, v5
	v_mul_u32_u24_e32 v22, 0x10001, v22
	v_cndmask_b32_e32 v31, v92, v25, vcc
	v_mul_f32_e32 v25, 0x3fb8aa3b, v24
	v_fma_f32 v29, v24, s14, -v25
	v_rndne_f32_e32 v33, v25
	v_fmac_f32_e32 v29, 0x32a5705f, v24
	v_sub_f32_e32 v25, v25, v33
	v_add_f32_e32 v25, v25, v29
	v_exp_f32_e32 v25, v25
	v_cvt_i32_f32_e32 v29, v33
	v_cmp_ngt_f32_e32 vcc, s15, v24
	v_pk_mul_f16 v22, v104, v22
	v_pk_add_f32 v[104:105], v[14:15], v[16:17]
	v_ldexp_f32 v25, v25, v29
	v_cndmask_b32_e32 v25, 0, v25, vcc
	v_cmp_nlt_f32_e32 vcc, s20, v24
	v_mul_f32_e32 v24, 0x3fb8aa3b, v23
	v_rndne_f32_e32 v29, v24
	v_cndmask_b32_e32 v33, v92, v25, vcc
	v_fma_f32 v25, v23, s14, -v24
	v_fmac_f32_e32 v25, 0x32a5705f, v23
	v_sub_f32_e32 v24, v24, v29
	v_add_f32_e32 v24, v24, v25
	v_exp_f32_e32 v24, v24
	v_cvt_i32_f32_e32 v25, v29
	v_cmp_ngt_f32_e32 vcc, s15, v23
	v_pk_add_f32 v[106:107], v[30:31], v[32:33]
	v_pk_fma_f32 v[44:45], v[44:45], v[26:27], v[104:105]
	v_ldexp_f32 v24, v24, v25
	v_sub_f32_e32 v25, v34, v6
	v_mul_f32_e32 v34, 0x3fb8aa3b, v25
	v_fma_f32 v36, v25, s14, -v34
	v_rndne_f32_e32 v38, v34
	v_fmac_f32_e32 v36, 0x32a5705f, v25
	v_sub_f32_e32 v34, v34, v38
	v_add_f32_e32 v34, v34, v36
	v_exp_f32_e32 v34, v34
	v_cvt_i32_f32_e32 v36, v38
	v_cndmask_b32_e32 v24, 0, v24, vcc
	v_cmp_nlt_f32_e32 vcc, s20, v23
	v_cvt_pk_f16_f32 v27, v14, v15
	v_ldexp_f32 v34, v34, v36
	v_cndmask_b32_e32 v29, v92, v24, vcc
	v_cmp_ngt_f32_e32 vcc, s15, v25
	v_sub_f32_e32 v24, v110, v6
	v_cvt_f16_f32_e32 v23, v29
	v_cndmask_b32_e32 v34, 0, v34, vcc
	v_cmp_nlt_f32_e32 vcc, s20, v25
	v_sub_f32_e32 v25, v35, v6
	v_mul_f32_e32 v35, 0x3fb8aa3b, v25
	v_fma_f32 v36, v25, s14, -v35
	v_rndne_f32_e32 v38, v35
	v_fmac_f32_e32 v36, 0x32a5705f, v25
	v_sub_f32_e32 v35, v35, v38
	v_add_f32_e32 v35, v35, v36
	v_exp_f32_e32 v35, v35
	v_cvt_i32_f32_e32 v36, v38
	v_cndmask_b32_e32 v34, v92, v34, vcc
	v_cmp_ngt_f32_e32 vcc, s15, v25
	v_mul_u32_u24_e32 v23, 0x10001, v23
	v_ldexp_f32 v35, v35, v36
	v_cndmask_b32_e32 v35, 0, v35, vcc
	v_cmp_nlt_f32_e32 vcc, s20, v25
	v_mul_f32_e32 v25, 0x3fb8aa3b, v24
	v_rndne_f32_e32 v38, v25
	v_cndmask_b32_e32 v36, v92, v35, vcc
	v_fma_f32 v35, v24, s14, -v25
	v_fmac_f32_e32 v35, 0x32a5705f, v24
	v_sub_f32_e32 v25, v25, v38
	v_add_f32_e32 v25, v25, v35
	v_exp_f32_e32 v25, v25
	v_cvt_i32_f32_e32 v35, v38
	v_cmp_ngt_f32_e32 vcc, s15, v24
	v_pk_mul_f16 v23, v103, v23
	v_pk_fma_f32 v[42:43], v[42:43], v[28:29], v[106:107]
	v_ldexp_f32 v25, v25, v35
	v_cndmask_b32_e32 v25, 0, v25, vcc
	v_cmp_nlt_f32_e32 vcc, s20, v24
	v_sub_f32_e32 v35, v37, v7
	v_mul_f32_e32 v37, 0x3fb8aa3b, v35
	v_cndmask_b32_e32 v38, v92, v25, vcc
	v_cvt_f16_f32_e32 v24, v38
	v_rndne_f32_e32 v103, v37
	v_cmp_ngt_f32_e32 vcc, s15, v35
	v_sub_f32_e32 v25, v109, v7
	v_mul_u32_u24_e32 v24, 0x10001, v24
	v_pk_mul_f16 v24, v102, v24
	v_fma_f32 v102, v35, s14, -v37
	v_fmac_f32_e32 v102, 0x32a5705f, v35
	v_sub_f32_e32 v37, v37, v103
	v_add_f32_e32 v37, v37, v102
	v_exp_f32_e32 v37, v37
	v_cvt_i32_f32_e32 v102, v103
	v_cvt_pk_f16_f32 v28, v30, v31
	v_cvt_pk_f16_f32 v26, v8, v9
	v_ldexp_f32 v37, v37, v102
	v_cndmask_b32_e32 v37, 0, v37, vcc
	v_cmp_nlt_f32_e32 vcc, s20, v35
	s_nop 1
	v_cndmask_b32_e32 v35, v92, v37, vcc
	v_sub_f32_e32 v37, v39, v7
	v_mul_f32_e32 v39, 0x3fb8aa3b, v37
	v_fma_f32 v102, v37, s14, -v39
	v_rndne_f32_e32 v103, v39
	v_fmac_f32_e32 v102, 0x32a5705f, v37
	v_sub_f32_e32 v39, v39, v103
	v_add_f32_e32 v39, v39, v102
	v_exp_f32_e32 v39, v39
	v_cvt_i32_f32_e32 v102, v103
	v_cmp_ngt_f32_e32 vcc, s15, v37
	v_cvt_pk_f16_f32 v29, v34, v35
	ds_write_b128 v93, v[26:29]
	v_ldexp_f32 v39, v39, v102
	v_cndmask_b32_e32 v39, 0, v39, vcc
	v_cmp_nlt_f32_e32 vcc, s20, v37
	v_cvt_pk_f16_f32 v26, v10, v11
	v_cvt_pk_f16_f32 v27, v16, v17
	v_cndmask_b32_e32 v37, v92, v39, vcc
	v_mul_f32_e32 v39, 0x3fb8aa3b, v25
	v_fma_f32 v102, v25, s14, -v39
	v_rndne_f32_e32 v103, v39
	v_fmac_f32_e32 v102, 0x32a5705f, v25
	v_sub_f32_e32 v39, v39, v103
	v_add_f32_e32 v39, v39, v102
	v_exp_f32_e32 v39, v39
	v_cvt_i32_f32_e32 v102, v103
	v_cmp_ngt_f32_e32 vcc, s15, v25
	v_cvt_pk_f16_f32 v29, v36, v37
	v_cvt_pk_f16_f32 v28, v32, v33
	v_ldexp_f32 v39, v39, v102
	v_pk_add_f32 v[102:103], v[8:9], v[10:11]
	v_lshl_add_u64 v[8:9], v[54:55], 2, s[24:25]
	v_lshl_add_u64 v[10:11], v[56:57], 2, s[24:25]
	;; [unrolled: 1-line block ×4, first 2 shown]
	global_load_dwordx4 v[14:17], v[8:9], off
	v_cndmask_b32_e32 v39, 0, v39, vcc
	global_load_dwordx4 v[8:11], v[10:11], off
	v_cmp_nlt_f32_e32 vcc, s20, v25
	v_pk_fma_f32 v[46:47], v[46:47], v[12:13], v[102:103]
	v_pk_add_f32 v[108:109], v[34:35], v[36:37]
	v_cndmask_b32_e32 v39, v92, v39, vcc
	v_cvt_f16_f32_e32 v12, v39
	ds_write_b128 v93, v[26:29] offset:512
	v_pk_fma_f32 v[40:41], v[40:41], v[38:39], v[108:109]
	v_mul_u32_u24_e32 v12, 0x10001, v12
	v_pk_mul_f16 v12, v101, v12
	s_waitcnt vmcnt(1)
	ds_write_b128 v90, v[14:17]
	s_waitcnt vmcnt(0)
	ds_write_b128 v91, v[8:11]
	s_waitcnt lgkmcnt(0)
	s_barrier
	ds_read2_b32 v[34:35], v80 offset1:32
	ds_read_b128 v[8:11], v89
	ds_read_b128 v[14:17], v89 offset:16
	ds_read_b128 v[26:29], v89 offset:32
	;; [unrolled: 1-line block ×3, first 2 shown]
	s_waitcnt lgkmcnt(3)
	v_mul_u32_u24_sdwa v13, v8, s21 dst_sel:DWORD dst_unused:UNUSED_PAD src0_sel:WORD_0 src1_sel:DWORD
	v_mul_u32_u24_sdwa v8, v8, s21 dst_sel:DWORD dst_unused:UNUSED_PAD src0_sel:WORD_1 src1_sel:DWORD
	v_mul_u32_u24_sdwa v25, v9, s21 dst_sel:DWORD dst_unused:UNUSED_PAD src0_sel:WORD_0 src1_sel:DWORD
	v_mul_u32_u24_sdwa v9, v9, s21 dst_sel:DWORD dst_unused:UNUSED_PAD src0_sel:WORD_1 src1_sel:DWORD
	;; [unrolled: 2-line block ×3, first 2 shown]
	v_pk_fma_f16 v13, v34, v13, v18
	v_pk_fma_f16 v8, v34, v8, v19
	;; [unrolled: 1-line block ×4, first 2 shown]
	s_waitcnt lgkmcnt(2)
	v_mul_u32_u24_sdwa v12, v14, s21 dst_sel:DWORD dst_unused:UNUSED_PAD src0_sel:WORD_0 src1_sel:DWORD
	v_mul_u32_u24_sdwa v14, v14, s21 dst_sel:DWORD dst_unused:UNUSED_PAD src0_sel:WORD_1 src1_sel:DWORD
	v_mul_u32_u24_sdwa v21, v15, s21 dst_sel:DWORD dst_unused:UNUSED_PAD src0_sel:WORD_0 src1_sel:DWORD
	v_mul_u32_u24_sdwa v15, v15, s21 dst_sel:DWORD dst_unused:UNUSED_PAD src0_sel:WORD_1 src1_sel:DWORD
	v_pk_fma_f16 v12, v35, v12, v13
	v_pk_fma_f16 v13, v35, v14, v8
	;; [unrolled: 1-line block ×3, first 2 shown]
	ds_read2_b32 v[8:9], v80 offset0:64 offset1:96
	v_mul_u32_u24_sdwa v36, v10, s21 dst_sel:DWORD dst_unused:UNUSED_PAD src0_sel:WORD_0 src1_sel:DWORD
	v_mul_u32_u24_sdwa v10, v10, s21 dst_sel:DWORD dst_unused:UNUSED_PAD src0_sel:WORD_1 src1_sel:DWORD
	v_pk_fma_f16 v18, v34, v25, v20
	v_pk_fma_f16 v19, v34, v36, v22
	;; [unrolled: 1-line block ×4, first 2 shown]
	v_mul_u32_u24_sdwa v22, v16, s21 dst_sel:DWORD dst_unused:UNUSED_PAD src0_sel:WORD_0 src1_sel:DWORD
	v_mul_u32_u24_sdwa v16, v16, s21 dst_sel:DWORD dst_unused:UNUSED_PAD src0_sel:WORD_1 src1_sel:DWORD
	v_mul_u32_u24_sdwa v23, v17, s21 dst_sel:DWORD dst_unused:UNUSED_PAD src0_sel:WORD_0 src1_sel:DWORD
	v_mul_u32_u24_sdwa v17, v17, s21 dst_sel:DWORD dst_unused:UNUSED_PAD src0_sel:WORD_1 src1_sel:DWORD
	v_pk_fma_f16 v14, v35, v21, v18
	v_pk_fma_f16 v18, v35, v22, v19
	v_pk_fma_f16 v10, v35, v16, v10
	v_pk_fma_f16 v16, v35, v23, v20
	v_pk_fma_f16 v11, v35, v17, v11
	s_waitcnt lgkmcnt(2)
	v_mul_u32_u24_sdwa v17, v26, s21 dst_sel:DWORD dst_unused:UNUSED_PAD src0_sel:WORD_0 src1_sel:DWORD
	v_mul_u32_u24_sdwa v19, v26, s21 dst_sel:DWORD dst_unused:UNUSED_PAD src0_sel:WORD_1 src1_sel:DWORD
	v_mul_u32_u24_sdwa v20, v27, s21 dst_sel:DWORD dst_unused:UNUSED_PAD src0_sel:WORD_0 src1_sel:DWORD
	v_mul_u32_u24_sdwa v21, v27, s21 dst_sel:DWORD dst_unused:UNUSED_PAD src0_sel:WORD_1 src1_sel:DWORD
	;; [unrolled: 2-line block ×4, first 2 shown]
	s_waitcnt lgkmcnt(0)
	v_pk_fma_f16 v12, v8, v17, v12
	v_pk_fma_f16 v13, v8, v19, v13
	;; [unrolled: 1-line block ×8, first 2 shown]
	v_mul_u32_u24_sdwa v11, v30, s21 dst_sel:DWORD dst_unused:UNUSED_PAD src0_sel:WORD_0 src1_sel:DWORD
	v_mul_u32_u24_sdwa v18, v30, s21 dst_sel:DWORD dst_unused:UNUSED_PAD src0_sel:WORD_1 src1_sel:DWORD
	v_mul_u32_u24_sdwa v19, v31, s21 dst_sel:DWORD dst_unused:UNUSED_PAD src0_sel:WORD_0 src1_sel:DWORD
	v_mul_u32_u24_sdwa v20, v31, s21 dst_sel:DWORD dst_unused:UNUSED_PAD src0_sel:WORD_1 src1_sel:DWORD
	;; [unrolled: 2-line block ×4, first 2 shown]
	v_pk_fma_f16 v25, v9, v11, v12
	v_pk_fma_f16 v18, v9, v18, v13
	;; [unrolled: 1-line block ×8, first 2 shown]
	ds_read2_b32 v[12:13], v80 offset0:128 offset1:160
	ds_read_b128 v[8:11], v89 offset:64
	s_waitcnt lgkmcnt(0)
	v_mul_u32_u24_sdwa v21, v8, s21 dst_sel:DWORD dst_unused:UNUSED_PAD src0_sel:WORD_0 src1_sel:DWORD
	v_mul_u32_u24_sdwa v8, v8, s21 dst_sel:DWORD dst_unused:UNUSED_PAD src0_sel:WORD_1 src1_sel:DWORD
	v_mul_u32_u24_sdwa v22, v9, s21 dst_sel:DWORD dst_unused:UNUSED_PAD src0_sel:WORD_0 src1_sel:DWORD
	v_mul_u32_u24_sdwa v9, v9, s21 dst_sel:DWORD dst_unused:UNUSED_PAD src0_sel:WORD_1 src1_sel:DWORD
	;; [unrolled: 2-line block ×4, first 2 shown]
	v_pk_fma_f16 v21, v12, v21, v25
	v_pk_fma_f16 v18, v12, v8, v18
	;; [unrolled: 1-line block ×8, first 2 shown]
	ds_read_b128 v[8:11], v89 offset:80
	s_waitcnt lgkmcnt(0)
	v_mul_u32_u24_sdwa v20, v8, s21 dst_sel:DWORD dst_unused:UNUSED_PAD src0_sel:WORD_0 src1_sel:DWORD
	v_mul_u32_u24_sdwa v8, v8, s21 dst_sel:DWORD dst_unused:UNUSED_PAD src0_sel:WORD_1 src1_sel:DWORD
	v_mul_u32_u24_sdwa v22, v9, s21 dst_sel:DWORD dst_unused:UNUSED_PAD src0_sel:WORD_0 src1_sel:DWORD
	v_mul_u32_u24_sdwa v9, v9, s21 dst_sel:DWORD dst_unused:UNUSED_PAD src0_sel:WORD_1 src1_sel:DWORD
	;; [unrolled: 2-line block ×4, first 2 shown]
	v_pk_fma_f16 v20, v13, v20, v21
	v_pk_fma_f16 v18, v13, v8, v18
	;; [unrolled: 1-line block ×8, first 2 shown]
	ds_read2_b32 v[12:13], v80 offset0:192 offset1:224
	ds_read_b128 v[8:11], v89 offset:96
	s_waitcnt lgkmcnt(0)
	v_mul_u32_u24_sdwa v22, v8, s21 dst_sel:DWORD dst_unused:UNUSED_PAD src0_sel:WORD_0 src1_sel:DWORD
	v_mul_u32_u24_sdwa v8, v8, s21 dst_sel:DWORD dst_unused:UNUSED_PAD src0_sel:WORD_1 src1_sel:DWORD
	v_mul_u32_u24_sdwa v23, v9, s21 dst_sel:DWORD dst_unused:UNUSED_PAD src0_sel:WORD_0 src1_sel:DWORD
	v_mul_u32_u24_sdwa v9, v9, s21 dst_sel:DWORD dst_unused:UNUSED_PAD src0_sel:WORD_1 src1_sel:DWORD
	;; [unrolled: 2-line block ×4, first 2 shown]
	v_pk_fma_f16 v20, v12, v22, v20
	v_pk_fma_f16 v18, v12, v8, v18
	;; [unrolled: 1-line block ×8, first 2 shown]
	ds_read_b128 v[8:11], v89 offset:112
	s_waitcnt lgkmcnt(0)
	v_mul_u32_u24_sdwa v21, v8, s21 dst_sel:DWORD dst_unused:UNUSED_PAD src0_sel:WORD_0 src1_sel:DWORD
	v_mul_u32_u24_sdwa v8, v8, s21 dst_sel:DWORD dst_unused:UNUSED_PAD src0_sel:WORD_1 src1_sel:DWORD
	v_mul_u32_u24_sdwa v22, v9, s21 dst_sel:DWORD dst_unused:UNUSED_PAD src0_sel:WORD_0 src1_sel:DWORD
	v_mul_u32_u24_sdwa v9, v9, s21 dst_sel:DWORD dst_unused:UNUSED_PAD src0_sel:WORD_1 src1_sel:DWORD
	;; [unrolled: 2-line block ×4, first 2 shown]
	v_pk_fma_f16 v20, v13, v21, v20
	v_pk_fma_f16 v18, v13, v8, v18
	;; [unrolled: 1-line block ×8, first 2 shown]
	ds_read2_b32 v[12:13], v94 offset1:32
	ds_read_b128 v[8:11], v89 offset:128
	s_waitcnt lgkmcnt(0)
	v_mul_u32_u24_sdwa v22, v8, s21 dst_sel:DWORD dst_unused:UNUSED_PAD src0_sel:WORD_0 src1_sel:DWORD
	v_mul_u32_u24_sdwa v8, v8, s21 dst_sel:DWORD dst_unused:UNUSED_PAD src0_sel:WORD_1 src1_sel:DWORD
	v_mul_u32_u24_sdwa v23, v9, s21 dst_sel:DWORD dst_unused:UNUSED_PAD src0_sel:WORD_0 src1_sel:DWORD
	v_mul_u32_u24_sdwa v9, v9, s21 dst_sel:DWORD dst_unused:UNUSED_PAD src0_sel:WORD_1 src1_sel:DWORD
	v_mul_u32_u24_sdwa v24, v10, s21 dst_sel:DWORD dst_unused:UNUSED_PAD src0_sel:WORD_0 src1_sel:DWORD
	v_mul_u32_u24_sdwa v10, v10, s21 dst_sel:DWORD dst_unused:UNUSED_PAD src0_sel:WORD_1 src1_sel:DWORD
	v_mul_u32_u24_sdwa v25, v11, s21 dst_sel:DWORD dst_unused:UNUSED_PAD src0_sel:WORD_0 src1_sel:DWORD
	v_mul_u32_u24_sdwa v11, v11, s21 dst_sel:DWORD dst_unused:UNUSED_PAD src0_sel:WORD_1 src1_sel:DWORD
	v_pk_fma_f16 v20, v12, v22, v20
	v_pk_fma_f16 v18, v12, v8, v18
	v_pk_fma_f16 v14, v12, v23, v14
	v_pk_fma_f16 v15, v12, v9, v15
	v_pk_fma_f16 v17, v12, v24, v17
	v_pk_fma_f16 v19, v12, v10, v19
	v_pk_fma_f16 v16, v12, v25, v16
	v_pk_fma_f16 v12, v12, v11, v21
	ds_read_b128 v[8:11], v89 offset:144
	s_waitcnt lgkmcnt(0)
	v_mul_u32_u24_sdwa v21, v8, s21 dst_sel:DWORD dst_unused:UNUSED_PAD src0_sel:WORD_0 src1_sel:DWORD
	v_mul_u32_u24_sdwa v8, v8, s21 dst_sel:DWORD dst_unused:UNUSED_PAD src0_sel:WORD_1 src1_sel:DWORD
	v_mul_u32_u24_sdwa v22, v9, s21 dst_sel:DWORD dst_unused:UNUSED_PAD src0_sel:WORD_0 src1_sel:DWORD
	v_mul_u32_u24_sdwa v9, v9, s21 dst_sel:DWORD dst_unused:UNUSED_PAD src0_sel:WORD_1 src1_sel:DWORD
	v_mul_u32_u24_sdwa v23, v10, s21 dst_sel:DWORD dst_unused:UNUSED_PAD src0_sel:WORD_0 src1_sel:DWORD
	v_mul_u32_u24_sdwa v10, v10, s21 dst_sel:DWORD dst_unused:UNUSED_PAD src0_sel:WORD_1 src1_sel:DWORD
	v_mul_u32_u24_sdwa v24, v11, s21 dst_sel:DWORD dst_unused:UNUSED_PAD src0_sel:WORD_0 src1_sel:DWORD
	v_mul_u32_u24_sdwa v11, v11, s21 dst_sel:DWORD dst_unused:UNUSED_PAD src0_sel:WORD_1 src1_sel:DWORD
	v_pk_fma_f16 v20, v13, v21, v20
	v_pk_fma_f16 v18, v13, v8, v18
	v_pk_fma_f16 v14, v13, v22, v14
	v_pk_fma_f16 v15, v13, v9, v15
	v_pk_fma_f16 v17, v13, v23, v17
	v_pk_fma_f16 v19, v13, v10, v19
	v_pk_fma_f16 v16, v13, v24, v16
	v_pk_fma_f16 v21, v13, v11, v12
	ds_read2_b32 v[12:13], v94 offset0:64 offset1:96
	ds_read_b128 v[8:11], v89 offset:160
	s_waitcnt lgkmcnt(0)
	v_mul_u32_u24_sdwa v22, v8, s21 dst_sel:DWORD dst_unused:UNUSED_PAD src0_sel:WORD_0 src1_sel:DWORD
	v_mul_u32_u24_sdwa v8, v8, s21 dst_sel:DWORD dst_unused:UNUSED_PAD src0_sel:WORD_1 src1_sel:DWORD
	v_mul_u32_u24_sdwa v23, v9, s21 dst_sel:DWORD dst_unused:UNUSED_PAD src0_sel:WORD_0 src1_sel:DWORD
	v_mul_u32_u24_sdwa v9, v9, s21 dst_sel:DWORD dst_unused:UNUSED_PAD src0_sel:WORD_1 src1_sel:DWORD
	v_mul_u32_u24_sdwa v24, v10, s21 dst_sel:DWORD dst_unused:UNUSED_PAD src0_sel:WORD_0 src1_sel:DWORD
	v_mul_u32_u24_sdwa v10, v10, s21 dst_sel:DWORD dst_unused:UNUSED_PAD src0_sel:WORD_1 src1_sel:DWORD
	v_mul_u32_u24_sdwa v25, v11, s21 dst_sel:DWORD dst_unused:UNUSED_PAD src0_sel:WORD_0 src1_sel:DWORD
	v_mul_u32_u24_sdwa v11, v11, s21 dst_sel:DWORD dst_unused:UNUSED_PAD src0_sel:WORD_1 src1_sel:DWORD
	v_pk_fma_f16 v20, v12, v22, v20
	v_pk_fma_f16 v18, v12, v8, v18
	v_pk_fma_f16 v14, v12, v23, v14
	v_pk_fma_f16 v15, v12, v9, v15
	v_pk_fma_f16 v17, v12, v24, v17
	v_pk_fma_f16 v19, v12, v10, v19
	v_pk_fma_f16 v16, v12, v25, v16
	v_pk_fma_f16 v12, v12, v11, v21
	ds_read_b128 v[8:11], v89 offset:176
	s_waitcnt lgkmcnt(0)
	v_mul_u32_u24_sdwa v21, v8, s21 dst_sel:DWORD dst_unused:UNUSED_PAD src0_sel:WORD_0 src1_sel:DWORD
	v_mul_u32_u24_sdwa v8, v8, s21 dst_sel:DWORD dst_unused:UNUSED_PAD src0_sel:WORD_1 src1_sel:DWORD
	v_mul_u32_u24_sdwa v22, v9, s21 dst_sel:DWORD dst_unused:UNUSED_PAD src0_sel:WORD_0 src1_sel:DWORD
	v_mul_u32_u24_sdwa v9, v9, s21 dst_sel:DWORD dst_unused:UNUSED_PAD src0_sel:WORD_1 src1_sel:DWORD
	v_mul_u32_u24_sdwa v23, v10, s21 dst_sel:DWORD dst_unused:UNUSED_PAD src0_sel:WORD_0 src1_sel:DWORD
	v_mul_u32_u24_sdwa v10, v10, s21 dst_sel:DWORD dst_unused:UNUSED_PAD src0_sel:WORD_1 src1_sel:DWORD
	v_mul_u32_u24_sdwa v24, v11, s21 dst_sel:DWORD dst_unused:UNUSED_PAD src0_sel:WORD_0 src1_sel:DWORD
	v_mul_u32_u24_sdwa v11, v11, s21 dst_sel:DWORD dst_unused:UNUSED_PAD src0_sel:WORD_1 src1_sel:DWORD
	v_pk_fma_f16 v20, v13, v21, v20
	v_pk_fma_f16 v18, v13, v8, v18
	v_pk_fma_f16 v14, v13, v22, v14
	v_pk_fma_f16 v15, v13, v9, v15
	v_pk_fma_f16 v17, v13, v23, v17
	v_pk_fma_f16 v19, v13, v10, v19
	v_pk_fma_f16 v16, v13, v24, v16
	v_pk_fma_f16 v21, v13, v11, v12
	ds_read2_b32 v[12:13], v94 offset0:128 offset1:160
	;; [unrolled: 37-line block ×3, first 2 shown]
	ds_read_b128 v[8:11], v89 offset:224
	s_waitcnt lgkmcnt(0)
	v_mul_u32_u24_sdwa v22, v8, s21 dst_sel:DWORD dst_unused:UNUSED_PAD src0_sel:WORD_0 src1_sel:DWORD
	v_mul_u32_u24_sdwa v8, v8, s21 dst_sel:DWORD dst_unused:UNUSED_PAD src0_sel:WORD_1 src1_sel:DWORD
	v_mul_u32_u24_sdwa v23, v9, s21 dst_sel:DWORD dst_unused:UNUSED_PAD src0_sel:WORD_0 src1_sel:DWORD
	v_mul_u32_u24_sdwa v9, v9, s21 dst_sel:DWORD dst_unused:UNUSED_PAD src0_sel:WORD_1 src1_sel:DWORD
	;; [unrolled: 2-line block ×4, first 2 shown]
	v_pk_fma_f16 v20, v12, v22, v20
	v_pk_fma_f16 v18, v12, v8, v18
	;; [unrolled: 1-line block ×8, first 2 shown]
	ds_read_b128 v[8:11], v89 offset:240
	s_waitcnt lgkmcnt(0)
	v_mul_u32_u24_sdwa v21, v8, s21 dst_sel:DWORD dst_unused:UNUSED_PAD src0_sel:WORD_0 src1_sel:DWORD
	v_mul_u32_u24_sdwa v8, v8, s21 dst_sel:DWORD dst_unused:UNUSED_PAD src0_sel:WORD_1 src1_sel:DWORD
	v_mul_u32_u24_sdwa v22, v9, s21 dst_sel:DWORD dst_unused:UNUSED_PAD src0_sel:WORD_0 src1_sel:DWORD
	v_mul_u32_u24_sdwa v9, v9, s21 dst_sel:DWORD dst_unused:UNUSED_PAD src0_sel:WORD_1 src1_sel:DWORD
	;; [unrolled: 2-line block ×4, first 2 shown]
	v_pk_fma_f16 v20, v13, v21, v20
	v_pk_fma_f16 v18, v13, v8, v18
	;; [unrolled: 1-line block ×8, first 2 shown]
	ds_read2_b32 v[12:13], v95 offset1:32
	ds_read_b128 v[8:11], v89 offset:256
	s_waitcnt lgkmcnt(0)
	v_mul_u32_u24_sdwa v22, v8, s21 dst_sel:DWORD dst_unused:UNUSED_PAD src0_sel:WORD_0 src1_sel:DWORD
	v_mul_u32_u24_sdwa v8, v8, s21 dst_sel:DWORD dst_unused:UNUSED_PAD src0_sel:WORD_1 src1_sel:DWORD
	v_mul_u32_u24_sdwa v23, v9, s21 dst_sel:DWORD dst_unused:UNUSED_PAD src0_sel:WORD_0 src1_sel:DWORD
	v_mul_u32_u24_sdwa v9, v9, s21 dst_sel:DWORD dst_unused:UNUSED_PAD src0_sel:WORD_1 src1_sel:DWORD
	v_mul_u32_u24_sdwa v24, v10, s21 dst_sel:DWORD dst_unused:UNUSED_PAD src0_sel:WORD_0 src1_sel:DWORD
	v_mul_u32_u24_sdwa v10, v10, s21 dst_sel:DWORD dst_unused:UNUSED_PAD src0_sel:WORD_1 src1_sel:DWORD
	v_mul_u32_u24_sdwa v25, v11, s21 dst_sel:DWORD dst_unused:UNUSED_PAD src0_sel:WORD_0 src1_sel:DWORD
	v_mul_u32_u24_sdwa v11, v11, s21 dst_sel:DWORD dst_unused:UNUSED_PAD src0_sel:WORD_1 src1_sel:DWORD
	v_pk_fma_f16 v20, v12, v22, v20
	v_pk_fma_f16 v18, v12, v8, v18
	v_pk_fma_f16 v14, v12, v23, v14
	v_pk_fma_f16 v15, v12, v9, v15
	v_pk_fma_f16 v17, v12, v24, v17
	v_pk_fma_f16 v19, v12, v10, v19
	v_pk_fma_f16 v16, v12, v25, v16
	v_pk_fma_f16 v12, v12, v11, v21
	ds_read_b128 v[8:11], v89 offset:272
	s_waitcnt lgkmcnt(0)
	v_mul_u32_u24_sdwa v21, v8, s21 dst_sel:DWORD dst_unused:UNUSED_PAD src0_sel:WORD_0 src1_sel:DWORD
	v_mul_u32_u24_sdwa v8, v8, s21 dst_sel:DWORD dst_unused:UNUSED_PAD src0_sel:WORD_1 src1_sel:DWORD
	v_mul_u32_u24_sdwa v22, v9, s21 dst_sel:DWORD dst_unused:UNUSED_PAD src0_sel:WORD_0 src1_sel:DWORD
	v_mul_u32_u24_sdwa v9, v9, s21 dst_sel:DWORD dst_unused:UNUSED_PAD src0_sel:WORD_1 src1_sel:DWORD
	v_mul_u32_u24_sdwa v23, v10, s21 dst_sel:DWORD dst_unused:UNUSED_PAD src0_sel:WORD_0 src1_sel:DWORD
	v_mul_u32_u24_sdwa v10, v10, s21 dst_sel:DWORD dst_unused:UNUSED_PAD src0_sel:WORD_1 src1_sel:DWORD
	v_mul_u32_u24_sdwa v24, v11, s21 dst_sel:DWORD dst_unused:UNUSED_PAD src0_sel:WORD_0 src1_sel:DWORD
	v_mul_u32_u24_sdwa v11, v11, s21 dst_sel:DWORD dst_unused:UNUSED_PAD src0_sel:WORD_1 src1_sel:DWORD
	v_pk_fma_f16 v20, v13, v21, v20
	v_pk_fma_f16 v18, v13, v8, v18
	v_pk_fma_f16 v14, v13, v22, v14
	v_pk_fma_f16 v15, v13, v9, v15
	v_pk_fma_f16 v17, v13, v23, v17
	v_pk_fma_f16 v19, v13, v10, v19
	v_pk_fma_f16 v16, v13, v24, v16
	v_pk_fma_f16 v21, v13, v11, v12
	ds_read2_b32 v[12:13], v95 offset0:64 offset1:96
	ds_read_b128 v[8:11], v89 offset:288
	s_waitcnt lgkmcnt(0)
	v_mul_u32_u24_sdwa v22, v8, s21 dst_sel:DWORD dst_unused:UNUSED_PAD src0_sel:WORD_0 src1_sel:DWORD
	v_mul_u32_u24_sdwa v8, v8, s21 dst_sel:DWORD dst_unused:UNUSED_PAD src0_sel:WORD_1 src1_sel:DWORD
	v_mul_u32_u24_sdwa v23, v9, s21 dst_sel:DWORD dst_unused:UNUSED_PAD src0_sel:WORD_0 src1_sel:DWORD
	v_mul_u32_u24_sdwa v9, v9, s21 dst_sel:DWORD dst_unused:UNUSED_PAD src0_sel:WORD_1 src1_sel:DWORD
	v_mul_u32_u24_sdwa v24, v10, s21 dst_sel:DWORD dst_unused:UNUSED_PAD src0_sel:WORD_0 src1_sel:DWORD
	v_mul_u32_u24_sdwa v10, v10, s21 dst_sel:DWORD dst_unused:UNUSED_PAD src0_sel:WORD_1 src1_sel:DWORD
	v_mul_u32_u24_sdwa v25, v11, s21 dst_sel:DWORD dst_unused:UNUSED_PAD src0_sel:WORD_0 src1_sel:DWORD
	v_mul_u32_u24_sdwa v11, v11, s21 dst_sel:DWORD dst_unused:UNUSED_PAD src0_sel:WORD_1 src1_sel:DWORD
	v_pk_fma_f16 v20, v12, v22, v20
	v_pk_fma_f16 v18, v12, v8, v18
	v_pk_fma_f16 v14, v12, v23, v14
	v_pk_fma_f16 v15, v12, v9, v15
	v_pk_fma_f16 v17, v12, v24, v17
	v_pk_fma_f16 v19, v12, v10, v19
	v_pk_fma_f16 v16, v12, v25, v16
	v_pk_fma_f16 v12, v12, v11, v21
	ds_read_b128 v[8:11], v89 offset:304
	s_waitcnt lgkmcnt(0)
	v_mul_u32_u24_sdwa v21, v8, s21 dst_sel:DWORD dst_unused:UNUSED_PAD src0_sel:WORD_0 src1_sel:DWORD
	v_mul_u32_u24_sdwa v8, v8, s21 dst_sel:DWORD dst_unused:UNUSED_PAD src0_sel:WORD_1 src1_sel:DWORD
	v_mul_u32_u24_sdwa v22, v9, s21 dst_sel:DWORD dst_unused:UNUSED_PAD src0_sel:WORD_0 src1_sel:DWORD
	v_mul_u32_u24_sdwa v9, v9, s21 dst_sel:DWORD dst_unused:UNUSED_PAD src0_sel:WORD_1 src1_sel:DWORD
	v_mul_u32_u24_sdwa v23, v10, s21 dst_sel:DWORD dst_unused:UNUSED_PAD src0_sel:WORD_0 src1_sel:DWORD
	v_mul_u32_u24_sdwa v10, v10, s21 dst_sel:DWORD dst_unused:UNUSED_PAD src0_sel:WORD_1 src1_sel:DWORD
	v_mul_u32_u24_sdwa v24, v11, s21 dst_sel:DWORD dst_unused:UNUSED_PAD src0_sel:WORD_0 src1_sel:DWORD
	v_mul_u32_u24_sdwa v11, v11, s21 dst_sel:DWORD dst_unused:UNUSED_PAD src0_sel:WORD_1 src1_sel:DWORD
	v_pk_fma_f16 v20, v13, v21, v20
	v_pk_fma_f16 v18, v13, v8, v18
	v_pk_fma_f16 v14, v13, v22, v14
	v_pk_fma_f16 v15, v13, v9, v15
	v_pk_fma_f16 v17, v13, v23, v17
	v_pk_fma_f16 v19, v13, v10, v19
	v_pk_fma_f16 v16, v13, v24, v16
	v_pk_fma_f16 v21, v13, v11, v12
	ds_read2_b32 v[12:13], v95 offset0:128 offset1:160
	;; [unrolled: 37-line block ×3, first 2 shown]
	ds_read_b128 v[8:11], v89 offset:352
	s_waitcnt lgkmcnt(0)
	v_mul_u32_u24_sdwa v22, v8, s21 dst_sel:DWORD dst_unused:UNUSED_PAD src0_sel:WORD_0 src1_sel:DWORD
	v_mul_u32_u24_sdwa v8, v8, s21 dst_sel:DWORD dst_unused:UNUSED_PAD src0_sel:WORD_1 src1_sel:DWORD
	v_mul_u32_u24_sdwa v23, v9, s21 dst_sel:DWORD dst_unused:UNUSED_PAD src0_sel:WORD_0 src1_sel:DWORD
	v_mul_u32_u24_sdwa v9, v9, s21 dst_sel:DWORD dst_unused:UNUSED_PAD src0_sel:WORD_1 src1_sel:DWORD
	v_mul_u32_u24_sdwa v24, v10, s21 dst_sel:DWORD dst_unused:UNUSED_PAD src0_sel:WORD_0 src1_sel:DWORD
	v_mul_u32_u24_sdwa v10, v10, s21 dst_sel:DWORD dst_unused:UNUSED_PAD src0_sel:WORD_1 src1_sel:DWORD
	v_mul_u32_u24_sdwa v25, v11, s21 dst_sel:DWORD dst_unused:UNUSED_PAD src0_sel:WORD_0 src1_sel:DWORD
	v_mul_u32_u24_sdwa v11, v11, s21 dst_sel:DWORD dst_unused:UNUSED_PAD src0_sel:WORD_1 src1_sel:DWORD
	v_pk_fma_f16 v20, v12, v22, v20
	v_pk_fma_f16 v18, v12, v8, v18
	;; [unrolled: 1-line block ×8, first 2 shown]
	ds_read_b128 v[8:11], v89 offset:368
	s_waitcnt lgkmcnt(0)
	v_mul_u32_u24_sdwa v21, v8, s21 dst_sel:DWORD dst_unused:UNUSED_PAD src0_sel:WORD_0 src1_sel:DWORD
	v_mul_u32_u24_sdwa v8, v8, s21 dst_sel:DWORD dst_unused:UNUSED_PAD src0_sel:WORD_1 src1_sel:DWORD
	v_mul_u32_u24_sdwa v22, v9, s21 dst_sel:DWORD dst_unused:UNUSED_PAD src0_sel:WORD_0 src1_sel:DWORD
	v_mul_u32_u24_sdwa v9, v9, s21 dst_sel:DWORD dst_unused:UNUSED_PAD src0_sel:WORD_1 src1_sel:DWORD
	;; [unrolled: 2-line block ×4, first 2 shown]
	v_pk_fma_f16 v20, v13, v21, v20
	v_pk_fma_f16 v18, v13, v8, v18
	;; [unrolled: 1-line block ×8, first 2 shown]
	ds_read2_b32 v[12:13], v96 offset1:32
	ds_read_b128 v[8:11], v89 offset:384
	s_waitcnt lgkmcnt(0)
	v_mul_u32_u24_sdwa v22, v8, s21 dst_sel:DWORD dst_unused:UNUSED_PAD src0_sel:WORD_0 src1_sel:DWORD
	v_mul_u32_u24_sdwa v8, v8, s21 dst_sel:DWORD dst_unused:UNUSED_PAD src0_sel:WORD_1 src1_sel:DWORD
	v_mul_u32_u24_sdwa v23, v9, s21 dst_sel:DWORD dst_unused:UNUSED_PAD src0_sel:WORD_0 src1_sel:DWORD
	v_mul_u32_u24_sdwa v9, v9, s21 dst_sel:DWORD dst_unused:UNUSED_PAD src0_sel:WORD_1 src1_sel:DWORD
	v_mul_u32_u24_sdwa v24, v10, s21 dst_sel:DWORD dst_unused:UNUSED_PAD src0_sel:WORD_0 src1_sel:DWORD
	v_mul_u32_u24_sdwa v10, v10, s21 dst_sel:DWORD dst_unused:UNUSED_PAD src0_sel:WORD_1 src1_sel:DWORD
	v_mul_u32_u24_sdwa v25, v11, s21 dst_sel:DWORD dst_unused:UNUSED_PAD src0_sel:WORD_0 src1_sel:DWORD
	v_mul_u32_u24_sdwa v11, v11, s21 dst_sel:DWORD dst_unused:UNUSED_PAD src0_sel:WORD_1 src1_sel:DWORD
	v_pk_fma_f16 v20, v12, v22, v20
	v_pk_fma_f16 v18, v12, v8, v18
	v_pk_fma_f16 v14, v12, v23, v14
	v_pk_fma_f16 v15, v12, v9, v15
	v_pk_fma_f16 v17, v12, v24, v17
	v_pk_fma_f16 v19, v12, v10, v19
	v_pk_fma_f16 v16, v12, v25, v16
	v_pk_fma_f16 v12, v12, v11, v21
	ds_read_b128 v[8:11], v89 offset:400
	s_waitcnt lgkmcnt(0)
	v_mul_u32_u24_sdwa v21, v8, s21 dst_sel:DWORD dst_unused:UNUSED_PAD src0_sel:WORD_0 src1_sel:DWORD
	v_mul_u32_u24_sdwa v8, v8, s21 dst_sel:DWORD dst_unused:UNUSED_PAD src0_sel:WORD_1 src1_sel:DWORD
	v_mul_u32_u24_sdwa v22, v9, s21 dst_sel:DWORD dst_unused:UNUSED_PAD src0_sel:WORD_0 src1_sel:DWORD
	v_mul_u32_u24_sdwa v9, v9, s21 dst_sel:DWORD dst_unused:UNUSED_PAD src0_sel:WORD_1 src1_sel:DWORD
	v_mul_u32_u24_sdwa v23, v10, s21 dst_sel:DWORD dst_unused:UNUSED_PAD src0_sel:WORD_0 src1_sel:DWORD
	v_mul_u32_u24_sdwa v10, v10, s21 dst_sel:DWORD dst_unused:UNUSED_PAD src0_sel:WORD_1 src1_sel:DWORD
	v_mul_u32_u24_sdwa v24, v11, s21 dst_sel:DWORD dst_unused:UNUSED_PAD src0_sel:WORD_0 src1_sel:DWORD
	v_mul_u32_u24_sdwa v11, v11, s21 dst_sel:DWORD dst_unused:UNUSED_PAD src0_sel:WORD_1 src1_sel:DWORD
	v_pk_fma_f16 v20, v13, v21, v20
	v_pk_fma_f16 v18, v13, v8, v18
	v_pk_fma_f16 v14, v13, v22, v14
	v_pk_fma_f16 v15, v13, v9, v15
	v_pk_fma_f16 v17, v13, v23, v17
	v_pk_fma_f16 v19, v13, v10, v19
	v_pk_fma_f16 v16, v13, v24, v16
	v_pk_fma_f16 v21, v13, v11, v12
	ds_read2_b32 v[12:13], v96 offset0:64 offset1:96
	ds_read_b128 v[8:11], v89 offset:416
	s_waitcnt lgkmcnt(0)
	v_mul_u32_u24_sdwa v22, v8, s21 dst_sel:DWORD dst_unused:UNUSED_PAD src0_sel:WORD_0 src1_sel:DWORD
	v_mul_u32_u24_sdwa v8, v8, s21 dst_sel:DWORD dst_unused:UNUSED_PAD src0_sel:WORD_1 src1_sel:DWORD
	v_mul_u32_u24_sdwa v23, v9, s21 dst_sel:DWORD dst_unused:UNUSED_PAD src0_sel:WORD_0 src1_sel:DWORD
	v_mul_u32_u24_sdwa v9, v9, s21 dst_sel:DWORD dst_unused:UNUSED_PAD src0_sel:WORD_1 src1_sel:DWORD
	v_mul_u32_u24_sdwa v24, v10, s21 dst_sel:DWORD dst_unused:UNUSED_PAD src0_sel:WORD_0 src1_sel:DWORD
	v_mul_u32_u24_sdwa v10, v10, s21 dst_sel:DWORD dst_unused:UNUSED_PAD src0_sel:WORD_1 src1_sel:DWORD
	v_mul_u32_u24_sdwa v25, v11, s21 dst_sel:DWORD dst_unused:UNUSED_PAD src0_sel:WORD_0 src1_sel:DWORD
	v_mul_u32_u24_sdwa v11, v11, s21 dst_sel:DWORD dst_unused:UNUSED_PAD src0_sel:WORD_1 src1_sel:DWORD
	v_pk_fma_f16 v20, v12, v22, v20
	v_pk_fma_f16 v18, v12, v8, v18
	v_pk_fma_f16 v14, v12, v23, v14
	v_pk_fma_f16 v15, v12, v9, v15
	v_pk_fma_f16 v17, v12, v24, v17
	v_pk_fma_f16 v19, v12, v10, v19
	v_pk_fma_f16 v16, v12, v25, v16
	v_pk_fma_f16 v12, v12, v11, v21
	ds_read_b128 v[8:11], v89 offset:432
	s_waitcnt lgkmcnt(0)
	v_mul_u32_u24_sdwa v21, v8, s21 dst_sel:DWORD dst_unused:UNUSED_PAD src0_sel:WORD_0 src1_sel:DWORD
	v_mul_u32_u24_sdwa v8, v8, s21 dst_sel:DWORD dst_unused:UNUSED_PAD src0_sel:WORD_1 src1_sel:DWORD
	v_mul_u32_u24_sdwa v22, v9, s21 dst_sel:DWORD dst_unused:UNUSED_PAD src0_sel:WORD_0 src1_sel:DWORD
	v_mul_u32_u24_sdwa v9, v9, s21 dst_sel:DWORD dst_unused:UNUSED_PAD src0_sel:WORD_1 src1_sel:DWORD
	v_mul_u32_u24_sdwa v23, v10, s21 dst_sel:DWORD dst_unused:UNUSED_PAD src0_sel:WORD_0 src1_sel:DWORD
	v_mul_u32_u24_sdwa v10, v10, s21 dst_sel:DWORD dst_unused:UNUSED_PAD src0_sel:WORD_1 src1_sel:DWORD
	v_mul_u32_u24_sdwa v24, v11, s21 dst_sel:DWORD dst_unused:UNUSED_PAD src0_sel:WORD_0 src1_sel:DWORD
	v_mul_u32_u24_sdwa v11, v11, s21 dst_sel:DWORD dst_unused:UNUSED_PAD src0_sel:WORD_1 src1_sel:DWORD
	v_pk_fma_f16 v20, v13, v21, v20
	v_pk_fma_f16 v18, v13, v8, v18
	v_pk_fma_f16 v14, v13, v22, v14
	v_pk_fma_f16 v15, v13, v9, v15
	v_pk_fma_f16 v17, v13, v23, v17
	v_pk_fma_f16 v19, v13, v10, v19
	v_pk_fma_f16 v16, v13, v24, v16
	v_pk_fma_f16 v21, v13, v11, v12
	ds_read2_b32 v[12:13], v96 offset0:128 offset1:160
	;; [unrolled: 37-line block ×3, first 2 shown]
	ds_read_b128 v[8:11], v89 offset:480
	s_waitcnt lgkmcnt(0)
	v_mul_u32_u24_sdwa v22, v8, s21 dst_sel:DWORD dst_unused:UNUSED_PAD src0_sel:WORD_0 src1_sel:DWORD
	v_mul_u32_u24_sdwa v8, v8, s21 dst_sel:DWORD dst_unused:UNUSED_PAD src0_sel:WORD_1 src1_sel:DWORD
	v_mul_u32_u24_sdwa v23, v9, s21 dst_sel:DWORD dst_unused:UNUSED_PAD src0_sel:WORD_0 src1_sel:DWORD
	v_mul_u32_u24_sdwa v9, v9, s21 dst_sel:DWORD dst_unused:UNUSED_PAD src0_sel:WORD_1 src1_sel:DWORD
	;; [unrolled: 2-line block ×4, first 2 shown]
	v_pk_fma_f16 v20, v12, v22, v20
	v_pk_fma_f16 v18, v12, v8, v18
	;; [unrolled: 1-line block ×8, first 2 shown]
	ds_read_b128 v[8:11], v89 offset:496
	s_waitcnt lgkmcnt(0)
	v_mul_u32_u24_sdwa v21, v8, s21 dst_sel:DWORD dst_unused:UNUSED_PAD src0_sel:WORD_0 src1_sel:DWORD
	v_mul_u32_u24_sdwa v8, v8, s21 dst_sel:DWORD dst_unused:UNUSED_PAD src0_sel:WORD_1 src1_sel:DWORD
	v_mul_u32_u24_sdwa v22, v9, s21 dst_sel:DWORD dst_unused:UNUSED_PAD src0_sel:WORD_0 src1_sel:DWORD
	v_mul_u32_u24_sdwa v9, v9, s21 dst_sel:DWORD dst_unused:UNUSED_PAD src0_sel:WORD_1 src1_sel:DWORD
	v_mul_u32_u24_sdwa v23, v10, s21 dst_sel:DWORD dst_unused:UNUSED_PAD src0_sel:WORD_0 src1_sel:DWORD
	v_mul_u32_u24_sdwa v10, v10, s21 dst_sel:DWORD dst_unused:UNUSED_PAD src0_sel:WORD_1 src1_sel:DWORD
	v_mul_u32_u24_sdwa v24, v11, s21 dst_sel:DWORD dst_unused:UNUSED_PAD src0_sel:WORD_0 src1_sel:DWORD
	v_mul_u32_u24_sdwa v11, v11, s21 dst_sel:DWORD dst_unused:UNUSED_PAD src0_sel:WORD_1 src1_sel:DWORD
	v_pk_fma_f16 v20, v13, v21, v20
	v_pk_fma_f16 v18, v13, v8, v18
	;; [unrolled: 1-line block ×8, first 2 shown]
	ds_read2_b32 v[12:13], v97 offset1:32
	ds_read_b128 v[8:11], v89 offset:512
	s_waitcnt lgkmcnt(0)
	v_mul_u32_u24_sdwa v22, v8, s21 dst_sel:DWORD dst_unused:UNUSED_PAD src0_sel:WORD_0 src1_sel:DWORD
	v_mul_u32_u24_sdwa v8, v8, s21 dst_sel:DWORD dst_unused:UNUSED_PAD src0_sel:WORD_1 src1_sel:DWORD
	v_mul_u32_u24_sdwa v23, v9, s21 dst_sel:DWORD dst_unused:UNUSED_PAD src0_sel:WORD_0 src1_sel:DWORD
	v_mul_u32_u24_sdwa v9, v9, s21 dst_sel:DWORD dst_unused:UNUSED_PAD src0_sel:WORD_1 src1_sel:DWORD
	v_mul_u32_u24_sdwa v24, v10, s21 dst_sel:DWORD dst_unused:UNUSED_PAD src0_sel:WORD_0 src1_sel:DWORD
	v_mul_u32_u24_sdwa v10, v10, s21 dst_sel:DWORD dst_unused:UNUSED_PAD src0_sel:WORD_1 src1_sel:DWORD
	v_mul_u32_u24_sdwa v25, v11, s21 dst_sel:DWORD dst_unused:UNUSED_PAD src0_sel:WORD_0 src1_sel:DWORD
	v_mul_u32_u24_sdwa v11, v11, s21 dst_sel:DWORD dst_unused:UNUSED_PAD src0_sel:WORD_1 src1_sel:DWORD
	v_pk_fma_f16 v20, v12, v22, v20
	v_pk_fma_f16 v18, v12, v8, v18
	v_pk_fma_f16 v14, v12, v23, v14
	v_pk_fma_f16 v15, v12, v9, v15
	v_pk_fma_f16 v17, v12, v24, v17
	v_pk_fma_f16 v19, v12, v10, v19
	v_pk_fma_f16 v16, v12, v25, v16
	v_pk_fma_f16 v12, v12, v11, v21
	ds_read_b128 v[8:11], v89 offset:528
	s_waitcnt lgkmcnt(0)
	v_mul_u32_u24_sdwa v21, v8, s21 dst_sel:DWORD dst_unused:UNUSED_PAD src0_sel:WORD_0 src1_sel:DWORD
	v_mul_u32_u24_sdwa v8, v8, s21 dst_sel:DWORD dst_unused:UNUSED_PAD src0_sel:WORD_1 src1_sel:DWORD
	v_mul_u32_u24_sdwa v22, v9, s21 dst_sel:DWORD dst_unused:UNUSED_PAD src0_sel:WORD_0 src1_sel:DWORD
	v_mul_u32_u24_sdwa v9, v9, s21 dst_sel:DWORD dst_unused:UNUSED_PAD src0_sel:WORD_1 src1_sel:DWORD
	v_mul_u32_u24_sdwa v23, v10, s21 dst_sel:DWORD dst_unused:UNUSED_PAD src0_sel:WORD_0 src1_sel:DWORD
	v_mul_u32_u24_sdwa v10, v10, s21 dst_sel:DWORD dst_unused:UNUSED_PAD src0_sel:WORD_1 src1_sel:DWORD
	v_mul_u32_u24_sdwa v24, v11, s21 dst_sel:DWORD dst_unused:UNUSED_PAD src0_sel:WORD_0 src1_sel:DWORD
	v_mul_u32_u24_sdwa v11, v11, s21 dst_sel:DWORD dst_unused:UNUSED_PAD src0_sel:WORD_1 src1_sel:DWORD
	v_pk_fma_f16 v20, v13, v21, v20
	v_pk_fma_f16 v18, v13, v8, v18
	v_pk_fma_f16 v14, v13, v22, v14
	v_pk_fma_f16 v15, v13, v9, v15
	v_pk_fma_f16 v17, v13, v23, v17
	v_pk_fma_f16 v19, v13, v10, v19
	v_pk_fma_f16 v16, v13, v24, v16
	v_pk_fma_f16 v21, v13, v11, v12
	ds_read2_b32 v[12:13], v97 offset0:64 offset1:96
	ds_read_b128 v[8:11], v89 offset:544
	s_waitcnt lgkmcnt(0)
	v_mul_u32_u24_sdwa v22, v8, s21 dst_sel:DWORD dst_unused:UNUSED_PAD src0_sel:WORD_0 src1_sel:DWORD
	v_mul_u32_u24_sdwa v8, v8, s21 dst_sel:DWORD dst_unused:UNUSED_PAD src0_sel:WORD_1 src1_sel:DWORD
	v_mul_u32_u24_sdwa v23, v9, s21 dst_sel:DWORD dst_unused:UNUSED_PAD src0_sel:WORD_0 src1_sel:DWORD
	v_mul_u32_u24_sdwa v9, v9, s21 dst_sel:DWORD dst_unused:UNUSED_PAD src0_sel:WORD_1 src1_sel:DWORD
	v_mul_u32_u24_sdwa v24, v10, s21 dst_sel:DWORD dst_unused:UNUSED_PAD src0_sel:WORD_0 src1_sel:DWORD
	v_mul_u32_u24_sdwa v10, v10, s21 dst_sel:DWORD dst_unused:UNUSED_PAD src0_sel:WORD_1 src1_sel:DWORD
	v_mul_u32_u24_sdwa v25, v11, s21 dst_sel:DWORD dst_unused:UNUSED_PAD src0_sel:WORD_0 src1_sel:DWORD
	v_mul_u32_u24_sdwa v11, v11, s21 dst_sel:DWORD dst_unused:UNUSED_PAD src0_sel:WORD_1 src1_sel:DWORD
	v_pk_fma_f16 v20, v12, v22, v20
	v_pk_fma_f16 v18, v12, v8, v18
	v_pk_fma_f16 v14, v12, v23, v14
	v_pk_fma_f16 v15, v12, v9, v15
	v_pk_fma_f16 v17, v12, v24, v17
	v_pk_fma_f16 v19, v12, v10, v19
	v_pk_fma_f16 v16, v12, v25, v16
	v_pk_fma_f16 v12, v12, v11, v21
	ds_read_b128 v[8:11], v89 offset:560
	s_waitcnt lgkmcnt(0)
	v_mul_u32_u24_sdwa v21, v8, s21 dst_sel:DWORD dst_unused:UNUSED_PAD src0_sel:WORD_0 src1_sel:DWORD
	v_mul_u32_u24_sdwa v8, v8, s21 dst_sel:DWORD dst_unused:UNUSED_PAD src0_sel:WORD_1 src1_sel:DWORD
	v_mul_u32_u24_sdwa v22, v9, s21 dst_sel:DWORD dst_unused:UNUSED_PAD src0_sel:WORD_0 src1_sel:DWORD
	v_mul_u32_u24_sdwa v9, v9, s21 dst_sel:DWORD dst_unused:UNUSED_PAD src0_sel:WORD_1 src1_sel:DWORD
	v_mul_u32_u24_sdwa v23, v10, s21 dst_sel:DWORD dst_unused:UNUSED_PAD src0_sel:WORD_0 src1_sel:DWORD
	v_mul_u32_u24_sdwa v10, v10, s21 dst_sel:DWORD dst_unused:UNUSED_PAD src0_sel:WORD_1 src1_sel:DWORD
	v_mul_u32_u24_sdwa v24, v11, s21 dst_sel:DWORD dst_unused:UNUSED_PAD src0_sel:WORD_0 src1_sel:DWORD
	v_mul_u32_u24_sdwa v11, v11, s21 dst_sel:DWORD dst_unused:UNUSED_PAD src0_sel:WORD_1 src1_sel:DWORD
	v_pk_fma_f16 v20, v13, v21, v20
	v_pk_fma_f16 v18, v13, v8, v18
	v_pk_fma_f16 v14, v13, v22, v14
	v_pk_fma_f16 v15, v13, v9, v15
	v_pk_fma_f16 v17, v13, v23, v17
	v_pk_fma_f16 v19, v13, v10, v19
	v_pk_fma_f16 v16, v13, v24, v16
	v_pk_fma_f16 v21, v13, v11, v12
	ds_read2_b32 v[12:13], v97 offset0:128 offset1:160
	;; [unrolled: 37-line block ×3, first 2 shown]
	ds_read_b128 v[8:11], v89 offset:608
	s_waitcnt lgkmcnt(0)
	v_mul_u32_u24_sdwa v22, v8, s21 dst_sel:DWORD dst_unused:UNUSED_PAD src0_sel:WORD_0 src1_sel:DWORD
	v_mul_u32_u24_sdwa v8, v8, s21 dst_sel:DWORD dst_unused:UNUSED_PAD src0_sel:WORD_1 src1_sel:DWORD
	v_mul_u32_u24_sdwa v23, v9, s21 dst_sel:DWORD dst_unused:UNUSED_PAD src0_sel:WORD_0 src1_sel:DWORD
	v_mul_u32_u24_sdwa v9, v9, s21 dst_sel:DWORD dst_unused:UNUSED_PAD src0_sel:WORD_1 src1_sel:DWORD
	;; [unrolled: 2-line block ×4, first 2 shown]
	v_pk_fma_f16 v20, v12, v22, v20
	v_pk_fma_f16 v18, v12, v8, v18
	;; [unrolled: 1-line block ×8, first 2 shown]
	ds_read_b128 v[8:11], v89 offset:624
	s_waitcnt lgkmcnt(0)
	v_mul_u32_u24_sdwa v21, v8, s21 dst_sel:DWORD dst_unused:UNUSED_PAD src0_sel:WORD_0 src1_sel:DWORD
	v_mul_u32_u24_sdwa v8, v8, s21 dst_sel:DWORD dst_unused:UNUSED_PAD src0_sel:WORD_1 src1_sel:DWORD
	v_mul_u32_u24_sdwa v22, v9, s21 dst_sel:DWORD dst_unused:UNUSED_PAD src0_sel:WORD_0 src1_sel:DWORD
	v_mul_u32_u24_sdwa v9, v9, s21 dst_sel:DWORD dst_unused:UNUSED_PAD src0_sel:WORD_1 src1_sel:DWORD
	;; [unrolled: 2-line block ×4, first 2 shown]
	v_pk_fma_f16 v20, v13, v21, v20
	v_pk_fma_f16 v18, v13, v8, v18
	;; [unrolled: 1-line block ×8, first 2 shown]
	ds_read2_b32 v[12:13], v98 offset1:32
	ds_read_b128 v[8:11], v89 offset:640
	s_waitcnt lgkmcnt(0)
	v_mul_u32_u24_sdwa v22, v8, s21 dst_sel:DWORD dst_unused:UNUSED_PAD src0_sel:WORD_0 src1_sel:DWORD
	v_mul_u32_u24_sdwa v8, v8, s21 dst_sel:DWORD dst_unused:UNUSED_PAD src0_sel:WORD_1 src1_sel:DWORD
	v_mul_u32_u24_sdwa v23, v9, s21 dst_sel:DWORD dst_unused:UNUSED_PAD src0_sel:WORD_0 src1_sel:DWORD
	v_mul_u32_u24_sdwa v9, v9, s21 dst_sel:DWORD dst_unused:UNUSED_PAD src0_sel:WORD_1 src1_sel:DWORD
	v_mul_u32_u24_sdwa v24, v10, s21 dst_sel:DWORD dst_unused:UNUSED_PAD src0_sel:WORD_0 src1_sel:DWORD
	v_mul_u32_u24_sdwa v10, v10, s21 dst_sel:DWORD dst_unused:UNUSED_PAD src0_sel:WORD_1 src1_sel:DWORD
	v_mul_u32_u24_sdwa v25, v11, s21 dst_sel:DWORD dst_unused:UNUSED_PAD src0_sel:WORD_0 src1_sel:DWORD
	v_mul_u32_u24_sdwa v11, v11, s21 dst_sel:DWORD dst_unused:UNUSED_PAD src0_sel:WORD_1 src1_sel:DWORD
	v_pk_fma_f16 v20, v12, v22, v20
	v_pk_fma_f16 v18, v12, v8, v18
	v_pk_fma_f16 v14, v12, v23, v14
	v_pk_fma_f16 v15, v12, v9, v15
	v_pk_fma_f16 v17, v12, v24, v17
	v_pk_fma_f16 v19, v12, v10, v19
	v_pk_fma_f16 v16, v12, v25, v16
	v_pk_fma_f16 v12, v12, v11, v21
	ds_read_b128 v[8:11], v89 offset:656
	s_waitcnt lgkmcnt(0)
	v_mul_u32_u24_sdwa v21, v8, s21 dst_sel:DWORD dst_unused:UNUSED_PAD src0_sel:WORD_0 src1_sel:DWORD
	v_mul_u32_u24_sdwa v8, v8, s21 dst_sel:DWORD dst_unused:UNUSED_PAD src0_sel:WORD_1 src1_sel:DWORD
	v_mul_u32_u24_sdwa v22, v9, s21 dst_sel:DWORD dst_unused:UNUSED_PAD src0_sel:WORD_0 src1_sel:DWORD
	v_mul_u32_u24_sdwa v9, v9, s21 dst_sel:DWORD dst_unused:UNUSED_PAD src0_sel:WORD_1 src1_sel:DWORD
	v_mul_u32_u24_sdwa v23, v10, s21 dst_sel:DWORD dst_unused:UNUSED_PAD src0_sel:WORD_0 src1_sel:DWORD
	v_mul_u32_u24_sdwa v10, v10, s21 dst_sel:DWORD dst_unused:UNUSED_PAD src0_sel:WORD_1 src1_sel:DWORD
	v_mul_u32_u24_sdwa v24, v11, s21 dst_sel:DWORD dst_unused:UNUSED_PAD src0_sel:WORD_0 src1_sel:DWORD
	v_mul_u32_u24_sdwa v11, v11, s21 dst_sel:DWORD dst_unused:UNUSED_PAD src0_sel:WORD_1 src1_sel:DWORD
	v_pk_fma_f16 v20, v13, v21, v20
	v_pk_fma_f16 v18, v13, v8, v18
	v_pk_fma_f16 v14, v13, v22, v14
	v_pk_fma_f16 v15, v13, v9, v15
	v_pk_fma_f16 v17, v13, v23, v17
	v_pk_fma_f16 v19, v13, v10, v19
	v_pk_fma_f16 v16, v13, v24, v16
	v_pk_fma_f16 v21, v13, v11, v12
	ds_read2_b32 v[12:13], v98 offset0:64 offset1:96
	ds_read_b128 v[8:11], v89 offset:672
	s_waitcnt lgkmcnt(0)
	v_mul_u32_u24_sdwa v22, v8, s21 dst_sel:DWORD dst_unused:UNUSED_PAD src0_sel:WORD_0 src1_sel:DWORD
	v_mul_u32_u24_sdwa v8, v8, s21 dst_sel:DWORD dst_unused:UNUSED_PAD src0_sel:WORD_1 src1_sel:DWORD
	v_mul_u32_u24_sdwa v23, v9, s21 dst_sel:DWORD dst_unused:UNUSED_PAD src0_sel:WORD_0 src1_sel:DWORD
	v_mul_u32_u24_sdwa v9, v9, s21 dst_sel:DWORD dst_unused:UNUSED_PAD src0_sel:WORD_1 src1_sel:DWORD
	v_mul_u32_u24_sdwa v24, v10, s21 dst_sel:DWORD dst_unused:UNUSED_PAD src0_sel:WORD_0 src1_sel:DWORD
	v_mul_u32_u24_sdwa v10, v10, s21 dst_sel:DWORD dst_unused:UNUSED_PAD src0_sel:WORD_1 src1_sel:DWORD
	v_mul_u32_u24_sdwa v25, v11, s21 dst_sel:DWORD dst_unused:UNUSED_PAD src0_sel:WORD_0 src1_sel:DWORD
	v_mul_u32_u24_sdwa v11, v11, s21 dst_sel:DWORD dst_unused:UNUSED_PAD src0_sel:WORD_1 src1_sel:DWORD
	v_pk_fma_f16 v20, v12, v22, v20
	v_pk_fma_f16 v18, v12, v8, v18
	v_pk_fma_f16 v14, v12, v23, v14
	v_pk_fma_f16 v15, v12, v9, v15
	v_pk_fma_f16 v17, v12, v24, v17
	v_pk_fma_f16 v19, v12, v10, v19
	v_pk_fma_f16 v16, v12, v25, v16
	v_pk_fma_f16 v12, v12, v11, v21
	ds_read_b128 v[8:11], v89 offset:688
	s_waitcnt lgkmcnt(0)
	v_mul_u32_u24_sdwa v21, v8, s21 dst_sel:DWORD dst_unused:UNUSED_PAD src0_sel:WORD_0 src1_sel:DWORD
	v_mul_u32_u24_sdwa v8, v8, s21 dst_sel:DWORD dst_unused:UNUSED_PAD src0_sel:WORD_1 src1_sel:DWORD
	v_mul_u32_u24_sdwa v22, v9, s21 dst_sel:DWORD dst_unused:UNUSED_PAD src0_sel:WORD_0 src1_sel:DWORD
	v_mul_u32_u24_sdwa v9, v9, s21 dst_sel:DWORD dst_unused:UNUSED_PAD src0_sel:WORD_1 src1_sel:DWORD
	v_mul_u32_u24_sdwa v23, v10, s21 dst_sel:DWORD dst_unused:UNUSED_PAD src0_sel:WORD_0 src1_sel:DWORD
	v_mul_u32_u24_sdwa v10, v10, s21 dst_sel:DWORD dst_unused:UNUSED_PAD src0_sel:WORD_1 src1_sel:DWORD
	v_mul_u32_u24_sdwa v24, v11, s21 dst_sel:DWORD dst_unused:UNUSED_PAD src0_sel:WORD_0 src1_sel:DWORD
	v_mul_u32_u24_sdwa v11, v11, s21 dst_sel:DWORD dst_unused:UNUSED_PAD src0_sel:WORD_1 src1_sel:DWORD
	v_pk_fma_f16 v20, v13, v21, v20
	v_pk_fma_f16 v18, v13, v8, v18
	v_pk_fma_f16 v14, v13, v22, v14
	v_pk_fma_f16 v15, v13, v9, v15
	v_pk_fma_f16 v17, v13, v23, v17
	v_pk_fma_f16 v19, v13, v10, v19
	v_pk_fma_f16 v16, v13, v24, v16
	v_pk_fma_f16 v21, v13, v11, v12
	ds_read2_b32 v[12:13], v98 offset0:128 offset1:160
	;; [unrolled: 37-line block ×3, first 2 shown]
	ds_read_b128 v[8:11], v89 offset:736
	s_waitcnt lgkmcnt(0)
	v_mul_u32_u24_sdwa v22, v8, s21 dst_sel:DWORD dst_unused:UNUSED_PAD src0_sel:WORD_0 src1_sel:DWORD
	v_mul_u32_u24_sdwa v8, v8, s21 dst_sel:DWORD dst_unused:UNUSED_PAD src0_sel:WORD_1 src1_sel:DWORD
	v_mul_u32_u24_sdwa v23, v9, s21 dst_sel:DWORD dst_unused:UNUSED_PAD src0_sel:WORD_0 src1_sel:DWORD
	v_mul_u32_u24_sdwa v9, v9, s21 dst_sel:DWORD dst_unused:UNUSED_PAD src0_sel:WORD_1 src1_sel:DWORD
	;; [unrolled: 2-line block ×4, first 2 shown]
	v_pk_fma_f16 v20, v12, v22, v20
	v_pk_fma_f16 v18, v12, v8, v18
	;; [unrolled: 1-line block ×8, first 2 shown]
	ds_read_b128 v[8:11], v89 offset:752
	s_waitcnt lgkmcnt(0)
	v_mul_u32_u24_sdwa v21, v8, s21 dst_sel:DWORD dst_unused:UNUSED_PAD src0_sel:WORD_0 src1_sel:DWORD
	v_mul_u32_u24_sdwa v8, v8, s21 dst_sel:DWORD dst_unused:UNUSED_PAD src0_sel:WORD_1 src1_sel:DWORD
	v_mul_u32_u24_sdwa v22, v9, s21 dst_sel:DWORD dst_unused:UNUSED_PAD src0_sel:WORD_0 src1_sel:DWORD
	v_mul_u32_u24_sdwa v9, v9, s21 dst_sel:DWORD dst_unused:UNUSED_PAD src0_sel:WORD_1 src1_sel:DWORD
	;; [unrolled: 2-line block ×4, first 2 shown]
	v_pk_fma_f16 v20, v13, v21, v20
	v_pk_fma_f16 v18, v13, v8, v18
	;; [unrolled: 1-line block ×8, first 2 shown]
	ds_read2_b32 v[12:13], v99 offset1:32
	ds_read_b128 v[8:11], v89 offset:768
	s_waitcnt lgkmcnt(0)
	v_mul_u32_u24_sdwa v22, v8, s21 dst_sel:DWORD dst_unused:UNUSED_PAD src0_sel:WORD_0 src1_sel:DWORD
	v_mul_u32_u24_sdwa v8, v8, s21 dst_sel:DWORD dst_unused:UNUSED_PAD src0_sel:WORD_1 src1_sel:DWORD
	v_mul_u32_u24_sdwa v23, v9, s21 dst_sel:DWORD dst_unused:UNUSED_PAD src0_sel:WORD_0 src1_sel:DWORD
	v_mul_u32_u24_sdwa v9, v9, s21 dst_sel:DWORD dst_unused:UNUSED_PAD src0_sel:WORD_1 src1_sel:DWORD
	v_mul_u32_u24_sdwa v24, v10, s21 dst_sel:DWORD dst_unused:UNUSED_PAD src0_sel:WORD_0 src1_sel:DWORD
	v_mul_u32_u24_sdwa v10, v10, s21 dst_sel:DWORD dst_unused:UNUSED_PAD src0_sel:WORD_1 src1_sel:DWORD
	v_mul_u32_u24_sdwa v25, v11, s21 dst_sel:DWORD dst_unused:UNUSED_PAD src0_sel:WORD_0 src1_sel:DWORD
	v_mul_u32_u24_sdwa v11, v11, s21 dst_sel:DWORD dst_unused:UNUSED_PAD src0_sel:WORD_1 src1_sel:DWORD
	v_pk_fma_f16 v20, v12, v22, v20
	v_pk_fma_f16 v18, v12, v8, v18
	v_pk_fma_f16 v14, v12, v23, v14
	v_pk_fma_f16 v15, v12, v9, v15
	v_pk_fma_f16 v17, v12, v24, v17
	v_pk_fma_f16 v19, v12, v10, v19
	v_pk_fma_f16 v16, v12, v25, v16
	v_pk_fma_f16 v12, v12, v11, v21
	ds_read_b128 v[8:11], v89 offset:784
	s_waitcnt lgkmcnt(0)
	v_mul_u32_u24_sdwa v21, v8, s21 dst_sel:DWORD dst_unused:UNUSED_PAD src0_sel:WORD_0 src1_sel:DWORD
	v_mul_u32_u24_sdwa v8, v8, s21 dst_sel:DWORD dst_unused:UNUSED_PAD src0_sel:WORD_1 src1_sel:DWORD
	v_mul_u32_u24_sdwa v22, v9, s21 dst_sel:DWORD dst_unused:UNUSED_PAD src0_sel:WORD_0 src1_sel:DWORD
	v_mul_u32_u24_sdwa v9, v9, s21 dst_sel:DWORD dst_unused:UNUSED_PAD src0_sel:WORD_1 src1_sel:DWORD
	v_mul_u32_u24_sdwa v23, v10, s21 dst_sel:DWORD dst_unused:UNUSED_PAD src0_sel:WORD_0 src1_sel:DWORD
	v_mul_u32_u24_sdwa v10, v10, s21 dst_sel:DWORD dst_unused:UNUSED_PAD src0_sel:WORD_1 src1_sel:DWORD
	v_mul_u32_u24_sdwa v24, v11, s21 dst_sel:DWORD dst_unused:UNUSED_PAD src0_sel:WORD_0 src1_sel:DWORD
	v_mul_u32_u24_sdwa v11, v11, s21 dst_sel:DWORD dst_unused:UNUSED_PAD src0_sel:WORD_1 src1_sel:DWORD
	v_pk_fma_f16 v20, v13, v21, v20
	v_pk_fma_f16 v18, v13, v8, v18
	v_pk_fma_f16 v14, v13, v22, v14
	v_pk_fma_f16 v15, v13, v9, v15
	v_pk_fma_f16 v17, v13, v23, v17
	v_pk_fma_f16 v19, v13, v10, v19
	v_pk_fma_f16 v16, v13, v24, v16
	v_pk_fma_f16 v21, v13, v11, v12
	ds_read2_b32 v[12:13], v99 offset0:64 offset1:96
	ds_read_b128 v[8:11], v89 offset:800
	s_waitcnt lgkmcnt(0)
	v_mul_u32_u24_sdwa v22, v8, s21 dst_sel:DWORD dst_unused:UNUSED_PAD src0_sel:WORD_0 src1_sel:DWORD
	v_mul_u32_u24_sdwa v8, v8, s21 dst_sel:DWORD dst_unused:UNUSED_PAD src0_sel:WORD_1 src1_sel:DWORD
	v_mul_u32_u24_sdwa v23, v9, s21 dst_sel:DWORD dst_unused:UNUSED_PAD src0_sel:WORD_0 src1_sel:DWORD
	v_mul_u32_u24_sdwa v9, v9, s21 dst_sel:DWORD dst_unused:UNUSED_PAD src0_sel:WORD_1 src1_sel:DWORD
	v_mul_u32_u24_sdwa v24, v10, s21 dst_sel:DWORD dst_unused:UNUSED_PAD src0_sel:WORD_0 src1_sel:DWORD
	v_mul_u32_u24_sdwa v10, v10, s21 dst_sel:DWORD dst_unused:UNUSED_PAD src0_sel:WORD_1 src1_sel:DWORD
	v_mul_u32_u24_sdwa v25, v11, s21 dst_sel:DWORD dst_unused:UNUSED_PAD src0_sel:WORD_0 src1_sel:DWORD
	v_mul_u32_u24_sdwa v11, v11, s21 dst_sel:DWORD dst_unused:UNUSED_PAD src0_sel:WORD_1 src1_sel:DWORD
	v_pk_fma_f16 v20, v12, v22, v20
	v_pk_fma_f16 v18, v12, v8, v18
	v_pk_fma_f16 v14, v12, v23, v14
	v_pk_fma_f16 v15, v12, v9, v15
	v_pk_fma_f16 v17, v12, v24, v17
	v_pk_fma_f16 v19, v12, v10, v19
	v_pk_fma_f16 v16, v12, v25, v16
	v_pk_fma_f16 v12, v12, v11, v21
	ds_read_b128 v[8:11], v89 offset:816
	s_waitcnt lgkmcnt(0)
	v_mul_u32_u24_sdwa v21, v8, s21 dst_sel:DWORD dst_unused:UNUSED_PAD src0_sel:WORD_0 src1_sel:DWORD
	v_mul_u32_u24_sdwa v8, v8, s21 dst_sel:DWORD dst_unused:UNUSED_PAD src0_sel:WORD_1 src1_sel:DWORD
	v_mul_u32_u24_sdwa v22, v9, s21 dst_sel:DWORD dst_unused:UNUSED_PAD src0_sel:WORD_0 src1_sel:DWORD
	v_mul_u32_u24_sdwa v9, v9, s21 dst_sel:DWORD dst_unused:UNUSED_PAD src0_sel:WORD_1 src1_sel:DWORD
	v_mul_u32_u24_sdwa v23, v10, s21 dst_sel:DWORD dst_unused:UNUSED_PAD src0_sel:WORD_0 src1_sel:DWORD
	v_mul_u32_u24_sdwa v10, v10, s21 dst_sel:DWORD dst_unused:UNUSED_PAD src0_sel:WORD_1 src1_sel:DWORD
	v_mul_u32_u24_sdwa v24, v11, s21 dst_sel:DWORD dst_unused:UNUSED_PAD src0_sel:WORD_0 src1_sel:DWORD
	v_mul_u32_u24_sdwa v11, v11, s21 dst_sel:DWORD dst_unused:UNUSED_PAD src0_sel:WORD_1 src1_sel:DWORD
	v_pk_fma_f16 v20, v13, v21, v20
	v_pk_fma_f16 v18, v13, v8, v18
	v_pk_fma_f16 v14, v13, v22, v14
	v_pk_fma_f16 v15, v13, v9, v15
	v_pk_fma_f16 v17, v13, v23, v17
	v_pk_fma_f16 v19, v13, v10, v19
	v_pk_fma_f16 v16, v13, v24, v16
	v_pk_fma_f16 v21, v13, v11, v12
	ds_read2_b32 v[12:13], v99 offset0:128 offset1:160
	;; [unrolled: 37-line block ×3, first 2 shown]
	ds_read_b128 v[8:11], v89 offset:864
	s_waitcnt lgkmcnt(0)
	v_mul_u32_u24_sdwa v22, v8, s21 dst_sel:DWORD dst_unused:UNUSED_PAD src0_sel:WORD_0 src1_sel:DWORD
	v_mul_u32_u24_sdwa v8, v8, s21 dst_sel:DWORD dst_unused:UNUSED_PAD src0_sel:WORD_1 src1_sel:DWORD
	v_mul_u32_u24_sdwa v23, v9, s21 dst_sel:DWORD dst_unused:UNUSED_PAD src0_sel:WORD_0 src1_sel:DWORD
	v_mul_u32_u24_sdwa v9, v9, s21 dst_sel:DWORD dst_unused:UNUSED_PAD src0_sel:WORD_1 src1_sel:DWORD
	;; [unrolled: 2-line block ×4, first 2 shown]
	v_pk_fma_f16 v20, v12, v22, v20
	v_pk_fma_f16 v18, v12, v8, v18
	;; [unrolled: 1-line block ×8, first 2 shown]
	ds_read_b128 v[8:11], v89 offset:880
	s_waitcnt lgkmcnt(0)
	v_mul_u32_u24_sdwa v21, v8, s21 dst_sel:DWORD dst_unused:UNUSED_PAD src0_sel:WORD_0 src1_sel:DWORD
	v_mul_u32_u24_sdwa v8, v8, s21 dst_sel:DWORD dst_unused:UNUSED_PAD src0_sel:WORD_1 src1_sel:DWORD
	v_mul_u32_u24_sdwa v22, v9, s21 dst_sel:DWORD dst_unused:UNUSED_PAD src0_sel:WORD_0 src1_sel:DWORD
	v_mul_u32_u24_sdwa v9, v9, s21 dst_sel:DWORD dst_unused:UNUSED_PAD src0_sel:WORD_1 src1_sel:DWORD
	;; [unrolled: 2-line block ×4, first 2 shown]
	v_pk_fma_f16 v20, v13, v21, v20
	v_pk_fma_f16 v18, v13, v8, v18
	;; [unrolled: 1-line block ×8, first 2 shown]
	ds_read2_b32 v[12:13], v100 offset1:32
	ds_read_b128 v[8:11], v89 offset:896
	s_waitcnt lgkmcnt(0)
	v_mul_u32_u24_sdwa v22, v8, s21 dst_sel:DWORD dst_unused:UNUSED_PAD src0_sel:WORD_0 src1_sel:DWORD
	v_mul_u32_u24_sdwa v8, v8, s21 dst_sel:DWORD dst_unused:UNUSED_PAD src0_sel:WORD_1 src1_sel:DWORD
	v_mul_u32_u24_sdwa v23, v9, s21 dst_sel:DWORD dst_unused:UNUSED_PAD src0_sel:WORD_0 src1_sel:DWORD
	v_mul_u32_u24_sdwa v9, v9, s21 dst_sel:DWORD dst_unused:UNUSED_PAD src0_sel:WORD_1 src1_sel:DWORD
	v_mul_u32_u24_sdwa v24, v10, s21 dst_sel:DWORD dst_unused:UNUSED_PAD src0_sel:WORD_0 src1_sel:DWORD
	v_mul_u32_u24_sdwa v10, v10, s21 dst_sel:DWORD dst_unused:UNUSED_PAD src0_sel:WORD_1 src1_sel:DWORD
	v_mul_u32_u24_sdwa v25, v11, s21 dst_sel:DWORD dst_unused:UNUSED_PAD src0_sel:WORD_0 src1_sel:DWORD
	v_mul_u32_u24_sdwa v11, v11, s21 dst_sel:DWORD dst_unused:UNUSED_PAD src0_sel:WORD_1 src1_sel:DWORD
	v_pk_fma_f16 v20, v12, v22, v20
	v_pk_fma_f16 v18, v12, v8, v18
	v_pk_fma_f16 v14, v12, v23, v14
	v_pk_fma_f16 v15, v12, v9, v15
	v_pk_fma_f16 v17, v12, v24, v17
	v_pk_fma_f16 v19, v12, v10, v19
	v_pk_fma_f16 v16, v12, v25, v16
	v_pk_fma_f16 v12, v12, v11, v21
	ds_read_b128 v[8:11], v89 offset:912
	s_waitcnt lgkmcnt(0)
	v_mul_u32_u24_sdwa v21, v8, s21 dst_sel:DWORD dst_unused:UNUSED_PAD src0_sel:WORD_0 src1_sel:DWORD
	v_mul_u32_u24_sdwa v8, v8, s21 dst_sel:DWORD dst_unused:UNUSED_PAD src0_sel:WORD_1 src1_sel:DWORD
	v_mul_u32_u24_sdwa v22, v9, s21 dst_sel:DWORD dst_unused:UNUSED_PAD src0_sel:WORD_0 src1_sel:DWORD
	v_mul_u32_u24_sdwa v9, v9, s21 dst_sel:DWORD dst_unused:UNUSED_PAD src0_sel:WORD_1 src1_sel:DWORD
	v_mul_u32_u24_sdwa v23, v10, s21 dst_sel:DWORD dst_unused:UNUSED_PAD src0_sel:WORD_0 src1_sel:DWORD
	v_mul_u32_u24_sdwa v10, v10, s21 dst_sel:DWORD dst_unused:UNUSED_PAD src0_sel:WORD_1 src1_sel:DWORD
	v_mul_u32_u24_sdwa v24, v11, s21 dst_sel:DWORD dst_unused:UNUSED_PAD src0_sel:WORD_0 src1_sel:DWORD
	v_mul_u32_u24_sdwa v11, v11, s21 dst_sel:DWORD dst_unused:UNUSED_PAD src0_sel:WORD_1 src1_sel:DWORD
	v_pk_fma_f16 v20, v13, v21, v20
	v_pk_fma_f16 v18, v13, v8, v18
	v_pk_fma_f16 v14, v13, v22, v14
	v_pk_fma_f16 v15, v13, v9, v15
	v_pk_fma_f16 v17, v13, v23, v17
	v_pk_fma_f16 v19, v13, v10, v19
	v_pk_fma_f16 v16, v13, v24, v16
	v_pk_fma_f16 v21, v13, v11, v12
	ds_read2_b32 v[12:13], v100 offset0:64 offset1:96
	ds_read_b128 v[8:11], v89 offset:928
	s_waitcnt lgkmcnt(0)
	v_mul_u32_u24_sdwa v22, v8, s21 dst_sel:DWORD dst_unused:UNUSED_PAD src0_sel:WORD_0 src1_sel:DWORD
	v_mul_u32_u24_sdwa v8, v8, s21 dst_sel:DWORD dst_unused:UNUSED_PAD src0_sel:WORD_1 src1_sel:DWORD
	v_mul_u32_u24_sdwa v23, v9, s21 dst_sel:DWORD dst_unused:UNUSED_PAD src0_sel:WORD_0 src1_sel:DWORD
	v_mul_u32_u24_sdwa v9, v9, s21 dst_sel:DWORD dst_unused:UNUSED_PAD src0_sel:WORD_1 src1_sel:DWORD
	v_mul_u32_u24_sdwa v24, v10, s21 dst_sel:DWORD dst_unused:UNUSED_PAD src0_sel:WORD_0 src1_sel:DWORD
	v_mul_u32_u24_sdwa v10, v10, s21 dst_sel:DWORD dst_unused:UNUSED_PAD src0_sel:WORD_1 src1_sel:DWORD
	v_mul_u32_u24_sdwa v25, v11, s21 dst_sel:DWORD dst_unused:UNUSED_PAD src0_sel:WORD_0 src1_sel:DWORD
	v_mul_u32_u24_sdwa v11, v11, s21 dst_sel:DWORD dst_unused:UNUSED_PAD src0_sel:WORD_1 src1_sel:DWORD
	v_pk_fma_f16 v20, v12, v22, v20
	v_pk_fma_f16 v18, v12, v8, v18
	v_pk_fma_f16 v14, v12, v23, v14
	v_pk_fma_f16 v15, v12, v9, v15
	v_pk_fma_f16 v17, v12, v24, v17
	v_pk_fma_f16 v19, v12, v10, v19
	v_pk_fma_f16 v16, v12, v25, v16
	v_pk_fma_f16 v12, v12, v11, v21
	ds_read_b128 v[8:11], v89 offset:944
	s_waitcnt lgkmcnt(0)
	v_mul_u32_u24_sdwa v21, v8, s21 dst_sel:DWORD dst_unused:UNUSED_PAD src0_sel:WORD_0 src1_sel:DWORD
	v_mul_u32_u24_sdwa v8, v8, s21 dst_sel:DWORD dst_unused:UNUSED_PAD src0_sel:WORD_1 src1_sel:DWORD
	v_mul_u32_u24_sdwa v22, v9, s21 dst_sel:DWORD dst_unused:UNUSED_PAD src0_sel:WORD_0 src1_sel:DWORD
	v_mul_u32_u24_sdwa v9, v9, s21 dst_sel:DWORD dst_unused:UNUSED_PAD src0_sel:WORD_1 src1_sel:DWORD
	v_mul_u32_u24_sdwa v23, v10, s21 dst_sel:DWORD dst_unused:UNUSED_PAD src0_sel:WORD_0 src1_sel:DWORD
	v_mul_u32_u24_sdwa v10, v10, s21 dst_sel:DWORD dst_unused:UNUSED_PAD src0_sel:WORD_1 src1_sel:DWORD
	v_mul_u32_u24_sdwa v24, v11, s21 dst_sel:DWORD dst_unused:UNUSED_PAD src0_sel:WORD_0 src1_sel:DWORD
	v_mul_u32_u24_sdwa v11, v11, s21 dst_sel:DWORD dst_unused:UNUSED_PAD src0_sel:WORD_1 src1_sel:DWORD
	v_pk_fma_f16 v20, v13, v21, v20
	v_pk_fma_f16 v18, v13, v8, v18
	v_pk_fma_f16 v14, v13, v22, v14
	v_pk_fma_f16 v15, v13, v9, v15
	v_pk_fma_f16 v17, v13, v23, v17
	v_pk_fma_f16 v19, v13, v10, v19
	v_pk_fma_f16 v16, v13, v24, v16
	v_pk_fma_f16 v21, v13, v11, v12
	ds_read2_b32 v[12:13], v100 offset0:128 offset1:160
	;; [unrolled: 37-line block ×3, first 2 shown]
	ds_read_b128 v[8:11], v89 offset:992
	s_waitcnt lgkmcnt(0)
	v_mul_u32_u24_sdwa v14, v8, s21 dst_sel:DWORD dst_unused:UNUSED_PAD src0_sel:WORD_0 src1_sel:DWORD
	v_mul_u32_u24_sdwa v8, v8, s21 dst_sel:DWORD dst_unused:UNUSED_PAD src0_sel:WORD_1 src1_sel:DWORD
	v_mul_u32_u24_sdwa v16, v9, s21 dst_sel:DWORD dst_unused:UNUSED_PAD src0_sel:WORD_0 src1_sel:DWORD
	v_mul_u32_u24_sdwa v9, v9, s21 dst_sel:DWORD dst_unused:UNUSED_PAD src0_sel:WORD_1 src1_sel:DWORD
	;; [unrolled: 2-line block ×4, first 2 shown]
	v_pk_fma_f16 v14, v12, v14, v20
	v_pk_fma_f16 v15, v12, v8, v18
	v_pk_fma_f16 v16, v12, v16, v21
	v_pk_fma_f16 v17, v12, v9, v22
	v_pk_fma_f16 v18, v12, v26, v23
	v_pk_fma_f16 v19, v12, v10, v19
	v_pk_fma_f16 v20, v12, v27, v24
	v_pk_fma_f16 v12, v12, v11, v25
	ds_read_b128 v[8:11], v89 offset:1008
	s_waitcnt lgkmcnt(0)
	s_barrier
	s_load_dword s24, s[4:5], 0x4
	v_mul_u32_u24_sdwa v21, v8, s21 dst_sel:DWORD dst_unused:UNUSED_PAD src0_sel:WORD_0 src1_sel:DWORD
	v_mul_u32_u24_sdwa v8, v8, s21 dst_sel:DWORD dst_unused:UNUSED_PAD src0_sel:WORD_1 src1_sel:DWORD
	v_mul_u32_u24_sdwa v22, v9, s21 dst_sel:DWORD dst_unused:UNUSED_PAD src0_sel:WORD_0 src1_sel:DWORD
	v_mul_u32_u24_sdwa v9, v9, s21 dst_sel:DWORD dst_unused:UNUSED_PAD src0_sel:WORD_1 src1_sel:DWORD
	s_waitcnt lgkmcnt(0)
	s_lshl_b32 s24, s24, 6
	v_mul_u32_u24_sdwa v23, v10, s21 dst_sel:DWORD dst_unused:UNUSED_PAD src0_sel:WORD_0 src1_sel:DWORD
	v_mul_u32_u24_sdwa v10, v10, s21 dst_sel:DWORD dst_unused:UNUSED_PAD src0_sel:WORD_1 src1_sel:DWORD
	v_mul_u32_u24_sdwa v24, v11, s21 dst_sel:DWORD dst_unused:UNUSED_PAD src0_sel:WORD_0 src1_sel:DWORD
	v_mul_u32_u24_sdwa v11, v11, s21 dst_sel:DWORD dst_unused:UNUSED_PAD src0_sel:WORD_1 src1_sel:DWORD
	s_add_i32 s2, s24, s2
	v_pk_fma_f16 v108, v13, v21, v14
	v_pk_fma_f16 v107, v13, v8, v15
	;; [unrolled: 1-line block ×8, first 2 shown]
	s_cmp_ge_i32 s2, s30
	s_cbranch_scc0 .LBB33_9
.LBB33_10:
	v_cmp_lt_i32_e32 vcc, v78, v74
	s_cmp_lg_u64 s[12:13], 0
	s_cselect_b64 s[4:5], -1, 0
	v_cndmask_b32_e32 v8, v73, v78, vcc
	v_lshlrev_b32_e32 v17, 2, v8
	ds_bpermute_b32 v12, v17, v44
	ds_bpermute_b32 v13, v17, v45
	v_cmp_lt_i32_e32 vcc, v79, v74
	ds_bpermute_b32 v8, v17, v46
	ds_bpermute_b32 v9, v17, v47
	v_cndmask_b32_e32 v10, v73, v79, vcc
	v_cmp_lt_i32_e32 vcc, v77, v74
	v_lshlrev_b32_e32 v23, 2, v10
	s_waitcnt lgkmcnt(2)
	v_pk_add_f32 v[12:13], v[44:45], v[12:13]
	v_cndmask_b32_e32 v10, v73, v77, vcc
	v_cmp_lt_i32_e32 vcc, v76, v74
	ds_bpermute_b32 v15, v23, v13
	v_lshlrev_b32_e32 v24, 2, v10
	v_cndmask_b32_e32 v14, v73, v76, vcc
	v_lshlrev_b32_e32 v25, 2, v14
	ds_bpermute_b32 v14, v23, v12
	ds_bpermute_b32 v18, v17, v40
	;; [unrolled: 1-line block ×3, first 2 shown]
	s_waitcnt lgkmcnt(4)
	v_pk_add_f32 v[8:9], v[46:47], v[8:9]
	v_cmp_lt_i32_e32 vcc, v75, v74
	s_waitcnt lgkmcnt(2)
	v_pk_add_f32 v[12:13], v[12:13], v[14:15]
	ds_bpermute_b32 v14, v24, v12
	ds_bpermute_b32 v15, v24, v13
	s_waitcnt lgkmcnt(2)
	v_pk_add_f32 v[18:19], v[40:41], v[18:19]
	ds_bpermute_b32 v10, v23, v8
	ds_bpermute_b32 v11, v23, v9
	v_cndmask_b32_e32 v16, v73, v75, vcc
	s_waitcnt lgkmcnt(2)
	v_pk_add_f32 v[12:13], v[12:13], v[14:15]
	ds_bpermute_b32 v14, v17, v42
	ds_bpermute_b32 v15, v17, v43
	;; [unrolled: 1-line block ×3, first 2 shown]
	v_lshlrev_b32_e32 v27, 2, v16
	ds_bpermute_b32 v16, v25, v12
	ds_bpermute_b32 v17, v25, v13
	s_waitcnt lgkmcnt(3)
	v_pk_add_f32 v[14:15], v[42:43], v[14:15]
	ds_bpermute_b32 v20, v23, v14
	ds_bpermute_b32 v21, v23, v15
	;; [unrolled: 1-line block ×3, first 2 shown]
	v_pk_add_f32 v[8:9], v[8:9], v[10:11]
	ds_bpermute_b32 v10, v24, v8
	ds_bpermute_b32 v11, v24, v9
	s_waitcnt lgkmcnt(3)
	v_pk_add_f32 v[14:15], v[14:15], v[20:21]
	s_waitcnt lgkmcnt(2)
	v_pk_add_f32 v[18:19], v[18:19], v[22:23]
	v_pk_add_f32 v[12:13], v[12:13], v[16:17]
	ds_bpermute_b32 v16, v24, v14
	ds_bpermute_b32 v17, v24, v15
	;; [unrolled: 1-line block ×4, first 2 shown]
	s_waitcnt lgkmcnt(4)
	v_pk_add_f32 v[8:9], v[8:9], v[10:11]
	ds_bpermute_b32 v10, v25, v8
	s_waitcnt lgkmcnt(3)
	v_pk_add_f32 v[14:15], v[14:15], v[16:17]
	ds_bpermute_b32 v11, v25, v9
	;; [unrolled: 3-line block ×3, first 2 shown]
	ds_bpermute_b32 v17, v25, v15
	ds_bpermute_b32 v20, v25, v18
	;; [unrolled: 1-line block ×3, first 2 shown]
	s_waitcnt lgkmcnt(4)
	v_pk_add_f32 v[8:9], v[8:9], v[10:11]
	ds_bpermute_b32 v10, v27, v8
	s_waitcnt lgkmcnt(3)
	v_pk_add_f32 v[14:15], v[14:15], v[16:17]
	ds_bpermute_b32 v11, v27, v9
	;; [unrolled: 3-line block ×3, first 2 shown]
	ds_bpermute_b32 v25, v27, v13
	ds_bpermute_b32 v16, v27, v14
	;; [unrolled: 1-line block ×5, first 2 shown]
	s_cmp_eq_u32 s3, 0
	s_cselect_b64 s[6:7], -1, 0
	s_and_b64 s[4:5], s[6:7], s[4:5]
	v_lshlrev_b32_e32 v26, 1, v71
	s_waitcnt lgkmcnt(6)
	v_pk_add_f32 v[22:23], v[8:9], v[10:11]
	s_waitcnt lgkmcnt(4)
	v_pk_add_f32 v[20:21], v[12:13], v[24:25]
	;; [unrolled: 2-line block ×4, first 2 shown]
	s_and_b64 vcc, exec, s[4:5]
	s_cbranch_vccz .LBB33_12
; %bb.11:
	s_ashr_i32 s29, s28, 31
	s_lshl_b64 s[4:5], s[28:29], 2
	s_add_u32 s4, s12, s4
	s_addc_u32 s5, s13, s5
	v_mov_b32_e32 v8, 0
	global_load_dwordx2 v[24:25], v8, s[4:5]
	v_max_f32_e32 v8, v0, v0
	v_max_f32_e32 v9, v1, v1
	s_mov_b32 s5, 0x3fb8aa3b
	v_max_f32_e32 v10, v2, v2
	s_mov_b32 s2, 0xc2ce8ed0
	s_mov_b32 s4, 0x42b17218
	v_mov_b32_e32 v27, 0x7f800000
	s_waitcnt vmcnt(0)
	v_max_f32_e32 v14, v24, v24
	v_max_f32_e32 v8, v8, v14
	;; [unrolled: 1-line block ×3, first 2 shown]
	v_sub_f32_e32 v0, v0, v8
	v_max_f32_e32 v9, v9, v15
	v_sub_f32_e32 v11, v24, v8
	v_mul_f32_e32 v28, 0x3fb8aa3b, v0
	v_sub_f32_e32 v1, v1, v9
	v_mul_f32_e32 v29, 0x3fb8aa3b, v11
	v_fma_f32 v34, v0, s5, -v28
	v_rndne_f32_e32 v35, v28
	v_max_f32_e32 v10, v10, v14
	v_sub_f32_e32 v12, v25, v9
	v_mul_f32_e32 v30, 0x3fb8aa3b, v1
	v_fma_f32 v36, v11, s5, -v29
	v_rndne_f32_e32 v37, v29
	v_fmac_f32_e32 v34, 0x32a5705f, v0
	v_sub_f32_e32 v28, v28, v35
	v_sub_f32_e32 v2, v2, v10
	v_mul_f32_e32 v31, 0x3fb8aa3b, v12
	v_fma_f32 v38, v1, s5, -v30
	v_rndne_f32_e32 v39, v30
	v_fmac_f32_e32 v36, 0x32a5705f, v11
	v_sub_f32_e32 v29, v29, v37
	v_add_f32_e32 v28, v28, v34
	v_mul_f32_e32 v32, 0x3fb8aa3b, v2
	v_fma_f32 v40, v12, s5, -v31
	v_rndne_f32_e32 v41, v31
	v_cvt_i32_f32_e32 v35, v35
	v_fmac_f32_e32 v38, 0x32a5705f, v1
	v_sub_f32_e32 v30, v30, v39
	v_add_f32_e32 v29, v29, v36
	v_exp_f32_e32 v28, v28
	v_fma_f32 v42, v2, s5, -v32
	v_rndne_f32_e32 v43, v32
	v_cvt_i32_f32_e32 v37, v37
	v_fmac_f32_e32 v40, 0x32a5705f, v12
	v_sub_f32_e32 v31, v31, v41
	v_add_f32_e32 v30, v30, v38
	v_exp_f32_e32 v29, v29
	v_cvt_i32_f32_e32 v39, v39
	v_fmac_f32_e32 v42, 0x32a5705f, v2
	v_sub_f32_e32 v32, v32, v43
	v_add_f32_e32 v31, v31, v40
	v_exp_f32_e32 v30, v30
	v_cvt_i32_f32_e32 v41, v41
	v_add_f32_e32 v32, v32, v42
	v_exp_f32_e32 v31, v31
	v_cvt_i32_f32_e32 v43, v43
	v_exp_f32_e32 v32, v32
	v_ldexp_f32 v28, v28, v35
	v_cmp_ngt_f32_e32 vcc, s2, v0
	v_ldexp_f32 v29, v29, v37
	v_ldexp_f32 v30, v30, v39
	v_cndmask_b32_e32 v28, 0, v28, vcc
	v_cmp_ngt_f32_e32 vcc, s2, v11
	v_ldexp_f32 v31, v31, v41
	v_ldexp_f32 v32, v32, v43
	v_cndmask_b32_e32 v29, 0, v29, vcc
	v_cmp_ngt_f32_e32 vcc, s2, v1
	v_sub_f32_e32 v13, v24, v10
	v_mul_f32_e32 v33, 0x3fb8aa3b, v13
	v_cndmask_b32_e32 v30, 0, v30, vcc
	v_cmp_ngt_f32_e32 vcc, s2, v12
	v_fma_f32 v44, v13, s5, -v33
	v_rndne_f32_e32 v45, v33
	v_cndmask_b32_e32 v31, 0, v31, vcc
	v_cmp_ngt_f32_e32 vcc, s2, v2
	v_fmac_f32_e32 v44, 0x32a5705f, v13
	v_sub_f32_e32 v33, v33, v45
	v_cndmask_b32_e32 v32, 0, v32, vcc
	v_cmp_nlt_f32_e32 vcc, s4, v0
	v_add_f32_e32 v33, v33, v44
	v_cvt_i32_f32_e32 v45, v45
	v_cndmask_b32_e32 v0, v27, v28, vcc
	v_cmp_nlt_f32_e32 vcc, s4, v11
	v_cvt_f16_f32_e32 v11, v0
	v_exp_f32_e32 v33, v33
	v_cndmask_b32_e32 v28, v27, v29, vcc
	v_cmp_nlt_f32_e32 vcc, s4, v1
	v_mul_u32_u24_e32 v11, 0x10001, v11
	v_pk_mul_f16 v108, v108, v11
	v_cndmask_b32_e32 v1, v27, v30, vcc
	v_cmp_nlt_f32_e32 vcc, s4, v12
	v_cvt_f16_f32_e32 v12, v1
	v_max_f32_e32 v11, v3, v3
	v_max_f32_e32 v11, v11, v15
	v_cndmask_b32_e32 v29, v27, v31, vcc
	v_cmp_nlt_f32_e32 vcc, s4, v2
	v_sub_f32_e32 v3, v3, v11
	v_ldexp_f32 v33, v33, v45
	v_cndmask_b32_e32 v2, v27, v32, vcc
	v_mul_u32_u24_e32 v12, 0x10001, v12
	v_cmp_ngt_f32_e32 vcc, s2, v13
	v_mul_f32_e32 v30, 0x3fb8aa3b, v3
	v_pk_mul_f16 v107, v107, v12
	v_cndmask_b32_e32 v12, 0, v33, vcc
	v_fma_f32 v32, v3, s5, -v30
	v_rndne_f32_e32 v33, v30
	v_fmac_f32_e32 v32, 0x32a5705f, v3
	v_sub_f32_e32 v30, v30, v33
	v_cvt_f16_f32_e32 v31, v2
	v_add_f32_e32 v30, v30, v32
	v_exp_f32_e32 v32, v30
	v_cvt_i32_f32_e32 v33, v33
	v_cmp_nlt_f32_e32 vcc, s4, v13
	v_sub_f32_e32 v13, v25, v11
	v_pk_fma_f32 v[22:23], v[22:23], v[0:1], v[28:29]
	v_cndmask_b32_e32 v30, v27, v12, vcc
	v_mul_u32_u24_e32 v12, 0x10001, v31
	v_mul_f32_e32 v31, 0x3fb8aa3b, v13
	v_pk_mul_f16 v106, v106, v12
	v_ldexp_f32 v12, v32, v33
	v_fma_f32 v32, v13, s5, -v31
	v_rndne_f32_e32 v33, v31
	v_fmac_f32_e32 v32, 0x32a5705f, v13
	v_sub_f32_e32 v31, v31, v33
	v_add_f32_e32 v31, v31, v32
	v_exp_f32_e32 v31, v31
	v_cvt_i32_f32_e32 v32, v33
	v_cmp_ngt_f32_e32 vcc, s2, v3
	s_nop 1
	v_cndmask_b32_e32 v12, 0, v12, vcc
	v_cmp_nlt_f32_e32 vcc, s4, v3
	s_nop 1
	v_cndmask_b32_e32 v3, v27, v12, vcc
	v_ldexp_f32 v12, v31, v32
	v_cmp_ngt_f32_e32 vcc, s2, v13
	v_cvt_f16_f32_e32 v32, v3
	s_nop 0
	v_cndmask_b32_e32 v31, 0, v12, vcc
	v_max_f32_e32 v12, v4, v4
	v_max_f32_e32 v12, v12, v14
	v_sub_f32_e32 v4, v4, v12
	v_mul_f32_e32 v33, 0x3fb8aa3b, v4
	v_fma_f32 v34, v4, s5, -v33
	v_rndne_f32_e32 v35, v33
	v_fmac_f32_e32 v34, 0x32a5705f, v4
	v_sub_f32_e32 v33, v33, v35
	v_add_f32_e32 v33, v33, v34
	v_exp_f32_e32 v33, v33
	v_cvt_i32_f32_e32 v34, v35
	v_cmp_nlt_f32_e32 vcc, s4, v13
	v_mul_u32_u24_e32 v13, 0x10001, v32
	v_sub_f32_e32 v32, v24, v12
	v_pk_mul_f16 v105, v105, v13
	v_ldexp_f32 v13, v33, v34
	v_mul_f32_e32 v33, 0x3fb8aa3b, v32
	v_fma_f32 v34, v32, s5, -v33
	v_rndne_f32_e32 v35, v33
	v_fmac_f32_e32 v34, 0x32a5705f, v32
	v_sub_f32_e32 v33, v33, v35
	v_add_f32_e32 v33, v33, v34
	v_exp_f32_e32 v33, v33
	v_cvt_i32_f32_e32 v34, v35
	v_cndmask_b32_e32 v31, v27, v31, vcc
	v_cmp_ngt_f32_e32 vcc, s2, v4
	v_pk_fma_f32 v[20:21], v[20:21], v[2:3], v[30:31]
	s_nop 0
	v_cndmask_b32_e32 v13, 0, v13, vcc
	v_cmp_nlt_f32_e32 vcc, s4, v4
	s_nop 1
	v_cndmask_b32_e32 v4, v27, v13, vcc
	v_ldexp_f32 v13, v33, v34
	v_cmp_ngt_f32_e32 vcc, s2, v32
	v_cvt_f16_f32_e32 v34, v4
	s_nop 0
	v_cndmask_b32_e32 v33, 0, v13, vcc
	v_max_f32_e32 v13, v5, v5
	v_max_f32_e32 v13, v13, v15
	v_sub_f32_e32 v5, v5, v13
	v_mul_f32_e32 v35, 0x3fb8aa3b, v5
	v_fma_f32 v36, v5, s5, -v35
	v_rndne_f32_e32 v37, v35
	v_fmac_f32_e32 v36, 0x32a5705f, v5
	v_sub_f32_e32 v35, v35, v37
	v_add_f32_e32 v35, v35, v36
	v_exp_f32_e32 v35, v35
	v_cvt_i32_f32_e32 v36, v37
	v_cmp_nlt_f32_e32 vcc, s4, v32
	s_nop 1
	v_cndmask_b32_e32 v32, v27, v33, vcc
	v_mul_u32_u24_e32 v33, 0x10001, v34
	v_sub_f32_e32 v34, v25, v13
	v_pk_mul_f16 v104, v104, v33
	v_ldexp_f32 v33, v35, v36
	v_mul_f32_e32 v35, 0x3fb8aa3b, v34
	v_fma_f32 v36, v34, s5, -v35
	v_rndne_f32_e32 v37, v35
	v_fmac_f32_e32 v36, 0x32a5705f, v34
	v_sub_f32_e32 v35, v35, v37
	v_add_f32_e32 v35, v35, v36
	v_exp_f32_e32 v35, v35
	v_cvt_i32_f32_e32 v36, v37
	v_cmp_ngt_f32_e32 vcc, s2, v5
	s_nop 1
	v_cndmask_b32_e32 v33, 0, v33, vcc
	v_cmp_nlt_f32_e32 vcc, s4, v5
	s_nop 1
	v_cndmask_b32_e32 v5, v27, v33, vcc
	v_ldexp_f32 v33, v35, v36
	v_max_f32_e32 v36, v6, v6
	v_max_f32_e32 v14, v36, v14
	v_sub_f32_e32 v6, v6, v14
	v_mul_f32_e32 v36, 0x3fb8aa3b, v6
	v_fma_f32 v37, v6, s5, -v36
	v_rndne_f32_e32 v38, v36
	v_fmac_f32_e32 v37, 0x32a5705f, v6
	v_sub_f32_e32 v36, v36, v38
	v_cvt_f16_f32_e32 v35, v5
	v_add_f32_e32 v36, v36, v37
	v_exp_f32_e32 v36, v36
	v_cvt_i32_f32_e32 v37, v38
	v_cmp_ngt_f32_e32 vcc, s2, v34
	v_sub_f32_e32 v24, v24, v14
	s_nop 0
	v_cndmask_b32_e32 v33, 0, v33, vcc
	v_cmp_nlt_f32_e32 vcc, s4, v34
	v_mul_u32_u24_e32 v34, 0x10001, v35
	v_mul_f32_e32 v35, 0x3fb8aa3b, v24
	v_pk_mul_f16 v103, v103, v34
	v_ldexp_f32 v34, v36, v37
	v_fma_f32 v36, v24, s5, -v35
	v_rndne_f32_e32 v37, v35
	v_fmac_f32_e32 v36, 0x32a5705f, v24
	v_sub_f32_e32 v35, v35, v37
	v_add_f32_e32 v35, v35, v36
	v_exp_f32_e32 v35, v35
	v_cvt_i32_f32_e32 v36, v37
	v_cndmask_b32_e32 v33, v27, v33, vcc
	v_cmp_ngt_f32_e32 vcc, s2, v6
	v_pk_fma_f32 v[18:19], v[18:19], v[4:5], v[32:33]
	s_nop 0
	v_cndmask_b32_e32 v34, 0, v34, vcc
	v_cmp_nlt_f32_e32 vcc, s4, v6
	s_nop 1
	v_cndmask_b32_e32 v6, v27, v34, vcc
	v_ldexp_f32 v34, v35, v36
	v_max_f32_e32 v36, v7, v7
	v_max_f32_e32 v15, v36, v15
	v_sub_f32_e32 v7, v7, v15
	v_mul_f32_e32 v36, 0x3fb8aa3b, v7
	v_fma_f32 v37, v7, s5, -v36
	v_rndne_f32_e32 v38, v36
	v_fmac_f32_e32 v37, 0x32a5705f, v7
	v_sub_f32_e32 v36, v36, v38
	v_cvt_f16_f32_e32 v35, v6
	v_add_f32_e32 v36, v36, v37
	v_exp_f32_e32 v36, v36
	v_cvt_i32_f32_e32 v37, v38
	v_cmp_ngt_f32_e32 vcc, s2, v24
	v_sub_f32_e32 v25, v25, v15
	s_nop 0
	v_cndmask_b32_e32 v34, 0, v34, vcc
	v_cmp_nlt_f32_e32 vcc, s4, v24
	s_nop 1
	v_cndmask_b32_e32 v24, v27, v34, vcc
	v_mul_u32_u24_e32 v34, 0x10001, v35
	v_mul_f32_e32 v35, 0x3fb8aa3b, v25
	v_pk_mul_f16 v102, v102, v34
	v_ldexp_f32 v34, v36, v37
	v_fma_f32 v36, v25, s5, -v35
	v_rndne_f32_e32 v37, v35
	v_fmac_f32_e32 v36, 0x32a5705f, v25
	v_sub_f32_e32 v35, v35, v37
	v_add_f32_e32 v35, v35, v36
	v_cmp_ngt_f32_e32 vcc, s2, v7
	v_exp_f32_e32 v35, v35
	v_cvt_i32_f32_e32 v36, v37
	v_cndmask_b32_e32 v34, 0, v34, vcc
	v_cmp_nlt_f32_e32 vcc, s4, v7
	s_nop 1
	v_cndmask_b32_e32 v7, v27, v34, vcc
	v_cvt_f16_f32_e32 v0, v7
	v_ldexp_f32 v34, v35, v36
	v_cmp_ngt_f32_e32 vcc, s2, v25
	v_mul_u32_u24_e32 v0, 0x10001, v0
	s_nop 0
	v_cndmask_b32_e32 v34, 0, v34, vcc
	v_cmp_nlt_f32_e32 vcc, s4, v25
	v_pk_mul_f16 v101, v101, v0
	s_nop 0
	v_cndmask_b32_e32 v25, v27, v34, vcc
	v_pk_fma_f32 v[16:17], v[16:17], v[6:7], v[24:25]
	v_mov_b64_e32 v[0:1], v[8:9]
	v_mov_b64_e32 v[2:3], v[10:11]
	;; [unrolled: 1-line block ×4, first 2 shown]
.LBB33_12:
	v_cmp_gt_i32_e32 vcc, s22, v72
	s_and_saveexec_b64 s[4:5], vcc
	s_cbranch_execz .LBB33_51
; %bb.13:
	s_load_dword s2, s[0:1], 0xd4
	v_mov_b32_e32 v8, 1.0
	s_waitcnt lgkmcnt(0)
	s_cmp_lg_u32 s2, 1
	s_cselect_b64 s[0:1], -1, 0
	s_cmp_eq_u32 s2, 1
	s_cselect_b64 s[6:7], -1, 0
	s_and_b64 vcc, exec, s[0:1]
	s_cbranch_vccnz .LBB33_15
; %bb.14:
	v_div_scale_f32 v8, s[4:5], v22, v22, 1.0
	v_rcp_f32_e32 v9, v8
	v_div_scale_f32 v10, vcc, 1.0, v22, 1.0
	v_fma_f32 v11, -v8, v9, 1.0
	v_fmac_f32_e32 v9, v11, v9
	v_mul_f32_e32 v11, v10, v9
	v_fma_f32 v12, -v8, v11, v10
	v_fmac_f32_e32 v11, v12, v9
	v_fma_f32 v8, -v8, v11, v10
	v_div_fmas_f32 v8, v8, v9, v11
	v_div_fixup_f32 v8, v8, v22, 1.0
.LBB33_15:
	s_mul_i32 s8, s33, s22
	s_add_i32 s8, s8, s27
	v_add_u32_e32 v9, s8, v70
	v_mul_lo_u32 v9, v9, s23
	v_add_u32_e32 v10, s28, v9
	v_cvt_f32_f16_sdwa v13, v108 dst_sel:DWORD dst_unused:UNUSED_PAD src0_sel:WORD_1
	v_cvt_f32_f16_e32 v12, v108
	v_mul_lo_u32 v10, s2, v10
	v_add_u32_e32 v10, s3, v10
	v_cmp_eq_u32_e32 vcc, 0, v71
	v_lshl_add_u32 v14, v10, 6, v26
	v_mov_b32_e32 v15, 0
	v_lshl_add_u64 v[14:15], v[14:15], 2, s[16:17]
	v_pk_mul_f32 v[12:13], v[8:9], v[12:13] op_sel_hi:[0,1]
	s_and_b64 s[4:5], vcc, s[0:1]
	global_store_dwordx2 v[14:15], v[12:13], off
	s_and_saveexec_b64 s[0:1], s[4:5]
	s_cbranch_execz .LBB33_17
; %bb.16:
	v_ashrrev_i32_e32 v11, 31, v10
	v_lshl_add_u64 v[10:11], v[10:11], 3, s[18:19]
	v_mov_b32_e32 v12, v0
	v_mov_b32_e32 v13, v22
	global_store_dwordx2 v[10:11], v[12:13], off
.LBB33_17:
	s_or_b64 exec, exec, s[0:1]
	v_cndmask_b32_e64 v0, 0, 1, s[6:7]
	v_cmp_ne_u32_e64 s[0:1], 1, v0
	s_andn2_b64 vcc, exec, s[6:7]
	v_mov_b32_e32 v0, 1.0
	s_cbranch_vccnz .LBB33_19
; %bb.18:
	v_div_scale_f32 v0, s[6:7], v23, v23, 1.0
	v_rcp_f32_e32 v8, v0
	v_div_scale_f32 v10, vcc, 1.0, v23, 1.0
	v_fma_f32 v11, -v0, v8, 1.0
	v_fmac_f32_e32 v8, v11, v8
	v_mul_f32_e32 v11, v10, v8
	v_fma_f32 v12, -v0, v11, v10
	v_fmac_f32_e32 v11, v12, v8
	v_fma_f32 v0, -v0, v11, v10
	v_div_fmas_f32 v0, v0, v8, v11
	v_div_fixup_f32 v0, v0, v23, 1.0
.LBB33_19:
	s_add_i32 s9, s28, 1
	v_add_u32_e32 v8, s9, v9
	v_cvt_f32_f16_sdwa v11, v107 dst_sel:DWORD dst_unused:UNUSED_PAD src0_sel:WORD_1
	v_cvt_f32_f16_e32 v10, v107
	v_mul_lo_u32 v8, s2, v8
	v_add_u32_e32 v8, s3, v8
	v_lshl_add_u32 v12, v8, 6, v26
	v_mov_b32_e32 v13, 0
	v_lshl_add_u64 v[12:13], v[12:13], 2, s[16:17]
	v_pk_mul_f32 v[10:11], v[0:1], v[10:11] op_sel_hi:[0,1]
	global_store_dwordx2 v[12:13], v[10:11], off
	s_and_saveexec_b64 s[6:7], s[4:5]
	s_cbranch_execz .LBB33_21
; %bb.20:
	v_ashrrev_i32_e32 v9, 31, v8
	v_lshl_add_u64 v[8:9], v[8:9], 3, s[18:19]
	v_mov_b32_e32 v22, v1
	global_store_dwordx2 v[8:9], v[22:23], off
.LBB33_21:
	s_or_b64 exec, exec, s[6:7]
	v_cmp_gt_i32_e32 vcc, s22, v69
	s_and_b64 exec, exec, vcc
	s_cbranch_execz .LBB33_51
; %bb.22:
	s_and_b64 vcc, exec, s[0:1]
	v_mov_b32_e32 v0, 1.0
	s_cbranch_vccnz .LBB33_24
; %bb.23:
	v_div_scale_f32 v0, s[6:7], v20, v20, 1.0
	v_rcp_f32_e32 v1, v0
	v_div_scale_f32 v8, vcc, 1.0, v20, 1.0
	v_fma_f32 v9, -v0, v1, 1.0
	v_fmac_f32_e32 v1, v9, v1
	v_mul_f32_e32 v9, v8, v1
	v_fma_f32 v10, -v0, v9, v8
	v_fmac_f32_e32 v9, v10, v1
	v_fma_f32 v0, -v0, v9, v8
	v_div_fmas_f32 v0, v0, v1, v9
	v_div_fixup_f32 v0, v0, v20, 1.0
.LBB33_24:
	v_add_u32_e32 v1, s8, v68
	v_mul_lo_u32 v1, v1, s23
	v_add_u32_e32 v1, s28, v1
	v_cvt_f32_f16_sdwa v11, v106 dst_sel:DWORD dst_unused:UNUSED_PAD src0_sel:WORD_1
	v_cvt_f32_f16_e32 v10, v106
	v_mul_lo_u32 v1, s2, v1
	v_add_u32_e32 v8, s3, v1
	v_lshl_add_u32 v12, v8, 6, v26
	v_mov_b32_e32 v13, 0
	v_lshl_add_u64 v[12:13], v[12:13], 2, s[16:17]
	v_pk_mul_f32 v[0:1], v[0:1], v[10:11] op_sel_hi:[0,1]
	global_store_dwordx2 v[12:13], v[0:1], off
	s_and_saveexec_b64 s[6:7], s[4:5]
	s_cbranch_execz .LBB33_26
; %bb.25:
	v_ashrrev_i32_e32 v9, 31, v8
	v_lshl_add_u64 v[0:1], v[8:9], 3, s[18:19]
	v_mov_b32_e32 v8, v2
	v_mov_b32_e32 v9, v20
	global_store_dwordx2 v[0:1], v[8:9], off
.LBB33_26:
	s_or_b64 exec, exec, s[6:7]
	v_cmp_gt_i32_e32 vcc, s22, v67
	s_and_b64 exec, exec, vcc
	s_cbranch_execz .LBB33_51
; %bb.27:
	s_and_b64 vcc, exec, s[0:1]
	v_mov_b32_e32 v0, 1.0
	s_cbranch_vccnz .LBB33_29
; %bb.28:
	v_div_scale_f32 v0, s[6:7], v21, v21, 1.0
	v_rcp_f32_e32 v1, v0
	v_div_scale_f32 v2, vcc, 1.0, v21, 1.0
	v_fma_f32 v8, -v0, v1, 1.0
	v_fmac_f32_e32 v1, v8, v1
	v_mul_f32_e32 v8, v2, v1
	v_fma_f32 v9, -v0, v8, v2
	v_fmac_f32_e32 v8, v9, v1
	v_fma_f32 v0, -v0, v8, v2
	v_div_fmas_f32 v0, v0, v1, v8
	v_div_fixup_f32 v0, v0, v21, 1.0
.LBB33_29:
	v_add_u32_e32 v1, s8, v66
	v_mul_lo_u32 v1, v1, s23
	v_add_u32_e32 v1, s9, v1
	v_cvt_f32_f16_sdwa v11, v105 dst_sel:DWORD dst_unused:UNUSED_PAD src0_sel:WORD_1
	v_cvt_f32_f16_e32 v10, v105
	v_mul_lo_u32 v1, s2, v1
	v_add_u32_e32 v8, s3, v1
	v_lshl_add_u32 v12, v8, 6, v26
	v_mov_b32_e32 v13, 0
	v_lshl_add_u64 v[12:13], v[12:13], 2, s[16:17]
	v_pk_mul_f32 v[0:1], v[0:1], v[10:11] op_sel_hi:[0,1]
	global_store_dwordx2 v[12:13], v[0:1], off
	s_and_saveexec_b64 s[6:7], s[4:5]
	s_cbranch_execz .LBB33_31
; %bb.30:
	v_ashrrev_i32_e32 v9, 31, v8
	v_lshl_add_u64 v[0:1], v[8:9], 3, s[18:19]
	v_mov_b32_e32 v20, v3
	global_store_dwordx2 v[0:1], v[20:21], off
.LBB33_31:
	s_or_b64 exec, exec, s[6:7]
	v_cmp_gt_i32_e32 vcc, s22, v65
	s_and_b64 exec, exec, vcc
	s_cbranch_execz .LBB33_51
; %bb.32:
	s_and_b64 vcc, exec, s[0:1]
	v_mov_b32_e32 v0, 1.0
	s_cbranch_vccnz .LBB33_34
; %bb.33:
	v_div_scale_f32 v0, s[6:7], v18, v18, 1.0
	v_rcp_f32_e32 v1, v0
	v_div_scale_f32 v2, vcc, 1.0, v18, 1.0
	v_fma_f32 v3, -v0, v1, 1.0
	v_fmac_f32_e32 v1, v3, v1
	v_mul_f32_e32 v3, v2, v1
	v_fma_f32 v8, -v0, v3, v2
	v_fmac_f32_e32 v3, v8, v1
	v_fma_f32 v0, -v0, v3, v2
	v_div_fmas_f32 v0, v0, v1, v3
	v_div_fixup_f32 v0, v0, v18, 1.0
.LBB33_34:
	v_add_u32_e32 v1, s8, v64
	v_mul_lo_u32 v1, v1, s23
	v_add_u32_e32 v1, s28, v1
	v_cvt_f32_f16_sdwa v9, v104 dst_sel:DWORD dst_unused:UNUSED_PAD src0_sel:WORD_1
	v_cvt_f32_f16_e32 v8, v104
	v_mul_lo_u32 v1, s2, v1
	v_add_u32_e32 v2, s3, v1
	v_lshl_add_u32 v10, v2, 6, v26
	v_mov_b32_e32 v11, 0
	v_lshl_add_u64 v[10:11], v[10:11], 2, s[16:17]
	v_pk_mul_f32 v[0:1], v[0:1], v[8:9] op_sel_hi:[0,1]
	global_store_dwordx2 v[10:11], v[0:1], off
	s_and_saveexec_b64 s[6:7], s[4:5]
	s_cbranch_execz .LBB33_36
; %bb.35:
	v_ashrrev_i32_e32 v3, 31, v2
	v_lshl_add_u64 v[0:1], v[2:3], 3, s[18:19]
	v_mov_b32_e32 v2, v4
	v_mov_b32_e32 v3, v18
	global_store_dwordx2 v[0:1], v[2:3], off
.LBB33_36:
	s_or_b64 exec, exec, s[6:7]
	v_cmp_gt_i32_e32 vcc, s22, v63
	s_and_b64 exec, exec, vcc
	s_cbranch_execz .LBB33_51
; %bb.37:
	s_and_b64 vcc, exec, s[0:1]
	v_mov_b32_e32 v0, 1.0
	s_cbranch_vccnz .LBB33_39
; %bb.38:
	v_div_scale_f32 v0, s[6:7], v19, v19, 1.0
	v_rcp_f32_e32 v1, v0
	v_div_scale_f32 v2, vcc, 1.0, v19, 1.0
	v_fma_f32 v3, -v0, v1, 1.0
	v_fmac_f32_e32 v1, v3, v1
	v_mul_f32_e32 v3, v2, v1
	v_fma_f32 v4, -v0, v3, v2
	v_fmac_f32_e32 v3, v4, v1
	v_fma_f32 v0, -v0, v3, v2
	v_div_fmas_f32 v0, v0, v1, v3
	v_div_fixup_f32 v0, v0, v19, 1.0
.LBB33_39:
	v_add_u32_e32 v1, s8, v62
	v_mul_lo_u32 v1, v1, s23
	v_add_u32_e32 v1, s9, v1
	v_cvt_f32_f16_sdwa v9, v103 dst_sel:DWORD dst_unused:UNUSED_PAD src0_sel:WORD_1
	v_cvt_f32_f16_e32 v8, v103
	v_mul_lo_u32 v1, s2, v1
	v_add_u32_e32 v2, s3, v1
	v_lshl_add_u32 v10, v2, 6, v26
	v_mov_b32_e32 v11, 0
	v_lshl_add_u64 v[10:11], v[10:11], 2, s[16:17]
	v_pk_mul_f32 v[0:1], v[0:1], v[8:9] op_sel_hi:[0,1]
	global_store_dwordx2 v[10:11], v[0:1], off
	s_and_saveexec_b64 s[6:7], s[4:5]
	s_cbranch_execz .LBB33_41
; %bb.40:
	v_ashrrev_i32_e32 v3, 31, v2
	v_lshl_add_u64 v[0:1], v[2:3], 3, s[18:19]
	v_mov_b32_e32 v18, v5
	global_store_dwordx2 v[0:1], v[18:19], off
.LBB33_41:
	s_or_b64 exec, exec, s[6:7]
	v_cmp_gt_i32_e32 vcc, s22, v61
	s_and_b64 exec, exec, vcc
	s_cbranch_execz .LBB33_51
; %bb.42:
	s_and_b64 vcc, exec, s[0:1]
	v_mov_b32_e32 v0, 1.0
	s_cbranch_vccnz .LBB33_44
; %bb.43:
	v_div_scale_f32 v0, s[6:7], v16, v16, 1.0
	v_rcp_f32_e32 v1, v0
	v_div_scale_f32 v2, vcc, 1.0, v16, 1.0
	v_fma_f32 v3, -v0, v1, 1.0
	v_fmac_f32_e32 v1, v3, v1
	v_mul_f32_e32 v3, v2, v1
	v_fma_f32 v4, -v0, v3, v2
	v_fmac_f32_e32 v3, v4, v1
	v_fma_f32 v0, -v0, v3, v2
	v_div_fmas_f32 v0, v0, v1, v3
	v_div_fixup_f32 v0, v0, v16, 1.0
.LBB33_44:
	v_add_u32_e32 v1, s8, v60
	v_mul_lo_u32 v1, v1, s23
	v_add_u32_e32 v1, s28, v1
	v_cvt_f32_f16_sdwa v5, v102 dst_sel:DWORD dst_unused:UNUSED_PAD src0_sel:WORD_1
	v_cvt_f32_f16_e32 v4, v102
	v_mul_lo_u32 v1, s2, v1
	v_add_u32_e32 v2, s3, v1
	v_lshl_add_u32 v8, v2, 6, v26
	v_mov_b32_e32 v9, 0
	v_lshl_add_u64 v[8:9], v[8:9], 2, s[16:17]
	v_pk_mul_f32 v[0:1], v[0:1], v[4:5] op_sel_hi:[0,1]
	global_store_dwordx2 v[8:9], v[0:1], off
	s_and_saveexec_b64 s[6:7], s[4:5]
	s_cbranch_execz .LBB33_46
; %bb.45:
	v_ashrrev_i32_e32 v3, 31, v2
	v_lshl_add_u64 v[0:1], v[2:3], 3, s[18:19]
	v_mov_b32_e32 v2, v6
	v_mov_b32_e32 v3, v16
	global_store_dwordx2 v[0:1], v[2:3], off
.LBB33_46:
	s_or_b64 exec, exec, s[6:7]
	v_cmp_gt_i32_e32 vcc, s22, v59
	s_and_b64 exec, exec, vcc
	s_cbranch_execz .LBB33_51
; %bb.47:
	s_and_b64 vcc, exec, s[0:1]
	v_mov_b32_e32 v0, 1.0
	s_cbranch_vccnz .LBB33_49
; %bb.48:
	v_div_scale_f32 v0, s[0:1], v17, v17, 1.0
	v_rcp_f32_e32 v1, v0
	v_div_scale_f32 v2, vcc, 1.0, v17, 1.0
	v_fma_f32 v3, -v0, v1, 1.0
	v_fmac_f32_e32 v1, v3, v1
	v_mul_f32_e32 v3, v2, v1
	v_fma_f32 v4, -v0, v3, v2
	v_fmac_f32_e32 v3, v4, v1
	v_fma_f32 v0, -v0, v3, v2
	v_div_fmas_f32 v0, v0, v1, v3
	v_div_fixup_f32 v0, v0, v17, 1.0
.LBB33_49:
	v_add_u32_e32 v1, s8, v58
	v_mul_lo_u32 v1, v1, s23
	v_add_u32_e32 v1, s9, v1
	v_cvt_f32_f16_sdwa v5, v101 dst_sel:DWORD dst_unused:UNUSED_PAD src0_sel:WORD_1
	v_cvt_f32_f16_e32 v4, v101
	v_mul_lo_u32 v1, s2, v1
	v_add_u32_e32 v2, s3, v1
	v_lshl_add_u32 v8, v2, 6, v26
	v_mov_b32_e32 v9, 0
	v_lshl_add_u64 v[8:9], v[8:9], 2, s[16:17]
	v_pk_mul_f32 v[0:1], v[0:1], v[4:5] op_sel_hi:[0,1]
	global_store_dwordx2 v[8:9], v[0:1], off
	s_and_b64 exec, exec, s[4:5]
	s_cbranch_execz .LBB33_51
; %bb.50:
	v_ashrrev_i32_e32 v3, 31, v2
	v_lshl_add_u64 v[0:1], v[2:3], 3, s[18:19]
	v_mov_b32_e32 v16, v7
	global_store_dwordx2 v[0:1], v[16:17], off
.LBB33_51:
	s_endpgm
	.section	.rodata,"a",@progbits
	.p2align	6, 0x0
	.amdhsa_kernel _ZL15flash_attn_tileILi64ELi64ELi32ELi2ELb0EEvPKcS1_S1_S1_S1_PKiPfP15HIP_vector_typeIfLj2EEffffjfiS5_IjLj3EEiiiiiiiiiiiliiliiiiil
		.amdhsa_group_segment_fixed_size 25600
		.amdhsa_private_segment_fixed_size 0
		.amdhsa_kernarg_size 464
		.amdhsa_user_sgpr_count 2
		.amdhsa_user_sgpr_dispatch_ptr 0
		.amdhsa_user_sgpr_queue_ptr 0
		.amdhsa_user_sgpr_kernarg_segment_ptr 1
		.amdhsa_user_sgpr_dispatch_id 0
		.amdhsa_user_sgpr_kernarg_preload_length 0
		.amdhsa_user_sgpr_kernarg_preload_offset 0
		.amdhsa_user_sgpr_private_segment_size 0
		.amdhsa_uses_dynamic_stack 0
		.amdhsa_enable_private_segment 0
		.amdhsa_system_sgpr_workgroup_id_x 1
		.amdhsa_system_sgpr_workgroup_id_y 1
		.amdhsa_system_sgpr_workgroup_id_z 1
		.amdhsa_system_sgpr_workgroup_info 0
		.amdhsa_system_vgpr_workitem_id 1
		.amdhsa_next_free_vgpr 158
		.amdhsa_next_free_sgpr 91
		.amdhsa_accum_offset 160
		.amdhsa_reserve_vcc 1
		.amdhsa_float_round_mode_32 0
		.amdhsa_float_round_mode_16_64 0
		.amdhsa_float_denorm_mode_32 3
		.amdhsa_float_denorm_mode_16_64 3
		.amdhsa_dx10_clamp 1
		.amdhsa_ieee_mode 1
		.amdhsa_fp16_overflow 0
		.amdhsa_tg_split 0
		.amdhsa_exception_fp_ieee_invalid_op 0
		.amdhsa_exception_fp_denorm_src 0
		.amdhsa_exception_fp_ieee_div_zero 0
		.amdhsa_exception_fp_ieee_overflow 0
		.amdhsa_exception_fp_ieee_underflow 0
		.amdhsa_exception_fp_ieee_inexact 0
		.amdhsa_exception_int_div_zero 0
	.end_amdhsa_kernel
	.section	.text._ZL15flash_attn_tileILi64ELi64ELi32ELi2ELb0EEvPKcS1_S1_S1_S1_PKiPfP15HIP_vector_typeIfLj2EEffffjfiS5_IjLj3EEiiiiiiiiiiiliiliiiiil,"axG",@progbits,_ZL15flash_attn_tileILi64ELi64ELi32ELi2ELb0EEvPKcS1_S1_S1_S1_PKiPfP15HIP_vector_typeIfLj2EEffffjfiS5_IjLj3EEiiiiiiiiiiiliiliiiiil,comdat
.Lfunc_end33:
	.size	_ZL15flash_attn_tileILi64ELi64ELi32ELi2ELb0EEvPKcS1_S1_S1_S1_PKiPfP15HIP_vector_typeIfLj2EEffffjfiS5_IjLj3EEiiiiiiiiiiiliiliiiiil, .Lfunc_end33-_ZL15flash_attn_tileILi64ELi64ELi32ELi2ELb0EEvPKcS1_S1_S1_S1_PKiPfP15HIP_vector_typeIfLj2EEffffjfiS5_IjLj3EEiiiiiiiiiiiliiliiiiil
                                        ; -- End function
	.set _ZL15flash_attn_tileILi64ELi64ELi32ELi2ELb0EEvPKcS1_S1_S1_S1_PKiPfP15HIP_vector_typeIfLj2EEffffjfiS5_IjLj3EEiiiiiiiiiiiliiliiiiil.num_vgpr, 158
	.set _ZL15flash_attn_tileILi64ELi64ELi32ELi2ELb0EEvPKcS1_S1_S1_S1_PKiPfP15HIP_vector_typeIfLj2EEffffjfiS5_IjLj3EEiiiiiiiiiiiliiliiiiil.num_agpr, 0
	.set _ZL15flash_attn_tileILi64ELi64ELi32ELi2ELb0EEvPKcS1_S1_S1_S1_PKiPfP15HIP_vector_typeIfLj2EEffffjfiS5_IjLj3EEiiiiiiiiiiiliiliiiiil.numbered_sgpr, 44
	.set _ZL15flash_attn_tileILi64ELi64ELi32ELi2ELb0EEvPKcS1_S1_S1_S1_PKiPfP15HIP_vector_typeIfLj2EEffffjfiS5_IjLj3EEiiiiiiiiiiiliiliiiiil.num_named_barrier, 0
	.set _ZL15flash_attn_tileILi64ELi64ELi32ELi2ELb0EEvPKcS1_S1_S1_S1_PKiPfP15HIP_vector_typeIfLj2EEffffjfiS5_IjLj3EEiiiiiiiiiiiliiliiiiil.private_seg_size, 0
	.set _ZL15flash_attn_tileILi64ELi64ELi32ELi2ELb0EEvPKcS1_S1_S1_S1_PKiPfP15HIP_vector_typeIfLj2EEffffjfiS5_IjLj3EEiiiiiiiiiiiliiliiiiil.uses_vcc, 1
	.set _ZL15flash_attn_tileILi64ELi64ELi32ELi2ELb0EEvPKcS1_S1_S1_S1_PKiPfP15HIP_vector_typeIfLj2EEffffjfiS5_IjLj3EEiiiiiiiiiiiliiliiiiil.uses_flat_scratch, 0
	.set _ZL15flash_attn_tileILi64ELi64ELi32ELi2ELb0EEvPKcS1_S1_S1_S1_PKiPfP15HIP_vector_typeIfLj2EEffffjfiS5_IjLj3EEiiiiiiiiiiiliiliiiiil.has_dyn_sized_stack, 0
	.set _ZL15flash_attn_tileILi64ELi64ELi32ELi2ELb0EEvPKcS1_S1_S1_S1_PKiPfP15HIP_vector_typeIfLj2EEffffjfiS5_IjLj3EEiiiiiiiiiiiliiliiiiil.has_recursion, 0
	.set _ZL15flash_attn_tileILi64ELi64ELi32ELi2ELb0EEvPKcS1_S1_S1_S1_PKiPfP15HIP_vector_typeIfLj2EEffffjfiS5_IjLj3EEiiiiiiiiiiiliiliiiiil.has_indirect_call, 0
	.section	.AMDGPU.csdata,"",@progbits
; Kernel info:
; codeLenInByte = 30080
; TotalNumSgprs: 50
; NumVgprs: 158
; NumAgprs: 0
; TotalNumVgprs: 158
; ScratchSize: 0
; MemoryBound: 0
; FloatMode: 240
; IeeeMode: 1
; LDSByteSize: 25600 bytes/workgroup (compile time only)
; SGPRBlocks: 12
; VGPRBlocks: 19
; NumSGPRsForWavesPerEU: 97
; NumVGPRsForWavesPerEU: 158
; AccumOffset: 160
; Occupancy: 3
; WaveLimiterHint : 1
; COMPUTE_PGM_RSRC2:SCRATCH_EN: 0
; COMPUTE_PGM_RSRC2:USER_SGPR: 2
; COMPUTE_PGM_RSRC2:TRAP_HANDLER: 0
; COMPUTE_PGM_RSRC2:TGID_X_EN: 1
; COMPUTE_PGM_RSRC2:TGID_Y_EN: 1
; COMPUTE_PGM_RSRC2:TGID_Z_EN: 1
; COMPUTE_PGM_RSRC2:TIDIG_COMP_CNT: 1
; COMPUTE_PGM_RSRC3_GFX90A:ACCUM_OFFSET: 39
; COMPUTE_PGM_RSRC3_GFX90A:TG_SPLIT: 0
	.section	.text._ZL25flash_attn_mask_to_KV_maxILi32EEvPK7__half2Piiii,"axG",@progbits,_ZL25flash_attn_mask_to_KV_maxILi32EEvPK7__half2Piiii,comdat
	.globl	_ZL25flash_attn_mask_to_KV_maxILi32EEvPK7__half2Piiii ; -- Begin function _ZL25flash_attn_mask_to_KV_maxILi32EEvPK7__half2Piiii
	.p2align	8
	.type	_ZL25flash_attn_mask_to_KV_maxILi32EEvPK7__half2Piiii,@function
_ZL25flash_attn_mask_to_KV_maxILi32EEvPK7__half2Piiii: ; @_ZL25flash_attn_mask_to_KV_maxILi32EEvPK7__half2Piiii
; %bb.0:
	s_load_dwordx4 s[4:7], s[0:1], 0x0
	v_cmp_gt_u32_e32 vcc, 32, v0
	s_and_saveexec_b64 s[8:9], vcc
; %bb.1:
	v_lshlrev_b32_e32 v1, 2, v0
	v_mov_b32_e32 v2, 1
	ds_write_b32 v1, v2
; %bb.2:
	s_or_b64 exec, exec, s[8:9]
	s_load_dwordx4 s[8:11], s[0:1], 0x10
	s_load_dword s33, s[0:1], 0x20
	v_and_b32_e32 v2, 31, v0
	v_lshlrev_b32_e32 v6, 2, v2
	v_lshrrev_b32_e32 v1, 3, v0
	s_waitcnt lgkmcnt(0)
	s_mul_i32 s1, s2, s9
	s_mul_i32 s0, s10, s3
	s_lshl_b32 s1, s1, 5
	s_add_i32 s0, s0, s1
	s_ashr_i32 s1, s0, 31
	s_lshl_b64 s[0:1], s[0:1], 2
	s_add_u32 s10, s4, s0
	s_addc_u32 s11, s5, s1
	v_cmp_eq_u32_e64 s[0:1], 0, v2
	v_mbcnt_lo_u32_b32 v2, -1, 0
	s_lshl_b32 s8, s8, 8
	s_mov_b64 s[12:13], 0
	v_mov_b32_e32 v3, 0
	s_movk_i32 s98, 0x204
	v_mbcnt_hi_u32_b32 v7, -1, v2
	s_barrier
                                        ; implicit-def: $sgpr4_sgpr5
	s_branch .LBB34_5
.LBB34_3:                               ;   in Loop: Header=BB34_5 Depth=1
	s_or_b64 exec, exec, s[14:15]
	s_waitcnt lgkmcnt(0)
	s_barrier
	ds_read_b32 v10, v6
	s_waitcnt lgkmcnt(0)
	s_barrier
	ds_bpermute_b32 v2, v2, v10
	v_cmp_ne_u32_e32 vcc, 0, v10
	s_waitcnt lgkmcnt(0)
	v_cmp_ne_u32_e64 s[4:5], 0, v2
	s_and_b64 s[4:5], vcc, s[4:5]
	s_nop 0
	v_cndmask_b32_e64 v2, 0, 1, s[4:5]
	ds_bpermute_b32 v2, v4, v2
	s_waitcnt lgkmcnt(0)
	v_cmp_ne_u32_e32 vcc, 0, v2
	s_and_b64 s[4:5], vcc, s[4:5]
	v_cndmask_b32_e64 v2, 0, 1, s[4:5]
	ds_bpermute_b32 v2, v5, v2
	s_waitcnt lgkmcnt(0)
	v_cmp_ne_u32_e32 vcc, 0, v2
	s_and_b64 s[4:5], vcc, s[4:5]
	;; [unrolled: 5-line block ×3, first 2 shown]
	v_cndmask_b32_e64 v2, 0, 1, s[4:5]
	ds_bpermute_b32 v2, v9, v2
	s_xor_b64 s[4:5], s[4:5], -1
	s_waitcnt lgkmcnt(0)
	v_cmp_eq_u32_e32 vcc, 0, v2
	s_or_b64 s[4:5], vcc, s[4:5]
.LBB34_4:                               ;   in Loop: Header=BB34_5 Depth=1
	s_and_b64 s[14:15], exec, s[4:5]
	s_or_b64 s[12:13], s[14:15], s[12:13]
	v_mov_b32_e32 v2, s8
	s_mov_b32 s8, s99
	s_andn2_b64 exec, exec, s[12:13]
	s_cbranch_execz .LBB34_132
.LBB34_5:                               ; =>This Inner Loop Header: Depth=1
	s_add_i32 s99, s8, 0xffffff00
	s_or_b64 s[4:5], s[4:5], exec
	s_cmp_lt_i32 s99, 0
	s_cbranch_scc1 .LBB34_4
; %bb.6:                                ;   in Loop: Header=BB34_5 Depth=1
	s_lshr_b32 s4, s99, 1
	v_add_u32_e32 v2, s4, v0
	v_lshl_add_u64 v[4:5], v[2:3], 2, s[10:11]
	global_load_dword v4, v[4:5], off
	v_mov_b32_e32 v5, 0
	s_waitcnt vmcnt(0)
	v_cmp_class_f16_e64 s[4:5], v4, s98
	v_cmp_class_f16_sdwa s[14:15], v4, s98 src0_sel:WORD_1 src1_sel:DWORD
	s_and_b64 s[14:15], s[4:5], s[14:15]
	s_and_saveexec_b64 s[4:5], s[14:15]
	s_cbranch_execz .LBB34_130
; %bb.7:                                ;   in Loop: Header=BB34_5 Depth=1
	v_add_u32_e32 v4, s9, v2
	v_ashrrev_i32_e32 v5, 31, v4
	v_lshl_add_u64 v[8:9], v[4:5], 2, s[10:11]
	global_load_dword v2, v[8:9], off
	v_mov_b32_e32 v5, 0
	s_waitcnt vmcnt(0)
	v_cmp_class_f16_e64 s[16:17], v2, s98
	s_and_saveexec_b64 s[14:15], s[16:17]
	s_cbranch_execz .LBB34_129
; %bb.8:                                ;   in Loop: Header=BB34_5 Depth=1
	v_cmp_class_f16_sdwa s[18:19], v2, s98 src0_sel:WORD_1 src1_sel:DWORD
	v_mov_b32_e32 v5, 0
	s_and_saveexec_b64 s[16:17], s[18:19]
	s_cbranch_execz .LBB34_128
; %bb.9:                                ;   in Loop: Header=BB34_5 Depth=1
	v_add_u32_e32 v4, s9, v4
	v_ashrrev_i32_e32 v5, 31, v4
	v_lshl_add_u64 v[8:9], v[4:5], 2, s[10:11]
	global_load_dword v2, v[8:9], off
	v_mov_b32_e32 v5, 0
	s_waitcnt vmcnt(0)
	v_cmp_class_f16_e64 s[20:21], v2, s98
	s_and_saveexec_b64 s[18:19], s[20:21]
	s_cbranch_execz .LBB34_127
; %bb.10:                               ;   in Loop: Header=BB34_5 Depth=1
	v_cmp_class_f16_sdwa s[22:23], v2, s98 src0_sel:WORD_1 src1_sel:DWORD
	v_mov_b32_e32 v5, 0
	s_and_saveexec_b64 s[20:21], s[22:23]
	s_cbranch_execz .LBB34_126
; %bb.11:                               ;   in Loop: Header=BB34_5 Depth=1
	v_add_u32_e32 v4, s9, v4
	v_ashrrev_i32_e32 v5, 31, v4
	v_lshl_add_u64 v[8:9], v[4:5], 2, s[10:11]
	global_load_dword v2, v[8:9], off
	v_mov_b32_e32 v5, 0
	s_waitcnt vmcnt(0)
	v_cmp_class_f16_e64 s[24:25], v2, s98
	s_and_saveexec_b64 s[22:23], s[24:25]
	s_cbranch_execz .LBB34_125
; %bb.12:                               ;   in Loop: Header=BB34_5 Depth=1
	v_cmp_class_f16_sdwa s[26:27], v2, s98 src0_sel:WORD_1 src1_sel:DWORD
	v_mov_b32_e32 v5, 0
	s_and_saveexec_b64 s[24:25], s[26:27]
	s_cbranch_execz .LBB34_124
; %bb.13:                               ;   in Loop: Header=BB34_5 Depth=1
	;; [unrolled: 15-line block ×19, first 2 shown]
	v_add_u32_e32 v4, s9, v4
	v_ashrrev_i32_e32 v5, 31, v4
	v_lshl_add_u64 v[8:9], v[4:5], 2, s[10:11]
	global_load_dword v2, v[8:9], off
	v_mov_b32_e32 v5, 0
	s_waitcnt vmcnt(0)
	v_cmp_class_f16_e64 vcc, v2, s98
	s_mov_b64 s[96:97], exec
                                        ; implicit-def: $vgpr12 : SGPR spill to VGPR lane
	v_writelane_b32 v12, s96, 0
	s_and_b64 vcc, s[96:97], vcc
	s_nop 0
	v_writelane_b32 v12, s97, 1
	s_mov_b64 exec, vcc
	s_cbranch_execz .LBB34_89
; %bb.48:                               ;   in Loop: Header=BB34_5 Depth=1
	v_mov_b32_e32 v5, 0
	v_cmp_class_f16_sdwa s[96:97], v2, s98 src0_sel:WORD_1 src1_sel:DWORD
	s_mov_b64 vcc, exec
	s_nop 0
	v_writelane_b32 v12, vcc_lo, 2
	s_and_b64 s[96:97], vcc, s[96:97]
	s_nop 0
	v_writelane_b32 v12, vcc_hi, 3
	s_mov_b64 exec, s[96:97]
	s_cbranch_execz .LBB34_88
; %bb.49:                               ;   in Loop: Header=BB34_5 Depth=1
	v_add_u32_e32 v4, s9, v4
	v_ashrrev_i32_e32 v5, 31, v4
	v_lshl_add_u64 v[8:9], v[4:5], 2, s[10:11]
	global_load_dword v2, v[8:9], off
	v_mov_b32_e32 v5, 0
	s_waitcnt vmcnt(0)
	v_cmp_class_f16_e64 s[96:97], v2, s98
	s_mov_b64 vcc, exec
	v_writelane_b32 v12, vcc_lo, 4
	s_and_b64 s[96:97], vcc, s[96:97]
	s_nop 0
	v_writelane_b32 v12, vcc_hi, 5
	s_mov_b64 exec, s[96:97]
	s_cbranch_execz .LBB34_87
; %bb.50:                               ;   in Loop: Header=BB34_5 Depth=1
	v_mov_b32_e32 v5, 0
	v_cmp_class_f16_sdwa s[96:97], v2, s98 src0_sel:WORD_1 src1_sel:DWORD
	s_mov_b64 vcc, exec
	s_nop 0
	v_writelane_b32 v12, vcc_lo, 6
	s_and_b64 s[96:97], vcc, s[96:97]
	s_nop 0
	v_writelane_b32 v12, vcc_hi, 7
	s_mov_b64 exec, s[96:97]
	s_cbranch_execz .LBB34_86
; %bb.51:                               ;   in Loop: Header=BB34_5 Depth=1
	v_add_u32_e32 v4, s9, v4
	v_ashrrev_i32_e32 v5, 31, v4
	v_lshl_add_u64 v[8:9], v[4:5], 2, s[10:11]
	global_load_dword v2, v[8:9], off
	v_mov_b32_e32 v5, 0
	s_waitcnt vmcnt(0)
	v_cmp_class_f16_e64 s[96:97], v2, s98
	s_mov_b64 vcc, exec
	v_writelane_b32 v12, vcc_lo, 8
	s_and_b64 s[96:97], vcc, s[96:97]
	s_nop 0
	v_writelane_b32 v12, vcc_hi, 9
	s_mov_b64 exec, s[96:97]
	;; [unrolled: 26-line block ×10, first 2 shown]
; %bb.68:                               ;   in Loop: Header=BB34_5 Depth=1
	v_cmp_class_f16_sdwa s[96:97], v2, s98 src0_sel:WORD_1 src1_sel:DWORD
	s_nop 1
	v_cndmask_b32_e64 v5, 0, 1, s[96:97]
; %bb.69:                               ;   in Loop: Header=BB34_5 Depth=1
	v_readlane_b32 s96, v12, 40
	v_readlane_b32 s97, v12, 41
	s_or_b64 exec, exec, s[96:97]
.LBB34_70:                              ;   in Loop: Header=BB34_5 Depth=1
	v_readlane_b32 s96, v12, 38
	v_readlane_b32 s97, v12, 39
	s_or_b64 exec, exec, s[96:97]
.LBB34_71:                              ;   in Loop: Header=BB34_5 Depth=1
	v_readlane_b32 s96, v12, 36
	v_readlane_b32 s97, v12, 37
	s_or_b64 exec, exec, s[96:97]
.LBB34_72:                              ;   in Loop: Header=BB34_5 Depth=1
	v_readlane_b32 s96, v12, 34
	v_readlane_b32 s97, v12, 35
	s_or_b64 exec, exec, s[96:97]
.LBB34_73:                              ;   in Loop: Header=BB34_5 Depth=1
	v_readlane_b32 s96, v12, 32
	v_readlane_b32 s97, v12, 33
	s_or_b64 exec, exec, s[96:97]
.LBB34_74:                              ;   in Loop: Header=BB34_5 Depth=1
	v_readlane_b32 s96, v12, 30
	v_readlane_b32 s97, v12, 31
	s_or_b64 exec, exec, s[96:97]
.LBB34_75:                              ;   in Loop: Header=BB34_5 Depth=1
	v_readlane_b32 s96, v12, 28
	v_readlane_b32 s97, v12, 29
	s_or_b64 exec, exec, s[96:97]
.LBB34_76:                              ;   in Loop: Header=BB34_5 Depth=1
	v_readlane_b32 s96, v12, 26
	v_readlane_b32 s97, v12, 27
	s_or_b64 exec, exec, s[96:97]
.LBB34_77:                              ;   in Loop: Header=BB34_5 Depth=1
	v_readlane_b32 s96, v12, 24
	v_readlane_b32 s97, v12, 25
	s_or_b64 exec, exec, s[96:97]
.LBB34_78:                              ;   in Loop: Header=BB34_5 Depth=1
	v_readlane_b32 s96, v12, 22
	v_readlane_b32 s97, v12, 23
	s_or_b64 exec, exec, s[96:97]
.LBB34_79:                              ;   in Loop: Header=BB34_5 Depth=1
	v_readlane_b32 s96, v12, 20
	v_readlane_b32 s97, v12, 21
	s_or_b64 exec, exec, s[96:97]
.LBB34_80:                              ;   in Loop: Header=BB34_5 Depth=1
	v_readlane_b32 s96, v12, 18
	v_readlane_b32 s97, v12, 19
	s_or_b64 exec, exec, s[96:97]
.LBB34_81:                              ;   in Loop: Header=BB34_5 Depth=1
	v_readlane_b32 s96, v12, 16
	v_readlane_b32 s97, v12, 17
	s_or_b64 exec, exec, s[96:97]
.LBB34_82:                              ;   in Loop: Header=BB34_5 Depth=1
	v_readlane_b32 s96, v12, 14
	v_readlane_b32 s97, v12, 15
	s_or_b64 exec, exec, s[96:97]
.LBB34_83:                              ;   in Loop: Header=BB34_5 Depth=1
	v_readlane_b32 s96, v12, 12
	v_readlane_b32 s97, v12, 13
	s_or_b64 exec, exec, s[96:97]
.LBB34_84:                              ;   in Loop: Header=BB34_5 Depth=1
	v_readlane_b32 s96, v12, 10
	v_readlane_b32 s97, v12, 11
	s_or_b64 exec, exec, s[96:97]
.LBB34_85:                              ;   in Loop: Header=BB34_5 Depth=1
	v_readlane_b32 s96, v12, 8
	v_readlane_b32 s97, v12, 9
	s_or_b64 exec, exec, s[96:97]
.LBB34_86:                              ;   in Loop: Header=BB34_5 Depth=1
	v_readlane_b32 s96, v12, 6
	v_readlane_b32 s97, v12, 7
	s_or_b64 exec, exec, s[96:97]
.LBB34_87:                              ;   in Loop: Header=BB34_5 Depth=1
	v_readlane_b32 s96, v12, 4
	v_readlane_b32 s97, v12, 5
	s_or_b64 exec, exec, s[96:97]
.LBB34_88:                              ;   in Loop: Header=BB34_5 Depth=1
	v_readlane_b32 s96, v12, 2
	v_readlane_b32 s97, v12, 3
	s_or_b64 exec, exec, s[96:97]
.LBB34_89:                              ;   in Loop: Header=BB34_5 Depth=1
	v_readlane_b32 s96, v12, 0
	v_readlane_b32 s97, v12, 1
	s_or_b64 exec, exec, s[96:97]
.LBB34_90:                              ;   in Loop: Header=BB34_5 Depth=1
	s_or_b64 exec, exec, s[94:95]
.LBB34_91:                              ;   in Loop: Header=BB34_5 Depth=1
	s_or_b64 exec, exec, s[92:93]
.LBB34_92:                              ;   in Loop: Header=BB34_5 Depth=1
	s_or_b64 exec, exec, s[90:91]
.LBB34_93:                              ;   in Loop: Header=BB34_5 Depth=1
	s_or_b64 exec, exec, s[88:89]
.LBB34_94:                              ;   in Loop: Header=BB34_5 Depth=1
	s_or_b64 exec, exec, s[86:87]
.LBB34_95:                              ;   in Loop: Header=BB34_5 Depth=1
	s_or_b64 exec, exec, s[84:85]
.LBB34_96:                              ;   in Loop: Header=BB34_5 Depth=1
	s_or_b64 exec, exec, s[82:83]
.LBB34_97:                              ;   in Loop: Header=BB34_5 Depth=1
	s_or_b64 exec, exec, s[80:81]
.LBB34_98:                              ;   in Loop: Header=BB34_5 Depth=1
	s_or_b64 exec, exec, s[78:79]
.LBB34_99:                              ;   in Loop: Header=BB34_5 Depth=1
	s_or_b64 exec, exec, s[76:77]
.LBB34_100:                             ;   in Loop: Header=BB34_5 Depth=1
	s_or_b64 exec, exec, s[74:75]
.LBB34_101:                             ;   in Loop: Header=BB34_5 Depth=1
	s_or_b64 exec, exec, s[72:73]
.LBB34_102:                             ;   in Loop: Header=BB34_5 Depth=1
	s_or_b64 exec, exec, s[70:71]
.LBB34_103:                             ;   in Loop: Header=BB34_5 Depth=1
	s_or_b64 exec, exec, s[68:69]
.LBB34_104:                             ;   in Loop: Header=BB34_5 Depth=1
	s_or_b64 exec, exec, s[66:67]
.LBB34_105:                             ;   in Loop: Header=BB34_5 Depth=1
	s_or_b64 exec, exec, s[64:65]
.LBB34_106:                             ;   in Loop: Header=BB34_5 Depth=1
	s_or_b64 exec, exec, s[62:63]
.LBB34_107:                             ;   in Loop: Header=BB34_5 Depth=1
	s_or_b64 exec, exec, s[60:61]
.LBB34_108:                             ;   in Loop: Header=BB34_5 Depth=1
	s_or_b64 exec, exec, s[58:59]
.LBB34_109:                             ;   in Loop: Header=BB34_5 Depth=1
	s_or_b64 exec, exec, s[56:57]
.LBB34_110:                             ;   in Loop: Header=BB34_5 Depth=1
	s_or_b64 exec, exec, s[54:55]
.LBB34_111:                             ;   in Loop: Header=BB34_5 Depth=1
	s_or_b64 exec, exec, s[52:53]
.LBB34_112:                             ;   in Loop: Header=BB34_5 Depth=1
	s_or_b64 exec, exec, s[50:51]
.LBB34_113:                             ;   in Loop: Header=BB34_5 Depth=1
	s_or_b64 exec, exec, s[48:49]
.LBB34_114:                             ;   in Loop: Header=BB34_5 Depth=1
	s_or_b64 exec, exec, s[46:47]
.LBB34_115:                             ;   in Loop: Header=BB34_5 Depth=1
	s_or_b64 exec, exec, s[44:45]
.LBB34_116:                             ;   in Loop: Header=BB34_5 Depth=1
	s_or_b64 exec, exec, s[42:43]
.LBB34_117:                             ;   in Loop: Header=BB34_5 Depth=1
	s_or_b64 exec, exec, s[40:41]
.LBB34_118:                             ;   in Loop: Header=BB34_5 Depth=1
	s_or_b64 exec, exec, s[38:39]
.LBB34_119:                             ;   in Loop: Header=BB34_5 Depth=1
	s_or_b64 exec, exec, s[36:37]
.LBB34_120:                             ;   in Loop: Header=BB34_5 Depth=1
	s_or_b64 exec, exec, s[34:35]
.LBB34_121:                             ;   in Loop: Header=BB34_5 Depth=1
	s_or_b64 exec, exec, s[30:31]
.LBB34_122:                             ;   in Loop: Header=BB34_5 Depth=1
	s_or_b64 exec, exec, s[28:29]
.LBB34_123:                             ;   in Loop: Header=BB34_5 Depth=1
	s_or_b64 exec, exec, s[26:27]
.LBB34_124:                             ;   in Loop: Header=BB34_5 Depth=1
	s_or_b64 exec, exec, s[24:25]
.LBB34_125:                             ;   in Loop: Header=BB34_5 Depth=1
	s_or_b64 exec, exec, s[22:23]
.LBB34_126:                             ;   in Loop: Header=BB34_5 Depth=1
	s_or_b64 exec, exec, s[20:21]
.LBB34_127:                             ;   in Loop: Header=BB34_5 Depth=1
	s_or_b64 exec, exec, s[18:19]
.LBB34_128:                             ;   in Loop: Header=BB34_5 Depth=1
	s_or_b64 exec, exec, s[16:17]
.LBB34_129:                             ;   in Loop: Header=BB34_5 Depth=1
	s_or_b64 exec, exec, s[14:15]
.LBB34_130:                             ;   in Loop: Header=BB34_5 Depth=1
	s_or_b64 exec, exec, s[4:5]
	v_and_b32_e32 v2, 0x60, v7
	v_add_u32_e32 v9, 32, v2
	v_xor_b32_e32 v2, 16, v7
	v_cmp_lt_i32_e32 vcc, v2, v9
	v_xor_b32_e32 v11, 1, v7
	s_nop 0
	v_cndmask_b32_e32 v2, v7, v2, vcc
	v_lshlrev_b32_e32 v2, 2, v2
	ds_bpermute_b32 v4, v2, v5
	v_cmp_ne_u32_e32 vcc, 0, v5
	s_waitcnt lgkmcnt(0)
	v_cmp_ne_u32_e64 s[4:5], 0, v4
	v_xor_b32_e32 v4, 8, v7
	s_and_b64 s[4:5], vcc, s[4:5]
	v_cmp_lt_i32_e32 vcc, v4, v9
	v_cndmask_b32_e64 v5, 0, 1, s[4:5]
	s_nop 0
	v_cndmask_b32_e32 v4, v7, v4, vcc
	v_lshlrev_b32_e32 v4, 2, v4
	ds_bpermute_b32 v5, v4, v5
	s_waitcnt lgkmcnt(0)
	v_cmp_ne_u32_e32 vcc, 0, v5
	v_xor_b32_e32 v5, 4, v7
	s_and_b64 s[4:5], vcc, s[4:5]
	v_cmp_lt_i32_e32 vcc, v5, v9
	v_cndmask_b32_e64 v8, 0, 1, s[4:5]
	s_nop 0
	v_cndmask_b32_e32 v5, v7, v5, vcc
	v_lshlrev_b32_e32 v5, 2, v5
	ds_bpermute_b32 v8, v5, v8
	s_waitcnt lgkmcnt(0)
	v_cmp_ne_u32_e32 vcc, 0, v8
	;; [unrolled: 10-line block ×3, first 2 shown]
	s_and_b64 s[4:5], vcc, s[4:5]
	v_cmp_lt_i32_e32 vcc, v11, v9
	v_cndmask_b32_e64 v10, 0, 1, s[4:5]
	s_nop 0
	v_cndmask_b32_e32 v9, v7, v11, vcc
	v_lshlrev_b32_e32 v9, 2, v9
	ds_bpermute_b32 v10, v9, v10
	s_and_saveexec_b64 s[14:15], s[0:1]
	s_cbranch_execz .LBB34_3
; %bb.131:                              ;   in Loop: Header=BB34_5 Depth=1
	s_waitcnt lgkmcnt(0)
	v_cmp_ne_u32_e32 vcc, 0, v10
	s_and_b64 s[4:5], vcc, s[4:5]
	v_cndmask_b32_e64 v10, 0, 1, s[4:5]
	ds_write_b32 v1, v10
	s_branch .LBB34_3
.LBB34_132:
	s_or_b64 exec, exec, s[12:13]
	v_cmp_eq_u32_e32 vcc, 0, v0
	s_and_saveexec_b64 s[0:1], vcc
	s_cbranch_execz .LBB34_134
; %bb.133:
	s_mul_i32 s0, s33, s3
	s_add_i32 s0, s0, s2
	s_ashr_i32 s1, s0, 31
	s_lshl_b64 s[0:1], s[0:1], 2
	s_add_u32 s0, s6, s0
	s_addc_u32 s1, s7, s1
	v_mov_b32_e32 v0, 0
	global_store_dword v0, v2, s[0:1]
.LBB34_134:
	s_endpgm
	.section	.rodata,"a",@progbits
	.p2align	6, 0x0
	.amdhsa_kernel _ZL25flash_attn_mask_to_KV_maxILi32EEvPK7__half2Piiii
		.amdhsa_group_segment_fixed_size 128
		.amdhsa_private_segment_fixed_size 0
		.amdhsa_kernarg_size 288
		.amdhsa_user_sgpr_count 2
		.amdhsa_user_sgpr_dispatch_ptr 0
		.amdhsa_user_sgpr_queue_ptr 0
		.amdhsa_user_sgpr_kernarg_segment_ptr 1
		.amdhsa_user_sgpr_dispatch_id 0
		.amdhsa_user_sgpr_kernarg_preload_length 0
		.amdhsa_user_sgpr_kernarg_preload_offset 0
		.amdhsa_user_sgpr_private_segment_size 0
		.amdhsa_uses_dynamic_stack 0
		.amdhsa_enable_private_segment 0
		.amdhsa_system_sgpr_workgroup_id_x 1
		.amdhsa_system_sgpr_workgroup_id_y 1
		.amdhsa_system_sgpr_workgroup_id_z 0
		.amdhsa_system_sgpr_workgroup_info 0
		.amdhsa_system_vgpr_workitem_id 0
		.amdhsa_next_free_vgpr 13
		.amdhsa_next_free_sgpr 100
		.amdhsa_accum_offset 16
		.amdhsa_reserve_vcc 1
		.amdhsa_float_round_mode_32 0
		.amdhsa_float_round_mode_16_64 0
		.amdhsa_float_denorm_mode_32 3
		.amdhsa_float_denorm_mode_16_64 3
		.amdhsa_dx10_clamp 1
		.amdhsa_ieee_mode 1
		.amdhsa_fp16_overflow 0
		.amdhsa_tg_split 0
		.amdhsa_exception_fp_ieee_invalid_op 0
		.amdhsa_exception_fp_denorm_src 0
		.amdhsa_exception_fp_ieee_div_zero 0
		.amdhsa_exception_fp_ieee_overflow 0
		.amdhsa_exception_fp_ieee_underflow 0
		.amdhsa_exception_fp_ieee_inexact 0
		.amdhsa_exception_int_div_zero 0
	.end_amdhsa_kernel
	.section	.text._ZL25flash_attn_mask_to_KV_maxILi32EEvPK7__half2Piiii,"axG",@progbits,_ZL25flash_attn_mask_to_KV_maxILi32EEvPK7__half2Piiii,comdat
.Lfunc_end34:
	.size	_ZL25flash_attn_mask_to_KV_maxILi32EEvPK7__half2Piiii, .Lfunc_end34-_ZL25flash_attn_mask_to_KV_maxILi32EEvPK7__half2Piiii
                                        ; -- End function
	.set _ZL25flash_attn_mask_to_KV_maxILi32EEvPK7__half2Piiii.num_vgpr, 13
	.set _ZL25flash_attn_mask_to_KV_maxILi32EEvPK7__half2Piiii.num_agpr, 0
	.set _ZL25flash_attn_mask_to_KV_maxILi32EEvPK7__half2Piiii.numbered_sgpr, 100
	.set _ZL25flash_attn_mask_to_KV_maxILi32EEvPK7__half2Piiii.num_named_barrier, 0
	.set _ZL25flash_attn_mask_to_KV_maxILi32EEvPK7__half2Piiii.private_seg_size, 0
	.set _ZL25flash_attn_mask_to_KV_maxILi32EEvPK7__half2Piiii.uses_vcc, 1
	.set _ZL25flash_attn_mask_to_KV_maxILi32EEvPK7__half2Piiii.uses_flat_scratch, 0
	.set _ZL25flash_attn_mask_to_KV_maxILi32EEvPK7__half2Piiii.has_dyn_sized_stack, 0
	.set _ZL25flash_attn_mask_to_KV_maxILi32EEvPK7__half2Piiii.has_recursion, 0
	.set _ZL25flash_attn_mask_to_KV_maxILi32EEvPK7__half2Piiii.has_indirect_call, 0
	.section	.AMDGPU.csdata,"",@progbits
; Kernel info:
; codeLenInByte = 4080
; TotalNumSgprs: 106
; NumVgprs: 13
; NumAgprs: 0
; TotalNumVgprs: 13
; ScratchSize: 0
; MemoryBound: 0
; FloatMode: 240
; IeeeMode: 1
; LDSByteSize: 128 bytes/workgroup (compile time only)
; SGPRBlocks: 13
; VGPRBlocks: 1
; NumSGPRsForWavesPerEU: 106
; NumVGPRsForWavesPerEU: 13
; AccumOffset: 16
; Occupancy: 7
; WaveLimiterHint : 0
; COMPUTE_PGM_RSRC2:SCRATCH_EN: 0
; COMPUTE_PGM_RSRC2:USER_SGPR: 2
; COMPUTE_PGM_RSRC2:TRAP_HANDLER: 0
; COMPUTE_PGM_RSRC2:TGID_X_EN: 1
; COMPUTE_PGM_RSRC2:TGID_Y_EN: 1
; COMPUTE_PGM_RSRC2:TGID_Z_EN: 0
; COMPUTE_PGM_RSRC2:TIDIG_COMP_CNT: 0
; COMPUTE_PGM_RSRC3_GFX90A:ACCUM_OFFSET: 3
; COMPUTE_PGM_RSRC3_GFX90A:TG_SPLIT: 0
	.section	.text._ZL33flash_attn_stream_k_fixup_uniformILi64ELi32ELi2EEvPfPK15HIP_vector_typeIfLj2EEiiiiiiS1_IjLj3EES5_S5_,"axG",@progbits,_ZL33flash_attn_stream_k_fixup_uniformILi64ELi32ELi2EEvPfPK15HIP_vector_typeIfLj2EEiiiiiiS1_IjLj3EES5_S5_,comdat
	.globl	_ZL33flash_attn_stream_k_fixup_uniformILi64ELi32ELi2EEvPfPK15HIP_vector_typeIfLj2EEiiiiiiS1_IjLj3EES5_S5_ ; -- Begin function _ZL33flash_attn_stream_k_fixup_uniformILi64ELi32ELi2EEvPfPK15HIP_vector_typeIfLj2EEiiiiiiS1_IjLj3EES5_S5_
	.p2align	8
	.type	_ZL33flash_attn_stream_k_fixup_uniformILi64ELi32ELi2EEvPfPK15HIP_vector_typeIfLj2EEiiiiiiS1_IjLj3EES5_S5_,@function
_ZL33flash_attn_stream_k_fixup_uniformILi64ELi32ELi2EEvPfPK15HIP_vector_typeIfLj2EEiiiiiiS1_IjLj3EES5_S5_: ; @_ZL33flash_attn_stream_k_fixup_uniformILi64ELi32ELi2EEvPfPK15HIP_vector_typeIfLj2EEiiiiiiS1_IjLj3EES5_S5_
; %bb.0:
	s_load_dwordx8 s[8:15], s[0:1], 0x1c
	s_load_dwordx2 s[6:7], s[0:1], 0x10
	s_load_dwordx4 s[20:23], s[0:1], 0x3c
	s_waitcnt lgkmcnt(0)
	s_mul_hi_u32 s5, s11, s2
	s_add_i32 s5, s2, s5
	s_lshr_b32 s5, s5, s12
	s_mul_i32 s11, s5, s13
	s_sub_i32 s11, s2, s11
	s_mul_hi_u32 s12, s11, s14
	s_add_i32 s12, s11, s12
	s_lshr_b32 s16, s12, s15
	s_mul_i32 s12, s16, s20
	s_sub_i32 s11, s11, s12
	;; [unrolled: 5-line block ×3, first 2 shown]
	s_lshl_b32 s11, s12, 1
	s_lshl_b32 s12, s17, 5
	s_add_i32 s12, s12, s3
	s_cmp_lt_i32 s12, s6
	s_cselect_b64 s[12:13], -1, 0
	s_add_i32 s14, s11, s4
	s_cmp_lt_i32 s14, s9
	s_cselect_b64 s[14:15], -1, 0
	s_and_b64 s[12:13], s[12:13], s[14:15]
	s_andn2_b64 vcc, exec, s[12:13]
	s_cbranch_vccnz .LBB35_6
; %bb.1:
	s_load_dwordx4 s[12:15], s[0:1], 0x0
	s_mul_i32 s0, s5, s6
	s_add_i32 s0, s0, s3
	s_mul_i32 s0, s0, s7
	s_mul_i32 s16, s16, s9
	s_add_i32 s0, s0, s4
	s_add_i32 s0, s0, s16
	s_mul_i32 s1, s7, s17
	s_add_i32 s0, s0, s11
	s_lshl_b32 s1, s1, 11
	s_lshl_b32 s0, s0, 6
	s_add_i32 s1, s1, s0
	v_or_b32_e32 v4, s1, v0
	s_waitcnt lgkmcnt(0)
	v_mov_b32_e32 v2, s12
	v_mov_b32_e32 v3, s13
	v_ashrrev_i32_e32 v5, 31, v4
	v_lshl_add_u64 v[2:3], v[4:5], 2, v[2:3]
	global_load_dword v5, v[2:3], off
	s_mul_i32 s5, s10, s2
	s_lshl_b32 s11, s3, 1
	s_add_i32 s9, s5, s10
	s_add_i32 s0, s11, s4
	s_lshl_b32 s1, s9, 6
	s_add_i32 s0, s0, s1
	s_sub_i32 s0, s0, 64
	s_ashr_i32 s1, s0, 31
	s_lshl_b64 s[0:1], s[0:1], 3
	s_add_u32 s0, s14, s0
	s_addc_u32 s1, s15, s1
	s_load_dword s12, s[0:1], 0x4
	s_add_i32 s6, s9, -2
	s_cmp_lt_i32 s6, s5
	s_cbranch_scc1 .LBB35_4
; %bb.2:
	s_lshl_b32 s6, s8, 8
	s_ashr_i32 s7, s6, 31
	s_lshl_b64 s[6:7], s[6:7], 2
	s_add_u32 s6, s14, s6
	s_addc_u32 s7, s15, s7
	s_add_i32 s2, s2, 1
	s_load_dword s0, s[0:1], 0x0
	s_mul_i32 s1, s10, s2
	s_lshl_b32 s3, s3, 7
	s_lshl_b32 s10, s4, 6
	;; [unrolled: 1-line block ×3, first 2 shown]
	s_add_i32 s3, s10, s3
	s_lshl_b32 s1, s1, 6
	s_add_i32 s3, s3, s2
	s_add_i32 s1, s4, s1
	s_lshl_b32 s2, s8, 6
	s_add_i32 s1, s1, s2
	v_or_b32_e32 v0, s3, v0
	s_add_i32 s1, s1, s11
	s_add_i32 s9, s9, -1
	v_add_u32_e32 v0, 0xffffe000, v0
	s_add_i32 s2, s1, 0xffffff80
	s_waitcnt lgkmcnt(0)
	v_mov_b32_e32 v7, s0
	v_mov_b32_e32 v4, s12
	s_mov_b32 s4, 0x3fb8aa3b
	s_mov_b32 s8, 0xc2ce8ed0
	;; [unrolled: 1-line block ×3, first 2 shown]
	v_mov_b32_e32 v6, 0x7f800000
	s_mov_b32 s11, 0xc1a00000
.LBB35_3:                               ; =>This Inner Loop Header: Depth=1
	v_ashrrev_i32_e32 v1, 31, v0
	v_lshl_add_u64 v[8:9], v[0:1], 2, s[6:7]
	global_load_dword v9, v[8:9], off
	s_ashr_i32 s3, s2, 31
	s_lshl_b64 s[0:1], s[2:3], 3
	s_add_u32 s0, s14, s0
	s_addc_u32 s1, s15, s1
	s_load_dwordx2 s[0:1], s[0:1], 0x0
	v_max_f32_e32 v1, v7, v7
	s_add_i32 s9, s9, -1
	s_sub_i32 s2, s2, 64
	v_add_u32_e32 v0, 0xfffff000, v0
	s_waitcnt lgkmcnt(0)
	v_max_f32_e64 v10, s0, s0
	v_max_f32_e32 v1, v1, v10
	v_sub_f32_e32 v11, s0, v1
	v_sub_f32_e32 v10, v7, v1
	v_mul_f32_e32 v12, 0x3fb8aa3b, v11
	v_mov_b32_e32 v7, v1
	v_mul_f32_e32 v1, 0x3fb8aa3b, v10
	v_fma_f32 v15, v11, s4, -v12
	v_rndne_f32_e32 v16, v12
	v_fma_f32 v13, v10, s4, -v1
	v_rndne_f32_e32 v14, v1
	v_fmac_f32_e32 v15, 0x32a5705f, v11
	v_sub_f32_e32 v12, v12, v16
	v_fmac_f32_e32 v13, 0x32a5705f, v10
	v_sub_f32_e32 v1, v1, v14
	v_add_f32_e32 v12, v12, v15
	v_cvt_i32_f32_e32 v16, v16
	v_add_f32_e32 v1, v1, v13
	v_exp_f32_e32 v12, v12
	v_cvt_i32_f32_e32 v14, v14
	v_exp_f32_e32 v1, v1
	v_cmp_ngt_f32_e32 vcc, s8, v11
	v_ldexp_f32 v12, v12, v16
	v_mov_b32_e32 v8, s1
	v_ldexp_f32 v1, v1, v14
	v_cmp_ngt_f32_e64 s[0:1], s8, v10
	v_cndmask_b32_e32 v12, 0, v12, vcc
	v_cmp_nlt_f32_e32 vcc, s10, v11
	v_cndmask_b32_e64 v1, 0, v1, s[0:1]
	v_cmp_nlt_f32_e64 s[0:1], s10, v10
	v_cndmask_b32_e32 v12, v6, v12, vcc
	v_cmp_le_f32_e32 vcc, s11, v11
	v_cndmask_b32_e64 v1, v6, v1, s[0:1]
	v_cmp_le_f32_e64 s[0:1], s11, v10
	v_cndmask_b32_e32 v12, 0, v12, vcc
	s_cmp_le_i32 s9, s5
	v_cndmask_b32_e64 v10, 0, v1, s[0:1]
	s_waitcnt vmcnt(0)
	v_pk_mul_f32 v[8:9], v[8:9], v[12:13] op_sel_hi:[1,0]
	s_nop 0
	v_pk_fma_f32 v[4:5], v[4:5], v[10:11], v[8:9] op_sel_hi:[1,0,1]
	s_cbranch_scc0 .LBB35_3
	s_branch .LBB35_5
.LBB35_4:
	s_waitcnt lgkmcnt(0)
	v_mov_b32_e32 v4, s12
.LBB35_5:
	s_waitcnt vmcnt(0)
	v_div_scale_f32 v0, s[0:1], v4, v4, v5
	v_rcp_f32_e32 v1, v0
	v_div_scale_f32 v6, vcc, v5, v4, v5
	v_fma_f32 v7, -v0, v1, 1.0
	v_fmac_f32_e32 v1, v7, v1
	v_mul_f32_e32 v7, v6, v1
	v_fma_f32 v8, -v0, v7, v6
	v_fmac_f32_e32 v7, v8, v1
	v_fma_f32 v0, -v0, v7, v6
	v_div_fmas_f32 v0, v0, v1, v7
	v_div_fixup_f32 v0, v0, v4, v5
	global_store_dword v[2:3], v0, off
.LBB35_6:
	s_endpgm
	.section	.rodata,"a",@progbits
	.p2align	6, 0x0
	.amdhsa_kernel _ZL33flash_attn_stream_k_fixup_uniformILi64ELi32ELi2EEvPfPK15HIP_vector_typeIfLj2EEiiiiiiS1_IjLj3EES5_S5_
		.amdhsa_group_segment_fixed_size 0
		.amdhsa_private_segment_fixed_size 0
		.amdhsa_kernarg_size 76
		.amdhsa_user_sgpr_count 2
		.amdhsa_user_sgpr_dispatch_ptr 0
		.amdhsa_user_sgpr_queue_ptr 0
		.amdhsa_user_sgpr_kernarg_segment_ptr 1
		.amdhsa_user_sgpr_dispatch_id 0
		.amdhsa_user_sgpr_kernarg_preload_length 0
		.amdhsa_user_sgpr_kernarg_preload_offset 0
		.amdhsa_user_sgpr_private_segment_size 0
		.amdhsa_uses_dynamic_stack 0
		.amdhsa_enable_private_segment 0
		.amdhsa_system_sgpr_workgroup_id_x 1
		.amdhsa_system_sgpr_workgroup_id_y 1
		.amdhsa_system_sgpr_workgroup_id_z 1
		.amdhsa_system_sgpr_workgroup_info 0
		.amdhsa_system_vgpr_workitem_id 0
		.amdhsa_next_free_vgpr 17
		.amdhsa_next_free_sgpr 24
		.amdhsa_accum_offset 20
		.amdhsa_reserve_vcc 1
		.amdhsa_float_round_mode_32 0
		.amdhsa_float_round_mode_16_64 0
		.amdhsa_float_denorm_mode_32 3
		.amdhsa_float_denorm_mode_16_64 3
		.amdhsa_dx10_clamp 1
		.amdhsa_ieee_mode 1
		.amdhsa_fp16_overflow 0
		.amdhsa_tg_split 0
		.amdhsa_exception_fp_ieee_invalid_op 0
		.amdhsa_exception_fp_denorm_src 0
		.amdhsa_exception_fp_ieee_div_zero 0
		.amdhsa_exception_fp_ieee_overflow 0
		.amdhsa_exception_fp_ieee_underflow 0
		.amdhsa_exception_fp_ieee_inexact 0
		.amdhsa_exception_int_div_zero 0
	.end_amdhsa_kernel
	.section	.text._ZL33flash_attn_stream_k_fixup_uniformILi64ELi32ELi2EEvPfPK15HIP_vector_typeIfLj2EEiiiiiiS1_IjLj3EES5_S5_,"axG",@progbits,_ZL33flash_attn_stream_k_fixup_uniformILi64ELi32ELi2EEvPfPK15HIP_vector_typeIfLj2EEiiiiiiS1_IjLj3EES5_S5_,comdat
.Lfunc_end35:
	.size	_ZL33flash_attn_stream_k_fixup_uniformILi64ELi32ELi2EEvPfPK15HIP_vector_typeIfLj2EEiiiiiiS1_IjLj3EES5_S5_, .Lfunc_end35-_ZL33flash_attn_stream_k_fixup_uniformILi64ELi32ELi2EEvPfPK15HIP_vector_typeIfLj2EEiiiiiiS1_IjLj3EES5_S5_
                                        ; -- End function
	.set _ZL33flash_attn_stream_k_fixup_uniformILi64ELi32ELi2EEvPfPK15HIP_vector_typeIfLj2EEiiiiiiS1_IjLj3EES5_S5_.num_vgpr, 17
	.set _ZL33flash_attn_stream_k_fixup_uniformILi64ELi32ELi2EEvPfPK15HIP_vector_typeIfLj2EEiiiiiiS1_IjLj3EES5_S5_.num_agpr, 0
	.set _ZL33flash_attn_stream_k_fixup_uniformILi64ELi32ELi2EEvPfPK15HIP_vector_typeIfLj2EEiiiiiiS1_IjLj3EES5_S5_.numbered_sgpr, 24
	.set _ZL33flash_attn_stream_k_fixup_uniformILi64ELi32ELi2EEvPfPK15HIP_vector_typeIfLj2EEiiiiiiS1_IjLj3EES5_S5_.num_named_barrier, 0
	.set _ZL33flash_attn_stream_k_fixup_uniformILi64ELi32ELi2EEvPfPK15HIP_vector_typeIfLj2EEiiiiiiS1_IjLj3EES5_S5_.private_seg_size, 0
	.set _ZL33flash_attn_stream_k_fixup_uniformILi64ELi32ELi2EEvPfPK15HIP_vector_typeIfLj2EEiiiiiiS1_IjLj3EES5_S5_.uses_vcc, 1
	.set _ZL33flash_attn_stream_k_fixup_uniformILi64ELi32ELi2EEvPfPK15HIP_vector_typeIfLj2EEiiiiiiS1_IjLj3EES5_S5_.uses_flat_scratch, 0
	.set _ZL33flash_attn_stream_k_fixup_uniformILi64ELi32ELi2EEvPfPK15HIP_vector_typeIfLj2EEiiiiiiS1_IjLj3EES5_S5_.has_dyn_sized_stack, 0
	.set _ZL33flash_attn_stream_k_fixup_uniformILi64ELi32ELi2EEvPfPK15HIP_vector_typeIfLj2EEiiiiiiS1_IjLj3EES5_S5_.has_recursion, 0
	.set _ZL33flash_attn_stream_k_fixup_uniformILi64ELi32ELi2EEvPfPK15HIP_vector_typeIfLj2EEiiiiiiS1_IjLj3EES5_S5_.has_indirect_call, 0
	.section	.AMDGPU.csdata,"",@progbits
; Kernel info:
; codeLenInByte = 840
; TotalNumSgprs: 30
; NumVgprs: 17
; NumAgprs: 0
; TotalNumVgprs: 17
; ScratchSize: 0
; MemoryBound: 0
; FloatMode: 240
; IeeeMode: 1
; LDSByteSize: 0 bytes/workgroup (compile time only)
; SGPRBlocks: 3
; VGPRBlocks: 2
; NumSGPRsForWavesPerEU: 30
; NumVGPRsForWavesPerEU: 17
; AccumOffset: 20
; Occupancy: 8
; WaveLimiterHint : 0
; COMPUTE_PGM_RSRC2:SCRATCH_EN: 0
; COMPUTE_PGM_RSRC2:USER_SGPR: 2
; COMPUTE_PGM_RSRC2:TRAP_HANDLER: 0
; COMPUTE_PGM_RSRC2:TGID_X_EN: 1
; COMPUTE_PGM_RSRC2:TGID_Y_EN: 1
; COMPUTE_PGM_RSRC2:TGID_Z_EN: 1
; COMPUTE_PGM_RSRC2:TIDIG_COMP_CNT: 0
; COMPUTE_PGM_RSRC3_GFX90A:ACCUM_OFFSET: 4
; COMPUTE_PGM_RSRC3_GFX90A:TG_SPLIT: 0
	.section	.text._ZL33flash_attn_stream_k_fixup_generalILi64ELi32ELi2EEvPfPK15HIP_vector_typeIfLj2EEiiiiS1_IjLj3EES5_S5_S5_,"axG",@progbits,_ZL33flash_attn_stream_k_fixup_generalILi64ELi32ELi2EEvPfPK15HIP_vector_typeIfLj2EEiiiiS1_IjLj3EES5_S5_S5_,comdat
	.globl	_ZL33flash_attn_stream_k_fixup_generalILi64ELi32ELi2EEvPfPK15HIP_vector_typeIfLj2EEiiiiS1_IjLj3EES5_S5_S5_ ; -- Begin function _ZL33flash_attn_stream_k_fixup_generalILi64ELi32ELi2EEvPfPK15HIP_vector_typeIfLj2EEiiiiS1_IjLj3EES5_S5_S5_
	.p2align	8
	.type	_ZL33flash_attn_stream_k_fixup_generalILi64ELi32ELi2EEvPfPK15HIP_vector_typeIfLj2EEiiiiS1_IjLj3EES5_S5_S5_,@function
_ZL33flash_attn_stream_k_fixup_generalILi64ELi32ELi2EEvPfPK15HIP_vector_typeIfLj2EEiiiiS1_IjLj3EES5_S5_S5_: ; @_ZL33flash_attn_stream_k_fixup_generalILi64ELi32ELi2EEvPfPK15HIP_vector_typeIfLj2EEiiiiS1_IjLj3EES5_S5_S5_
; %bb.0:
	s_load_dwordx4 s[8:11], s[0:1], 0x10
	s_load_dword s22, s[0:1], 0x50
	s_mov_b32 s12, 0
	s_waitcnt lgkmcnt(0)
	s_mul_hi_i32 s13, s11, s2
	s_cmp_lg_u64 s[12:13], 0
	s_mul_i32 s5, s11, s2
	s_cbranch_scc0 .LBB36_20
; %bb.1:
	s_add_u32 s6, s22, 0
	s_addc_u32 s7, 0, 0
	s_xor_b64 s[6:7], s[6:7], 0
	v_cvt_f32_u32_e32 v1, s6
	v_cvt_f32_u32_e32 v2, s7
	s_sub_u32 s12, 0, s6
	s_subb_u32 s18, 0, s7
	v_fmamk_f32 v1, v2, 0x4f800000, v1
	v_rcp_f32_e32 v1, v1
	s_nop 0
	v_mul_f32_e32 v1, 0x5f7ffffc, v1
	v_mul_f32_e32 v2, 0x2f800000, v1
	v_trunc_f32_e32 v2, v2
	v_fmamk_f32 v1, v2, 0xcf800000, v1
	v_cvt_u32_f32_e32 v2, v2
	v_cvt_u32_f32_e32 v1, v1
	v_readfirstlane_b32 s19, v2
	v_readfirstlane_b32 s14, v1
	s_mul_i32 s15, s12, s19
	s_mul_hi_u32 s21, s12, s14
	s_mul_i32 s20, s18, s14
	s_add_i32 s15, s21, s15
	s_add_i32 s15, s15, s20
	s_mul_i32 s23, s12, s14
	s_mul_i32 s21, s14, s15
	s_mul_hi_u32 s24, s14, s23
	s_mul_hi_u32 s20, s14, s15
	s_add_u32 s21, s24, s21
	s_addc_u32 s20, 0, s20
	s_mul_hi_u32 s25, s19, s23
	s_mul_i32 s23, s19, s23
	s_add_u32 s21, s21, s23
	s_mul_hi_u32 s24, s19, s15
	s_addc_u32 s20, s20, s25
	s_addc_u32 s21, s24, 0
	s_mul_i32 s15, s19, s15
	s_add_u32 s15, s20, s15
	s_addc_u32 s20, 0, s21
	s_add_u32 s21, s14, s15
	s_cselect_b64 s[14:15], -1, 0
	s_cmp_lg_u64 s[14:15], 0
	s_addc_u32 s19, s19, s20
	s_mul_i32 s14, s12, s19
	s_mul_hi_u32 s15, s12, s21
	s_add_i32 s14, s15, s14
	s_mul_i32 s18, s18, s21
	s_add_i32 s14, s14, s18
	s_mul_i32 s12, s12, s21
	s_mul_hi_u32 s18, s19, s12
	s_mul_i32 s20, s19, s12
	s_mul_i32 s24, s21, s14
	s_mul_hi_u32 s12, s21, s12
	s_mul_hi_u32 s23, s21, s14
	s_add_u32 s12, s12, s24
	s_addc_u32 s23, 0, s23
	s_add_u32 s12, s12, s20
	s_mul_hi_u32 s15, s19, s14
	s_addc_u32 s12, s23, s18
	s_addc_u32 s15, s15, 0
	s_mul_i32 s14, s19, s14
	s_add_u32 s12, s12, s14
	s_addc_u32 s18, 0, s15
	s_add_u32 s20, s21, s12
	s_cselect_b64 s[14:15], -1, 0
	s_cmp_lg_u64 s[14:15], 0
	s_addc_u32 s18, s19, s18
	s_ashr_i32 s14, s13, 31
	s_add_u32 s12, s5, s14
	s_mov_b32 s15, s14
	s_addc_u32 s13, s13, s14
	s_xor_b64 s[12:13], s[12:13], s[14:15]
	s_mul_i32 s21, s12, s18
	s_mul_hi_u32 s23, s12, s20
	s_mul_hi_u32 s19, s12, s18
	s_add_u32 s21, s23, s21
	s_addc_u32 s19, 0, s19
	s_mul_hi_u32 s24, s13, s20
	s_mul_i32 s20, s13, s20
	s_add_u32 s20, s21, s20
	s_mul_hi_u32 s23, s13, s18
	s_addc_u32 s19, s19, s24
	s_addc_u32 s20, s23, 0
	s_mul_i32 s18, s13, s18
	s_add_u32 s23, s19, s18
	s_addc_u32 s24, 0, s20
	s_mul_i32 s18, s6, s24
	s_mul_hi_u32 s19, s6, s23
	s_add_i32 s18, s19, s18
	s_mul_i32 s19, s7, s23
	s_add_i32 s25, s18, s19
	s_sub_i32 s20, s13, s25
	s_mul_i32 s18, s6, s23
	s_sub_u32 s12, s12, s18
	s_cselect_b64 s[18:19], -1, 0
	s_cmp_lg_u64 s[18:19], 0
	s_subb_u32 s26, s20, s7
	s_sub_u32 s27, s12, s6
	s_cselect_b64 s[20:21], -1, 0
	s_cmp_lg_u64 s[20:21], 0
	s_subb_u32 s20, s26, 0
	s_cmp_ge_u32 s20, s7
	s_cselect_b32 s21, -1, 0
	s_cmp_ge_u32 s27, s6
	s_cselect_b32 s26, -1, 0
	s_cmp_eq_u32 s20, s7
	s_cselect_b32 s20, s26, s21
	s_add_u32 s21, s23, 1
	s_addc_u32 s26, s24, 0
	s_add_u32 s27, s23, 2
	s_addc_u32 s28, s24, 0
	s_cmp_lg_u32 s20, 0
	s_cselect_b32 s20, s27, s21
	s_cselect_b32 s21, s28, s26
	s_cmp_lg_u64 s[18:19], 0
	s_subb_u32 s13, s13, s25
	s_cmp_ge_u32 s13, s7
	s_cselect_b32 s18, -1, 0
	s_cmp_ge_u32 s12, s6
	s_cselect_b32 s6, -1, 0
	s_cmp_eq_u32 s13, s7
	s_cselect_b32 s6, s6, s18
	s_cmp_lg_u32 s6, 0
	s_cselect_b32 s7, s21, s24
	s_cselect_b32 s6, s20, s23
	s_xor_b64 s[12:13], s[14:15], 0
	s_xor_b64 s[6:7], s[6:7], s[12:13]
	s_sub_u32 s6, s6, s12
	s_load_dwordx4 s[12:15], s[0:1], 0x44
	s_cbranch_execnz .LBB36_3
.LBB36_2:
	v_cvt_f32_u32_e32 v1, s22
	s_sub_i32 s6, 0, s22
	v_rcp_iflag_f32_e32 v1, v1
	s_nop 0
	v_mul_f32_e32 v1, 0x4f7ffffe, v1
	v_cvt_u32_f32_e32 v1, v1
	s_nop 0
	v_readfirstlane_b32 s7, v1
	s_mul_i32 s6, s6, s7
	s_mul_hi_u32 s6, s7, s6
	s_add_i32 s7, s7, s6
	s_mul_hi_u32 s6, s5, s7
	s_waitcnt lgkmcnt(0)
	s_mul_i32 s15, s6, s22
	s_sub_i32 s5, s5, s15
	s_add_i32 s7, s6, 1
	s_sub_i32 s15, s5, s22
	s_cmp_ge_u32 s5, s22
	s_cselect_b32 s6, s7, s6
	s_cselect_b32 s5, s15, s5
	s_add_i32 s7, s6, 1
	s_cmp_ge_u32 s5, s22
	s_cselect_b32 s6, s7, s6
.LBB36_3:
	s_add_i32 s5, s2, 1
	s_mul_hi_i32 s21, s11, s5
	s_mov_b32 s20, 0
	s_cmp_lg_u64 s[20:21], 0
	s_mul_i32 s5, s11, s5
	s_cbranch_scc0 .LBB36_21
; %bb.4:
	s_add_u32 s16, s22, 0
	s_addc_u32 s17, 0, 0
	s_xor_b64 s[18:19], s[16:17], 0
	v_cvt_f32_u32_e32 v1, s18
	v_cvt_f32_u32_e32 v2, s19
	s_sub_u32 s7, 0, s18
	s_waitcnt lgkmcnt(0)
	s_subb_u32 s15, 0, s19
	v_fmamk_f32 v1, v2, 0x4f800000, v1
	v_rcp_f32_e32 v1, v1
	s_nop 0
	v_mul_f32_e32 v1, 0x5f7ffffc, v1
	v_mul_f32_e32 v2, 0x2f800000, v1
	v_trunc_f32_e32 v2, v2
	v_fmamk_f32 v1, v2, 0xcf800000, v1
	v_cvt_u32_f32_e32 v2, v2
	v_cvt_u32_f32_e32 v1, v1
	v_readfirstlane_b32 s20, v2
	v_readfirstlane_b32 s23, v1
	s_mul_i32 s24, s7, s20
	s_mul_hi_u32 s26, s7, s23
	s_mul_i32 s25, s15, s23
	s_add_i32 s24, s26, s24
	s_add_i32 s24, s24, s25
	s_mul_i32 s27, s7, s23
	s_mul_i32 s26, s23, s24
	s_mul_hi_u32 s28, s23, s27
	s_mul_hi_u32 s25, s23, s24
	s_add_u32 s26, s28, s26
	s_addc_u32 s25, 0, s25
	s_mul_hi_u32 s29, s20, s27
	s_mul_i32 s27, s20, s27
	s_add_u32 s26, s26, s27
	s_mul_hi_u32 s28, s20, s24
	s_addc_u32 s25, s25, s29
	s_addc_u32 s26, s28, 0
	s_mul_i32 s24, s20, s24
	s_add_u32 s24, s25, s24
	s_addc_u32 s26, 0, s26
	s_add_u32 s23, s23, s24
	s_cselect_b64 s[24:25], -1, 0
	s_cmp_lg_u64 s[24:25], 0
	s_addc_u32 s20, s20, s26
	s_mul_i32 s24, s7, s20
	s_mul_hi_u32 s25, s7, s23
	s_add_i32 s24, s25, s24
	s_mul_i32 s15, s15, s23
	s_add_i32 s24, s24, s15
	s_mul_i32 s7, s7, s23
	s_mul_hi_u32 s25, s20, s7
	s_mul_i32 s26, s20, s7
	s_mul_i32 s28, s23, s24
	s_mul_hi_u32 s7, s23, s7
	s_mul_hi_u32 s27, s23, s24
	s_add_u32 s7, s7, s28
	s_addc_u32 s27, 0, s27
	s_add_u32 s7, s7, s26
	s_mul_hi_u32 s15, s20, s24
	s_addc_u32 s7, s27, s25
	s_addc_u32 s15, s15, 0
	s_mul_i32 s24, s20, s24
	s_add_u32 s7, s7, s24
	s_addc_u32 s15, 0, s15
	s_add_u32 s7, s23, s7
	s_cselect_b64 s[24:25], -1, 0
	s_cmp_lg_u64 s[24:25], 0
	s_addc_u32 s15, s20, s15
	s_ashr_i32 s24, s21, 31
	s_add_u32 s20, s5, s24
	s_mov_b32 s25, s24
	s_addc_u32 s21, s21, s24
	s_xor_b64 s[20:21], s[20:21], s[24:25]
	s_mul_i32 s26, s20, s15
	s_mul_hi_u32 s27, s20, s7
	s_mul_hi_u32 s23, s20, s15
	s_add_u32 s26, s27, s26
	s_addc_u32 s23, 0, s23
	s_mul_hi_u32 s28, s21, s7
	s_mul_i32 s7, s21, s7
	s_add_u32 s7, s26, s7
	s_mul_hi_u32 s27, s21, s15
	s_addc_u32 s7, s23, s28
	s_addc_u32 s23, s27, 0
	s_mul_i32 s15, s21, s15
	s_add_u32 s7, s7, s15
	s_addc_u32 s15, 0, s23
	s_mul_i32 s23, s18, s15
	s_mul_hi_u32 s26, s18, s7
	s_add_i32 s23, s26, s23
	s_mul_i32 s26, s19, s7
	s_add_i32 s23, s23, s26
	s_sub_i32 s28, s21, s23
	s_mul_i32 s26, s18, s7
	s_sub_u32 s20, s20, s26
	s_cselect_b64 s[26:27], -1, 0
	s_cmp_lg_u64 s[26:27], 0
	s_subb_u32 s30, s28, s19
	s_sub_u32 s31, s20, s18
	s_cselect_b64 s[28:29], -1, 0
	s_cmp_lg_u64 s[28:29], 0
	s_subb_u32 s28, s30, 0
	s_cmp_ge_u32 s28, s19
	s_cselect_b32 s29, -1, 0
	s_cmp_ge_u32 s31, s18
	s_cselect_b32 s30, -1, 0
	s_cmp_eq_u32 s28, s19
	s_cselect_b32 s28, s30, s29
	s_add_u32 s29, s7, 1
	s_addc_u32 s30, s15, 0
	s_add_u32 s31, s7, 2
	s_addc_u32 s33, s15, 0
	s_cmp_lg_u32 s28, 0
	s_cselect_b32 s28, s31, s29
	s_cselect_b32 s29, s33, s30
	s_cmp_lg_u64 s[26:27], 0
	s_subb_u32 s21, s21, s23
	s_cmp_ge_u32 s21, s19
	s_cselect_b32 s23, -1, 0
	s_cmp_ge_u32 s20, s18
	s_cselect_b32 s18, -1, 0
	s_cmp_eq_u32 s21, s19
	s_cselect_b32 s18, s18, s23
	s_cmp_lg_u32 s18, 0
	s_cselect_b32 s19, s29, s15
	s_cselect_b32 s18, s28, s7
	s_xor_b64 s[20:21], s[24:25], 0
	s_xor_b64 s[18:19], s[18:19], s[20:21]
	s_sub_u32 s18, s18, s20
	s_cbranch_execnz .LBB36_6
.LBB36_5:
	v_cvt_f32_u32_e32 v1, s22
	s_sub_i32 s7, 0, s22
	v_rcp_iflag_f32_e32 v1, v1
	s_nop 0
	v_mul_f32_e32 v1, 0x4f7ffffe, v1
	v_cvt_u32_f32_e32 v1, v1
	s_waitcnt lgkmcnt(0)
	v_readfirstlane_b32 s15, v1
	s_mul_i32 s7, s7, s15
	s_mul_hi_u32 s7, s15, s7
	s_add_i32 s15, s15, s7
	s_mul_hi_u32 s7, s5, s15
	s_mul_i32 s16, s7, s22
	s_sub_i32 s5, s5, s16
	s_add_i32 s15, s7, 1
	s_sub_i32 s16, s5, s22
	s_cmp_ge_u32 s5, s22
	s_cselect_b32 s7, s15, s7
	s_cselect_b32 s5, s16, s5
	s_add_i32 s15, s7, 1
	s_cmp_ge_u32 s5, s22
	s_cselect_b32 s18, s15, s7
.LBB36_6:
	s_cmp_eq_u32 s6, s18
	s_waitcnt lgkmcnt(0)
	s_mul_hi_u32 s5, s6, s12
	s_cselect_b64 s[16:17], -1, 0
	s_add_i32 s5, s5, s6
	s_lshr_b32 s7, s5, s13
	s_mul_i32 s5, s7, s14
	s_cmp_eq_u32 s5, s6
	s_mul_hi_u32 s5, s18, s12
	s_cselect_b64 s[20:21], -1, 0
	s_add_i32 s5, s5, s18
	s_lshr_b32 s5, s5, s13
	s_cmp_eq_u32 s7, s5
	s_mul_i32 s5, s5, s14
	s_cselect_b64 s[24:25], -1, 0
	s_cmp_lg_u32 s5, s18
	s_cselect_b64 s[18:19], -1, 0
	s_and_b64 s[18:19], s[24:25], s[18:19]
	s_or_b64 s[16:17], s[16:17], s[20:21]
	s_or_b64 s[16:17], s[16:17], s[18:19]
	s_and_b64 vcc, exec, s[16:17]
	s_cbranch_vccnz .LBB36_23
; %bb.7:
	s_load_dwordx8 s[24:31], s[0:1], 0x20
	s_load_dword s15, s[0:1], 0x40
	s_waitcnt lgkmcnt(0)
	s_mul_hi_u32 s5, s6, s24
	s_add_i32 s5, s5, s6
	s_lshr_b32 s5, s5, s25
	s_mul_i32 s16, s5, s26
	s_sub_i32 s16, s6, s16
	s_mul_hi_u32 s17, s16, s27
	s_add_i32 s17, s16, s17
	s_lshr_b32 s20, s17, s28
	s_mul_i32 s17, s20, s29
	s_sub_i32 s16, s16, s17
	;; [unrolled: 5-line block ×3, first 2 shown]
	s_mul_hi_u32 s16, s15, s12
	s_add_i32 s15, s15, s16
	s_lshr_b32 s23, s15, s13
	s_lshl_b32 s15, s23, 5
	s_lshl_b32 s21, s17, 1
	s_add_i32 s15, s15, s3
	s_cmp_lt_i32 s15, s8
	s_cselect_b64 s[16:17], -1, 0
	s_add_i32 s15, s21, s4
	s_cmp_lt_i32 s15, s10
	s_cselect_b64 s[18:19], -1, 0
	s_and_b64 s[16:17], s[16:17], s[18:19]
	s_andn2_b64 vcc, exec, s[16:17]
	s_cbranch_vccnz .LBB36_23
; %bb.8:
	s_load_dwordx4 s[16:19], s[0:1], 0x0
	s_mov_b32 s0, 0
	s_lshl_b32 s15, s3, 1
	s_lshl_b32 s24, s22, 8
	s_mov_b32 s25, s0
	s_add_i32 s15, s15, s4
	s_waitcnt lgkmcnt(0)
	v_mov_b32_e32 v2, s16
	v_mov_b32_e32 v3, s17
	s_lshl_b64 s[16:17], s[24:25], 2
	s_add_u32 s16, s18, s16
	s_mul_i32 s1, s5, s8
	s_addc_u32 s17, s19, s17
	s_add_i32 s1, s1, s3
	s_mul_i32 s1, s1, s9
	s_mul_i32 s20, s20, s10
	s_add_i32 s1, s1, s4
	s_add_i32 s1, s1, s20
	s_mul_i32 s5, s9, s23
	s_add_i32 s1, s1, s21
	s_lshl_b32 s5, s5, 11
	s_lshl_b32 s1, s1, 6
	s_add_i32 s5, s5, s1
	v_or_b32_e32 v4, s5, v0
	v_ashrrev_i32_e32 v5, 31, v4
	v_lshl_add_u64 v[2:3], v[4:5], 2, v[2:3]
	global_load_dword v1, v[2:3], off
	v_cvt_f32_u32_e32 v4, s22
	s_lshl_b32 s1, s2, 6
	s_add_i32 s4, s15, s1
	s_ashr_i32 s5, s4, 31
	s_lshl_b64 s[4:5], s[4:5], 3
	v_rcp_iflag_f32_e32 v4, v4
	s_add_u32 s4, s18, s4
	s_addc_u32 s5, s19, s5
	s_load_dwordx2 s[4:5], s[4:5], 0x0
	v_mul_f32_e32 v4, 0x4f7ffffe, v4
	v_cvt_u32_f32_e32 v7, v4
	s_add_i32 s24, s2, -1
	v_lshl_or_b32 v6, s15, 6, v0
	s_waitcnt lgkmcnt(0)
	v_mov_b32_e32 v0, s5
	v_mov_b32_e32 v9, s4
	s_mov_b32 s10, 0x3fb8aa3b
	s_mov_b32 s20, 0xc2ce8ed0
	;; [unrolled: 1-line block ×4, first 2 shown]
	v_mov_b32_e32 v8, 0x7f800000
	s_mul_hi_i32 s1, s24, s11
	s_cmp_lg_u64 s[0:1], 0
	s_mul_i32 s8, s24, s11
	s_cbranch_scc0 .LBB36_19
.LBB36_9:
	s_add_u32 s2, s22, 0
	s_addc_u32 s3, 0, 0
	s_xor_b64 s[2:3], s[2:3], 0
	v_cvt_f32_u32_e32 v4, s2
	v_cvt_f32_u32_e32 v5, s3
	s_sub_u32 s9, 0, s2
	s_subb_u32 s25, 0, s3
	v_fmac_f32_e32 v4, 0x4f800000, v5
	v_rcp_f32_e32 v4, v4
	s_nop 0
	v_mul_f32_e32 v4, 0x5f7ffffc, v4
	v_mul_f32_e32 v5, 0x2f800000, v4
	v_trunc_f32_e32 v5, v5
	v_fmac_f32_e32 v4, 0xcf800000, v5
	v_cvt_u32_f32_e32 v5, v5
	v_cvt_u32_f32_e32 v4, v4
	v_readfirstlane_b32 s26, v5
	v_readfirstlane_b32 s4, v4
	s_mul_i32 s5, s9, s26
	s_mul_hi_u32 s28, s9, s4
	s_mul_i32 s27, s25, s4
	s_add_i32 s5, s28, s5
	s_mul_i32 s29, s9, s4
	s_add_i32 s5, s5, s27
	s_mul_i32 s28, s4, s5
	s_mul_hi_u32 s30, s4, s29
	s_mul_hi_u32 s27, s4, s5
	s_add_u32 s28, s30, s28
	s_addc_u32 s27, 0, s27
	s_mul_hi_u32 s31, s26, s29
	s_mul_i32 s29, s26, s29
	s_add_u32 s28, s28, s29
	s_mul_hi_u32 s30, s26, s5
	s_addc_u32 s27, s27, s31
	s_addc_u32 s28, s30, 0
	s_mul_i32 s5, s26, s5
	s_add_u32 s5, s27, s5
	s_addc_u32 s27, 0, s28
	s_add_u32 s28, s4, s5
	s_cselect_b64 s[4:5], -1, 0
	s_cmp_lg_u64 s[4:5], 0
	s_addc_u32 s26, s26, s27
	s_mul_i32 s4, s9, s26
	s_mul_hi_u32 s5, s9, s28
	s_add_i32 s4, s5, s4
	s_mul_i32 s25, s25, s28
	s_add_i32 s4, s4, s25
	s_mul_i32 s9, s9, s28
	s_mul_hi_u32 s25, s26, s9
	s_mul_i32 s27, s26, s9
	s_mul_i32 s30, s28, s4
	s_mul_hi_u32 s9, s28, s9
	s_mul_hi_u32 s29, s28, s4
	s_add_u32 s9, s9, s30
	s_addc_u32 s29, 0, s29
	s_add_u32 s9, s9, s27
	s_mul_hi_u32 s5, s26, s4
	s_addc_u32 s9, s29, s25
	s_addc_u32 s5, s5, 0
	s_mul_i32 s4, s26, s4
	s_add_u32 s4, s9, s4
	s_addc_u32 s9, 0, s5
	s_add_u32 s25, s28, s4
	s_cselect_b64 s[4:5], -1, 0
	s_cmp_lg_u64 s[4:5], 0
	s_addc_u32 s9, s26, s9
	s_ashr_i32 s4, s1, 31
	s_add_u32 s26, s8, s4
	s_mov_b32 s5, s4
	s_addc_u32 s27, s1, s4
	s_xor_b64 s[26:27], s[26:27], s[4:5]
	s_mul_i32 s28, s26, s9
	s_mul_hi_u32 s29, s26, s25
	s_mul_hi_u32 s1, s26, s9
	s_add_u32 s28, s29, s28
	s_addc_u32 s1, 0, s1
	s_mul_hi_u32 s30, s27, s25
	s_mul_i32 s25, s27, s25
	s_add_u32 s25, s28, s25
	s_mul_hi_u32 s29, s27, s9
	s_addc_u32 s1, s1, s30
	s_addc_u32 s25, s29, 0
	s_mul_i32 s9, s27, s9
	s_add_u32 s1, s1, s9
	s_addc_u32 s9, 0, s25
	s_mul_i32 s25, s2, s9
	s_mul_hi_u32 s28, s2, s1
	s_add_i32 s25, s28, s25
	s_mul_i32 s28, s3, s1
	s_add_i32 s25, s25, s28
	s_sub_i32 s30, s27, s25
	s_mul_i32 s28, s2, s1
	s_sub_u32 s26, s26, s28
	s_cselect_b64 s[28:29], -1, 0
	s_cmp_lg_u64 s[28:29], 0
	s_subb_u32 s33, s30, s3
	s_sub_u32 s34, s26, s2
	s_cselect_b64 s[30:31], -1, 0
	s_cmp_lg_u64 s[30:31], 0
	s_subb_u32 s30, s33, 0
	s_cmp_ge_u32 s30, s3
	s_cselect_b32 s31, -1, 0
	s_cmp_ge_u32 s34, s2
	s_cselect_b32 s33, -1, 0
	s_cmp_eq_u32 s30, s3
	s_cselect_b32 s30, s33, s31
	s_add_u32 s31, s1, 1
	s_addc_u32 s33, s9, 0
	s_add_u32 s34, s1, 2
	s_addc_u32 s35, s9, 0
	s_cmp_lg_u32 s30, 0
	s_cselect_b32 s30, s34, s31
	s_cselect_b32 s31, s35, s33
	s_cmp_lg_u64 s[28:29], 0
	s_subb_u32 s25, s27, s25
	s_cmp_ge_u32 s25, s3
	s_cselect_b32 s27, -1, 0
	s_cmp_ge_u32 s26, s2
	s_cselect_b32 s2, -1, 0
	s_cmp_eq_u32 s25, s3
	s_cselect_b32 s2, s2, s27
	s_cmp_lg_u32 s2, 0
	s_cselect_b32 s3, s31, s9
	s_cselect_b32 s2, s30, s1
	s_xor_b64 s[4:5], s[4:5], 0
	s_xor_b64 s[2:3], s[2:3], s[4:5]
	s_sub_u32 s4, s2, s4
	s_cbranch_execnz .LBB36_11
.LBB36_10:
	s_sub_i32 s1, 0, s22
	v_readfirstlane_b32 s2, v7
	s_mul_i32 s1, s1, s2
	s_mul_hi_u32 s1, s2, s1
	s_add_i32 s2, s2, s1
	s_mul_hi_u32 s1, s8, s2
	s_mul_i32 s3, s1, s22
	s_sub_i32 s3, s8, s3
	s_add_i32 s2, s1, 1
	s_sub_i32 s4, s3, s22
	s_cmp_ge_u32 s3, s22
	s_cselect_b32 s1, s2, s1
	s_cselect_b32 s3, s4, s3
	s_add_i32 s2, s1, 1
	s_cmp_ge_u32 s3, s22
	s_cselect_b32 s4, s2, s1
.LBB36_11:
	s_cmp_lg_u32 s6, s4
	s_cbranch_scc0 .LBB36_15
; %bb.12:
	s_add_i32 s1, s24, s22
	s_lshl_b32 s1, s1, 6
	s_add_i32 s2, s1, s15
	s_mov_b32 s3, s0
	s_lshl_b64 s[2:3], s[2:3], 3
	s_add_u32 s8, s18, s2
	s_mul_hi_u32 s1, s4, s12
	s_addc_u32 s9, s19, s3
	s_add_i32 s1, s1, s4
	s_lshr_b32 s1, s1, s13
	s_mul_i32 s2, s1, s14
	s_cmp_eq_u32 s2, s4
	s_cselect_b64 s[2:3], -1, 0
	s_cmp_lt_u32 s1, s7
	s_cselect_b64 s[26:27], -1, 0
	s_or_b64 s[26:27], s[26:27], s[2:3]
	s_mov_b64 s[2:3], -1
	s_and_b64 vcc, exec, s[26:27]
	s_mov_b32 s1, s24
	s_mov_b32 s25, s6
	s_cbranch_vccnz .LBB36_14
; %bb.13:
	s_add_i32 s1, s24, -1
	s_mov_b64 s[2:3], 0
	s_mov_b32 s25, s4
.LBB36_14:
	v_lshl_add_u32 v4, s24, 12, v6
	v_ashrrev_i32_e32 v5, 31, v4
	v_lshl_add_u64 v[4:5], v[4:5], 2, s[16:17]
	global_load_dword v5, v[4:5], off
	s_load_dwordx2 s[4:5], s[8:9], 0x0
	v_max_f32_e32 v4, v9, v9
	s_waitcnt lgkmcnt(0)
	v_max_f32_e64 v10, s4, s4
	v_max_f32_e32 v10, v4, v10
	v_sub_f32_e32 v11, v9, v10
	v_sub_f32_e32 v13, s4, v10
	v_mul_f32_e32 v4, 0x3fb8aa3b, v11
	v_mul_f32_e32 v12, 0x3fb8aa3b, v13
	v_fma_f32 v14, v11, s10, -v4
	v_rndne_f32_e32 v15, v4
	v_fma_f32 v16, v13, s10, -v12
	v_rndne_f32_e32 v17, v12
	v_fmac_f32_e32 v14, 0x32a5705f, v11
	v_sub_f32_e32 v4, v4, v15
	v_fmac_f32_e32 v16, 0x32a5705f, v13
	v_sub_f32_e32 v12, v12, v17
	v_add_f32_e32 v4, v4, v14
	v_cvt_i32_f32_e32 v15, v15
	v_add_f32_e32 v12, v12, v16
	v_exp_f32_e32 v14, v4
	v_cvt_i32_f32_e32 v17, v17
	v_exp_f32_e32 v12, v12
	v_cmp_ngt_f32_e32 vcc, s20, v11
	v_ldexp_f32 v14, v14, v15
	v_mov_b32_e32 v4, s5
	v_ldexp_f32 v12, v12, v17
	v_cndmask_b32_e32 v14, 0, v14, vcc
	v_cmp_ngt_f32_e32 vcc, s20, v13
	s_nop 1
	v_cndmask_b32_e32 v12, 0, v12, vcc
	v_cmp_nlt_f32_e32 vcc, s21, v11
	s_nop 1
	v_cndmask_b32_e32 v14, v8, v14, vcc
	v_cmp_nlt_f32_e32 vcc, s21, v13
	s_nop 1
	v_cndmask_b32_e32 v15, v8, v12, vcc
	v_cmp_le_f32_e32 vcc, s23, v11
	s_nop 1
	v_cndmask_b32_e32 v12, 0, v14, vcc
	v_cmp_le_f32_e32 vcc, s23, v13
	s_nop 1
	v_cndmask_b32_e32 v14, 0, v15, vcc
	s_waitcnt vmcnt(0)
	v_pk_mul_f32 v[4:5], v[4:5], v[14:15] op_sel_hi:[1,0]
	s_nop 0
	v_pk_fma_f32 v[4:5], v[0:1], v[12:13], v[4:5] op_sel_hi:[1,0,1]
	s_cbranch_execz .LBB36_16
	s_branch .LBB36_17
.LBB36_15:
                                        ; implicit-def: $vgpr4_vgpr5
                                        ; implicit-def: $sgpr2_sgpr3
                                        ; implicit-def: $vgpr10
                                        ; implicit-def: $sgpr1
                                        ; implicit-def: $sgpr25
.LBB36_16:
	s_add_i32 s1, s24, -1
	s_mov_b64 s[2:3], 0
	s_mov_b32 s25, s6
	v_mov_b32_e32 v10, v9
	s_waitcnt vmcnt(0)
	v_mov_b64_e32 v[4:5], v[0:1]
.LBB36_17:
	s_andn2_b64 vcc, exec, s[2:3]
	s_cbranch_vccz .LBB36_22
; %bb.18:
	s_mov_b32 s6, s25
	s_mov_b32 s24, s1
	v_mov_b32_e32 v9, v10
	s_waitcnt vmcnt(0)
	v_mov_b64_e32 v[0:1], v[4:5]
	s_mul_hi_i32 s1, s24, s11
	s_cmp_lg_u64 s[0:1], 0
	s_mul_i32 s8, s24, s11
	s_cbranch_scc1 .LBB36_9
.LBB36_19:
                                        ; implicit-def: $sgpr4_sgpr5
	s_branch .LBB36_10
.LBB36_20:
                                        ; implicit-def: $sgpr6_sgpr7
	s_load_dwordx4 s[12:15], s[0:1], 0x44
	s_branch .LBB36_2
.LBB36_21:
                                        ; implicit-def: $sgpr18_sgpr19
	s_branch .LBB36_5
.LBB36_22:
	v_div_scale_f32 v0, s[0:1], v4, v4, v5
	s_waitcnt vmcnt(0)
	v_rcp_f32_e32 v1, v0
	v_div_scale_f32 v6, vcc, v5, v4, v5
	v_fma_f32 v7, -v0, v1, 1.0
	v_fmac_f32_e32 v1, v7, v1
	v_mul_f32_e32 v7, v6, v1
	v_fma_f32 v8, -v0, v7, v6
	v_fmac_f32_e32 v7, v8, v1
	v_fma_f32 v0, -v0, v7, v6
	v_div_fmas_f32 v0, v0, v1, v7
	v_div_fixup_f32 v0, v0, v4, v5
	global_store_dword v[2:3], v0, off
.LBB36_23:
	s_endpgm
	.section	.rodata,"a",@progbits
	.p2align	6, 0x0
	.amdhsa_kernel _ZL33flash_attn_stream_k_fixup_generalILi64ELi32ELi2EEvPfPK15HIP_vector_typeIfLj2EEiiiiS1_IjLj3EES5_S5_S5_
		.amdhsa_group_segment_fixed_size 0
		.amdhsa_private_segment_fixed_size 0
		.amdhsa_kernarg_size 336
		.amdhsa_user_sgpr_count 2
		.amdhsa_user_sgpr_dispatch_ptr 0
		.amdhsa_user_sgpr_queue_ptr 0
		.amdhsa_user_sgpr_kernarg_segment_ptr 1
		.amdhsa_user_sgpr_dispatch_id 0
		.amdhsa_user_sgpr_kernarg_preload_length 0
		.amdhsa_user_sgpr_kernarg_preload_offset 0
		.amdhsa_user_sgpr_private_segment_size 0
		.amdhsa_uses_dynamic_stack 0
		.amdhsa_enable_private_segment 0
		.amdhsa_system_sgpr_workgroup_id_x 1
		.amdhsa_system_sgpr_workgroup_id_y 1
		.amdhsa_system_sgpr_workgroup_id_z 1
		.amdhsa_system_sgpr_workgroup_info 0
		.amdhsa_system_vgpr_workitem_id 0
		.amdhsa_next_free_vgpr 18
		.amdhsa_next_free_sgpr 36
		.amdhsa_accum_offset 20
		.amdhsa_reserve_vcc 1
		.amdhsa_float_round_mode_32 0
		.amdhsa_float_round_mode_16_64 0
		.amdhsa_float_denorm_mode_32 3
		.amdhsa_float_denorm_mode_16_64 3
		.amdhsa_dx10_clamp 1
		.amdhsa_ieee_mode 1
		.amdhsa_fp16_overflow 0
		.amdhsa_tg_split 0
		.amdhsa_exception_fp_ieee_invalid_op 0
		.amdhsa_exception_fp_denorm_src 0
		.amdhsa_exception_fp_ieee_div_zero 0
		.amdhsa_exception_fp_ieee_overflow 0
		.amdhsa_exception_fp_ieee_underflow 0
		.amdhsa_exception_fp_ieee_inexact 0
		.amdhsa_exception_int_div_zero 0
	.end_amdhsa_kernel
	.section	.text._ZL33flash_attn_stream_k_fixup_generalILi64ELi32ELi2EEvPfPK15HIP_vector_typeIfLj2EEiiiiS1_IjLj3EES5_S5_S5_,"axG",@progbits,_ZL33flash_attn_stream_k_fixup_generalILi64ELi32ELi2EEvPfPK15HIP_vector_typeIfLj2EEiiiiS1_IjLj3EES5_S5_S5_,comdat
.Lfunc_end36:
	.size	_ZL33flash_attn_stream_k_fixup_generalILi64ELi32ELi2EEvPfPK15HIP_vector_typeIfLj2EEiiiiS1_IjLj3EES5_S5_S5_, .Lfunc_end36-_ZL33flash_attn_stream_k_fixup_generalILi64ELi32ELi2EEvPfPK15HIP_vector_typeIfLj2EEiiiiS1_IjLj3EES5_S5_S5_
                                        ; -- End function
	.set _ZL33flash_attn_stream_k_fixup_generalILi64ELi32ELi2EEvPfPK15HIP_vector_typeIfLj2EEiiiiS1_IjLj3EES5_S5_S5_.num_vgpr, 18
	.set _ZL33flash_attn_stream_k_fixup_generalILi64ELi32ELi2EEvPfPK15HIP_vector_typeIfLj2EEiiiiS1_IjLj3EES5_S5_S5_.num_agpr, 0
	.set _ZL33flash_attn_stream_k_fixup_generalILi64ELi32ELi2EEvPfPK15HIP_vector_typeIfLj2EEiiiiS1_IjLj3EES5_S5_S5_.numbered_sgpr, 36
	.set _ZL33flash_attn_stream_k_fixup_generalILi64ELi32ELi2EEvPfPK15HIP_vector_typeIfLj2EEiiiiS1_IjLj3EES5_S5_S5_.num_named_barrier, 0
	.set _ZL33flash_attn_stream_k_fixup_generalILi64ELi32ELi2EEvPfPK15HIP_vector_typeIfLj2EEiiiiS1_IjLj3EES5_S5_S5_.private_seg_size, 0
	.set _ZL33flash_attn_stream_k_fixup_generalILi64ELi32ELi2EEvPfPK15HIP_vector_typeIfLj2EEiiiiS1_IjLj3EES5_S5_S5_.uses_vcc, 1
	.set _ZL33flash_attn_stream_k_fixup_generalILi64ELi32ELi2EEvPfPK15HIP_vector_typeIfLj2EEiiiiS1_IjLj3EES5_S5_S5_.uses_flat_scratch, 0
	.set _ZL33flash_attn_stream_k_fixup_generalILi64ELi32ELi2EEvPfPK15HIP_vector_typeIfLj2EEiiiiS1_IjLj3EES5_S5_S5_.has_dyn_sized_stack, 0
	.set _ZL33flash_attn_stream_k_fixup_generalILi64ELi32ELi2EEvPfPK15HIP_vector_typeIfLj2EEiiiiS1_IjLj3EES5_S5_S5_.has_recursion, 0
	.set _ZL33flash_attn_stream_k_fixup_generalILi64ELi32ELi2EEvPfPK15HIP_vector_typeIfLj2EEiiiiS1_IjLj3EES5_S5_S5_.has_indirect_call, 0
	.section	.AMDGPU.csdata,"",@progbits
; Kernel info:
; codeLenInByte = 2940
; TotalNumSgprs: 42
; NumVgprs: 18
; NumAgprs: 0
; TotalNumVgprs: 18
; ScratchSize: 0
; MemoryBound: 0
; FloatMode: 240
; IeeeMode: 1
; LDSByteSize: 0 bytes/workgroup (compile time only)
; SGPRBlocks: 5
; VGPRBlocks: 2
; NumSGPRsForWavesPerEU: 42
; NumVGPRsForWavesPerEU: 18
; AccumOffset: 20
; Occupancy: 8
; WaveLimiterHint : 0
; COMPUTE_PGM_RSRC2:SCRATCH_EN: 0
; COMPUTE_PGM_RSRC2:USER_SGPR: 2
; COMPUTE_PGM_RSRC2:TRAP_HANDLER: 0
; COMPUTE_PGM_RSRC2:TGID_X_EN: 1
; COMPUTE_PGM_RSRC2:TGID_Y_EN: 1
; COMPUTE_PGM_RSRC2:TGID_Z_EN: 1
; COMPUTE_PGM_RSRC2:TIDIG_COMP_CNT: 0
; COMPUTE_PGM_RSRC3_GFX90A:ACCUM_OFFSET: 4
; COMPUTE_PGM_RSRC3_GFX90A:TG_SPLIT: 0
	.section	.text._ZL15flash_attn_tileILi64ELi64ELi16ELi2ELb0EEvPKcS1_S1_S1_S1_PKiPfP15HIP_vector_typeIfLj2EEffffjfiS5_IjLj3EEiiiiiiiiiiiliiliiiiil,"axG",@progbits,_ZL15flash_attn_tileILi64ELi64ELi16ELi2ELb0EEvPKcS1_S1_S1_S1_PKiPfP15HIP_vector_typeIfLj2EEffffjfiS5_IjLj3EEiiiiiiiiiiiliiliiiiil,comdat
	.globl	_ZL15flash_attn_tileILi64ELi64ELi16ELi2ELb0EEvPKcS1_S1_S1_S1_PKiPfP15HIP_vector_typeIfLj2EEffffjfiS5_IjLj3EEiiiiiiiiiiiliiliiiiil ; -- Begin function _ZL15flash_attn_tileILi64ELi64ELi16ELi2ELb0EEvPKcS1_S1_S1_S1_PKiPfP15HIP_vector_typeIfLj2EEffffjfiS5_IjLj3EEiiiiiiiiiiiliiliiiiil
	.p2align	8
	.type	_ZL15flash_attn_tileILi64ELi64ELi16ELi2ELb0EEvPKcS1_S1_S1_S1_PKiPfP15HIP_vector_typeIfLj2EEffffjfiS5_IjLj3EEiiiiiiiiiiiliiliiiiil,@function
_ZL15flash_attn_tileILi64ELi64ELi16ELi2ELb0EEvPKcS1_S1_S1_S1_PKiPfP15HIP_vector_typeIfLj2EEffffjfiS5_IjLj3EEiiiiiiiiiiiliiliiiiil: ; @_ZL15flash_attn_tileILi64ELi64ELi16ELi2ELb0EEvPKcS1_S1_S1_S1_PKiPfP15HIP_vector_typeIfLj2EEffffjfiS5_IjLj3EEiiiiiiiiiiiliiliiiiil
; %bb.0:
	s_load_dwordx4 s[20:23], s[0:1], 0x5c
	s_load_dwordx2 s[30:31], s[0:1], 0x80
	s_load_dwordx2 s[36:37], s[0:1], 0xb8
	s_mov_b64 s[34:35], 0
	s_waitcnt lgkmcnt(0)
	s_lshr_b32 s5, s23, 31
	s_add_i32 s5, s23, s5
	s_ashr_i32 s5, s5, 1
	v_cvt_f32_u32_e32 v1, s5
	s_sub_i32 s6, 0, s5
	v_rcp_iflag_f32_e32 v1, v1
	s_nop 0
	v_mul_f32_e32 v1, 0x4f7ffffe, v1
	v_cvt_u32_f32_e32 v1, v1
	s_nop 0
	v_readfirstlane_b32 s7, v1
	s_mul_i32 s6, s6, s7
	s_mul_hi_u32 s6, s7, s6
	s_add_i32 s7, s7, s6
	s_mul_hi_u32 s6, s4, s7
	s_mul_i32 s7, s6, s5
	s_sub_i32 s7, s4, s7
	s_add_i32 s8, s6, 1
	s_sub_i32 s9, s7, s5
	s_cmp_ge_u32 s7, s5
	s_cselect_b32 s6, s8, s6
	s_cselect_b32 s7, s9, s7
	s_add_i32 s8, s6, 1
	s_cmp_ge_u32 s7, s5
	s_cselect_b32 s33, s8, s6
	s_abs_i32 s5, s31
	v_cvt_f32_u32_e32 v1, s5
	s_lshl_b32 s4, s4, 1
	s_mul_i32 s8, s33, s23
	s_sub_i32 s9, 0, s5
	v_rcp_iflag_f32_e32 v1, v1
	s_sub_i32 s28, s4, s8
	s_abs_i32 s7, s23
	s_xor_b32 s6, s23, s31
	v_mul_f32_e32 v1, 0x4f7ffffe, v1
	v_cvt_u32_f32_e32 v1, v1
	s_ashr_i32 s6, s6, 31
	v_readfirstlane_b32 s4, v1
	s_mul_i32 s9, s9, s4
	s_mul_hi_u32 s8, s4, s9
	s_add_i32 s4, s4, s8
	s_mul_hi_u32 s4, s7, s4
	s_mul_i32 s8, s4, s5
	s_sub_i32 s7, s7, s8
	s_add_i32 s9, s4, 1
	s_sub_i32 s8, s7, s5
	s_cmp_ge_u32 s7, s5
	s_cselect_b32 s4, s9, s4
	s_cselect_b32 s7, s8, s7
	s_add_i32 s8, s4, 1
	s_cmp_ge_u32 s7, s5
	s_cselect_b32 s4, s8, s4
	s_xor_b32 s4, s4, s6
	s_sub_i32 s31, s4, s6
	s_abs_i32 s29, s31
	v_cvt_f32_u32_e32 v1, s29
	s_load_dwordx16 s[4:19], s[0:1], 0x0
	v_rcp_iflag_f32_e32 v1, v1
	s_waitcnt lgkmcnt(0)
	s_cmp_eq_u64 s[10:11], 0
	v_mul_f32_e32 v1, 0x4f7ffffe, v1
	v_cvt_u32_f32_e32 v1, v1
	s_nop 0
	v_readfirstlane_b32 s38, v1
	s_cbranch_scc1 .LBB37_2
; %bb.1:
	s_abs_i32 s26, s36
	v_cvt_f32_u32_e32 v1, s26
	s_sub_i32 s35, 0, s26
	s_abs_i32 s34, s33
	s_ashr_i32 s27, s33, 31
	v_rcp_iflag_f32_e32 v1, v1
	s_load_dwordx2 s[24:25], s[0:1], 0xc8
	v_mul_f32_e32 v1, 0x4f7ffffe, v1
	v_cvt_u32_f32_e32 v1, v1
	s_nop 0
	v_readfirstlane_b32 s36, v1
	s_mul_i32 s35, s35, s36
	s_mul_hi_u32 s35, s36, s35
	s_add_i32 s36, s36, s35
	s_mul_hi_u32 s35, s34, s36
	s_mul_i32 s35, s35, s26
	s_sub_i32 s34, s34, s35
	s_sub_i32 s35, s34, s26
	s_cmp_ge_u32 s34, s26
	s_cselect_b32 s34, s35, s34
	s_sub_i32 s35, s34, s26
	s_cmp_ge_u32 s34, s26
	s_cselect_b32 s26, s35, s34
	s_xor_b32 s26, s26, s27
	s_sub_i32 s26, s26, s27
	s_ashr_i32 s27, s26, 31
	s_waitcnt lgkmcnt(0)
	s_mul_hi_u32 s34, s24, s26
	s_mul_i32 s27, s24, s27
	s_mul_i32 s25, s25, s26
	s_add_i32 s27, s34, s27
	s_add_i32 s27, s27, s25
	s_mul_i32 s24, s24, s26
	s_add_u32 s34, s10, s24
	s_addc_u32 s35, s11, s27
.LBB37_2:
	s_load_dwordx4 s[24:27], s[0:1], 0x70
	v_bfe_u32 v16, v0, 10, 10
	v_lshlrev_b32_e32 v1, 2, v16
	s_lshl_b32 s10, s2, 4
	v_lshlrev_b32_e32 v26, 1, v16
	s_waitcnt lgkmcnt(0)
	s_mul_i32 s11, s33, s26
	v_or_b32_e32 v17, 2, v1
	s_ashr_i32 s27, s11, 31
	v_add_u32_e32 v28, s10, v26
	v_lshrrev_b32_e32 v24, 1, v17
	s_mul_i32 s26, s28, s25
	s_add_u32 s4, s4, s11
	v_and_b32_e32 v27, 0x3ff, v0
	v_mul_hi_u32 v0, v28, s20
	v_add_u32_e32 v25, s10, v24
	s_addc_u32 s5, s5, s27
	s_ashr_i32 s11, s26, 31
	v_add_u32_e32 v0, v28, v0
	v_mul_hi_u32 v8, v25, s20
	s_add_u32 s4, s4, s26
	v_lshrrev_b32_e32 v0, s21, v0
	v_add_u32_e32 v8, v25, v8
	s_addc_u32 s5, s5, s11
	s_ashr_i32 s27, s24, 31
	s_mov_b32 s26, s24
	v_mul_lo_u32 v0, v0, s22
	v_lshrrev_b32_e32 v8, s21, v8
	s_lshr_b64 s[40:41], s[26:27], 2
	v_sub_u32_e32 v0, v28, v0
	v_mul_lo_u32 v8, v8, s22
	v_mad_u64_u32 v[2:3], s[42:43], s40, v0, 0
	v_sub_u32_e32 v11, v25, v8
	v_mov_b32_e32 v4, v3
	s_lshr_b32 s36, s27, 2
	v_mad_u64_u32 v[8:9], s[26:27], s40, v11, 0
	v_mad_u64_u32 v[4:5], s[26:27], s36, v0, v[4:5]
	v_mov_b32_e32 v10, v9
	s_ashr_i32 s11, s25, 31
	v_mov_b32_e32 v3, v4
	s_and_b32 s24, s25, -4
	v_mad_u64_u32 v[10:11], s[26:27], s36, v11, v[10:11]
	v_lshlrev_b64 v[4:5], 2, v[2:3]
	s_add_u32 s24, s4, s24
	v_mov_b32_e32 v9, v10
	v_lshl_add_u64 v[6:7], s[4:5], 0, v[4:5]
	v_lshlrev_b32_e32 v2, 3, v27
	v_mov_b32_e32 v3, 0
	s_addc_u32 s25, s5, s11
	v_lshl_add_u64 v[8:9], v[8:9], 2, s[4:5]
	v_lshl_add_u64 v[6:7], v[6:7], 0, v[2:3]
	;; [unrolled: 1-line block ×5, first 2 shown]
	global_load_dwordx2 v[10:11], v[6:7], off
	global_load_dwordx2 v[12:13], v[4:5], off
	;; [unrolled: 1-line block ×3, first 2 shown]
	v_or_b32_e32 v8, 3, v1
	v_lshrrev_b32_e32 v22, 1, v8
	v_add_u32_e32 v23, s10, v22
	v_mul_hi_u32 v4, v23, s20
	v_add_u32_e32 v4, v23, v4
	v_lshrrev_b32_e32 v4, s21, v4
	v_mul_lo_u32 v4, v4, s22
	v_sub_u32_e32 v7, v23, v4
	v_mad_u64_u32 v[4:5], s[4:5], s40, v7, 0
	v_mov_b32_e32 v6, v5
	v_mad_u64_u32 v[6:7], s[4:5], s36, v7, v[6:7]
	v_mov_b32_e32 v5, v6
	v_lshl_add_u64 v[4:5], v[4:5], 2, s[24:25]
	v_lshl_add_u64 v[4:5], v[4:5], 0, v[2:3]
	global_load_dwordx2 v[4:5], v[4:5], off
	s_load_dword s4, s[0:1], 0x40
	v_mov_b32_e32 v3, 0x3400
	v_lshl_add_u32 v6, v27, 2, v3
	v_lshlrev_b32_e32 v3, 9, v16
	v_add_u32_e32 v7, v6, v3
	v_lshl_add_u32 v9, v17, 7, v6
	v_lshl_add_u32 v6, v8, 7, v6
	s_cmp_eq_u64 s[14:15], 0
	s_waitcnt vmcnt(3) lgkmcnt(0)
	v_fma_mixlo_f16 v8, s4, v10, 0
	v_fma_mixlo_f16 v10, s4, v11, 0
	s_waitcnt vmcnt(2)
	v_fma_mixlo_f16 v11, s4, v12, 0
	v_fma_mixlo_f16 v12, s4, v13, 0
	s_waitcnt vmcnt(1)
	v_fma_mixlo_f16 v13, s4, v14, 0
	v_fma_mixlo_f16 v14, s4, v15, 0
	v_lshlrev_b32_e32 v10, 16, v10
	v_lshlrev_b32_e32 v12, 16, v12
	v_lshlrev_b32_e32 v14, 16, v14
	v_or_b32_sdwa v8, v10, v8 dst_sel:DWORD dst_unused:UNUSED_PAD src0_sel:DWORD src1_sel:WORD_0
	v_or_b32_sdwa v10, v12, v11 dst_sel:DWORD dst_unused:UNUSED_PAD src0_sel:DWORD src1_sel:WORD_0
	;; [unrolled: 1-line block ×3, first 2 shown]
	s_waitcnt vmcnt(0)
	v_fma_mixlo_f16 v5, s4, v5, 0
	v_fma_mixlo_f16 v4, s4, v4, 0
	v_lshlrev_b32_e32 v5, 16, v5
	v_or_b32_sdwa v4, v5, v4 dst_sel:DWORD dst_unused:UNUSED_PAD src0_sel:DWORD src1_sel:WORD_0
	ds_write2_b32 v7, v8, v10 offset1:32
	ds_write_b32 v9, v11
	ds_write_b32 v6, v4
	s_waitcnt lgkmcnt(0)
	s_barrier
	s_cbranch_scc1 .LBB37_4
; %bb.3:
	s_load_dword s4, s[0:1], 0xd0
	s_mov_b32 s5, 0
	s_waitcnt lgkmcnt(0)
	s_mul_i32 s4, s4, s33
	s_add_i32 s4, s4, s2
	s_lshl_b64 s[4:5], s[4:5], 2
	s_add_u32 s4, s14, s4
	s_addc_u32 s5, s15, s5
	s_load_dword s30, s[4:5], 0x0
.LBB37_4:
	s_lshl_b32 s2, s3, 6
	s_waitcnt lgkmcnt(0)
	s_cmp_lt_i32 s2, s30
	v_mbcnt_lo_u32_b32 v4, -1, 0
	s_cbranch_scc1 .LBB37_7
; %bb.5:
	v_mbcnt_hi_u32_b32 v29, -1, v4
	v_and_b32_e32 v5, 0x60, v29
	v_add_u32_e32 v30, 32, v5
	v_xor_b32_e32 v33, 16, v29
	v_xor_b32_e32 v34, 8, v29
	v_xor_b32_e32 v35, 4, v29
	v_xor_b32_e32 v32, 2, v29
	v_xor_b32_e32 v31, 1, v29
	s_cbranch_execz .LBB37_8
; %bb.6:
	v_mov_b32_e32 v9, 0
	v_mov_b32_e32 v57, 0
	v_mov_b32_e32 v3, 0xfeffffff
	v_mov_b32_e32 v2, 0xfeffffff
	v_mov_b32_e32 v1, 0xfeffffff
	v_mov_b32_e32 v0, 0xfeffffff
	v_mov_b32_e32 v8, v9
	v_mov_b32_e32 v11, v9
	v_mov_b32_e32 v10, v9
	v_mov_b32_e32 v56, 0
	v_mov_b32_e32 v55, 0
	v_mov_b32_e32 v58, 0
	s_branch .LBB37_10
.LBB37_7:
                                        ; implicit-def: $vgpr29
                                        ; implicit-def: $vgpr30
                                        ; implicit-def: $vgpr33
                                        ; implicit-def: $vgpr34
                                        ; implicit-def: $vgpr35
                                        ; implicit-def: $vgpr32
                                        ; implicit-def: $vgpr31
.LBB37_8:
	s_sub_i32 s4, 0, s29
	s_mul_i32 s4, s4, s38
	s_mul_hi_u32 s4, s38, s4
	s_add_i32 s38, s38, s4
	s_load_dwordx2 s[4:5], s[0:1], 0x8c
	s_load_dwordx4 s[24:27], s[0:1], 0x98
	s_abs_i32 s15, s28
	s_mul_hi_u32 s36, s15, s38
	s_ashr_i32 s40, s28, 31
	s_waitcnt lgkmcnt(0)
	s_ashr_i32 s14, s4, 2
	s_ashr_i32 s4, s33, 31
	;; [unrolled: 1-line block ×4, first 2 shown]
	s_mul_hi_u32 s37, s24, s33
	s_mul_i32 s41, s24, s4
	s_add_i32 s37, s37, s41
	s_mul_i32 s25, s25, s33
	s_ashr_i32 s31, s31, 31
	s_add_i32 s37, s37, s25
	s_mul_i32 s24, s24, s33
	s_add_u32 s6, s6, s24
	s_mul_i32 s25, s36, s29
	s_addc_u32 s7, s7, s37
	s_sub_i32 s15, s15, s25
	s_xor_b32 s24, s40, s31
	s_add_i32 s25, s36, 1
	s_sub_i32 s31, s15, s29
	s_cmp_ge_u32 s15, s29
	s_cselect_b32 s25, s25, s36
	s_cselect_b32 s15, s31, s15
	s_add_i32 s31, s25, 1
	s_cmp_ge_u32 s15, s29
	s_load_dwordx2 s[38:39], s[0:1], 0xa8
	s_cselect_b32 s15, s31, s25
	s_xor_b32 s15, s15, s24
	s_sub_i32 s25, s15, s24
	s_mul_i32 s5, s25, s5
	s_ashr_i32 s24, s5, 31
	s_add_u32 s15, s6, s5
	s_waitcnt lgkmcnt(0)
	s_mul_hi_u32 s5, s38, s33
	s_mul_i32 s4, s38, s4
	s_addc_u32 s24, s7, s24
	s_add_i32 s4, s5, s4
	s_mul_i32 s5, s39, s33
	s_add_i32 s4, s4, s5
	s_mul_i32 s5, s38, s33
	v_mul_lo_u32 v41, v0, s26
	v_add3_u32 v0, s10, v26, 1
	s_add_u32 s5, s8, s5
	s_mul_i32 s25, s25, s27
	v_mul_hi_u32 v7, s20, v0
	s_addc_u32 s4, s9, s4
	s_ashr_i32 s6, s25, 31
	v_lshrrev_b32_e32 v5, 3, v27
	v_lshlrev_b32_e32 v36, 2, v27
	v_add_u32_e32 v7, v0, v7
	s_add_u32 s8, s5, s25
	v_add_u32_e32 v1, v5, v1
	v_and_b32_e32 v6, 28, v36
	v_lshrrev_b32_e32 v7, s21, v7
	s_addc_u32 s9, s4, s6
	v_lshlrev_b32_e32 v5, 2, v6
	s_movk_i32 s4, 0x90
	v_mul_lo_u32 v14, s14, v1
	v_mul_lo_u32 v7, v7, s22
	;; [unrolled: 1-line block ×3, first 2 shown]
	v_mbcnt_hi_u32_b32 v29, -1, v4
	v_mov_b32_e32 v13, 0
	v_mad_u32_u24 v37, v1, s4, v5
	v_lshl_add_u32 v16, s14, 5, v14
	v_sub_u32_e32 v0, v0, v7
	v_add_u32_e32 v43, 0x2400, v3
	v_lshl_or_b32 v44, v1, 7, v5
	v_lshl_add_u32 v20, s11, 5, v18
	s_add_u32 s4, s0, 0xd0
	v_and_b32_e32 v1, 0x60, v29
	v_ashrrev_i32_e32 v15, 31, v14
	v_add_u32_e32 v38, 0x1200, v37
	v_ashrrev_i32_e32 v17, 31, v16
	v_add_u32_e32 v39, 0x3400, v3
	v_mul_u32_u24_e32 v40, 0x90, v27
	v_mul_lo_u32 v42, v0, s26
	v_ashrrev_i32_e32 v19, 31, v18
	v_add_u32_e32 v45, 0x1000, v44
	v_ashrrev_i32_e32 v21, 31, v20
	s_addc_u32 s5, s1, 0
	v_mov_b32_e32 v0, 0xfeffffff
	v_lshlrev_b32_e32 v12, 2, v6
	v_add_u32_e32 v30, 32, v1
	v_xor_b32_e32 v33, 16, v29
	v_xor_b32_e32 v34, 8, v29
	;; [unrolled: 1-line block ×5, first 2 shown]
	s_mov_b32 s20, 0x3fb8aa3b
	s_mov_b32 s21, 0xc2ce8ed0
	;; [unrolled: 1-line block ×3, first 2 shown]
	v_mov_b32_e32 v46, 0x7f800000
	s_mov_b32 s26, 0x10001
	v_add_u32_e32 v47, v43, v2
	v_add_u32_e32 v48, 0x400, v36
	;; [unrolled: 1-line block ×8, first 2 shown]
	v_mov_b32_e32 v58, v13
	v_mov_b32_e32 v55, v13
	;; [unrolled: 1-line block ×11, first 2 shown]
.LBB37_9:                               ; =>This Inner Loop Header: Depth=1
	s_mul_hi_i32 s7, s2, s14
	s_mul_i32 s6, s2, s14
	s_lshl_b64 s[6:7], s[6:7], 2
	s_add_u32 s6, s15, s6
	s_addc_u32 s7, s24, s7
	v_mov_b32_e32 v61, v1
	v_mov_b32_e32 v62, v0
	v_lshl_add_u64 v[0:1], v[14:15], 2, s[6:7]
	v_lshl_add_u64 v[0:1], v[0:1], 0, v[12:13]
	v_mov_b32_e32 v59, v3
	v_mov_b32_e32 v60, v2
	global_load_dwordx4 v[0:3], v[0:1], off
	v_mov_b32_e32 v63, 0
	v_mov_b32_e32 v66, 0
	;; [unrolled: 1-line block ×5, first 2 shown]
	v_cmp_lt_i32_e32 vcc, v33, v30
	s_waitcnt vmcnt(0)
	ds_write_b128 v37, v[0:3]
	v_lshl_add_u64 v[0:1], v[16:17], 2, s[6:7]
	v_lshl_add_u64 v[0:1], v[0:1], 0, v[12:13]
	global_load_dwordx4 v[0:3], v[0:1], off
	s_mul_hi_i32 s7, s2, s11
	s_mul_i32 s6, s2, s11
	s_lshl_b64 s[6:7], s[6:7], 2
	s_add_u32 s6, s8, s6
	s_addc_u32 s7, s9, s7
	s_waitcnt vmcnt(0)
	ds_write_b128 v38, v[0:3]
	s_waitcnt lgkmcnt(0)
	s_barrier
	ds_read_b128 v[68:71], v40
	ds_read_b128 v[0:3], v40 offset:4608
	ds_read_b128 v[72:75], v39
	ds_read_b128 v[76:79], v39 offset:128
	ds_read_b128 v[80:83], v39 offset:256
	;; [unrolled: 1-line block ×3, first 2 shown]
	s_waitcnt lgkmcnt(3)
	;;#ASMSTART
	v_dot2_f32_f16 v63, v68, v72, v63
	;;#ASMEND
	s_nop 0
	;;#ASMSTART
	v_dot2_f32_f16 v63, v69, v73, v63
	;;#ASMEND
	s_nop 0
	;;#ASMSTART
	v_dot2_f32_f16 v63, v70, v74, v63
	;;#ASMEND
	s_nop 0
	;;#ASMSTART
	v_dot2_f32_f16 v63, v71, v75, v63
	;;#ASMEND
	s_waitcnt lgkmcnt(2)
	;;#ASMSTART
	v_dot2_f32_f16 v66, v68, v76, v66
	;;#ASMEND
	s_nop 0
	;;#ASMSTART
	v_dot2_f32_f16 v66, v69, v77, v66
	;;#ASMEND
	s_nop 0
	;;#ASMSTART
	v_dot2_f32_f16 v66, v70, v78, v66
	;;#ASMEND
	s_nop 0
	;;#ASMSTART
	v_dot2_f32_f16 v66, v71, v79, v66
	;;#ASMEND
	;; [unrolled: 16-line block ×3, first 2 shown]
	s_waitcnt lgkmcnt(0)
	;;#ASMSTART
	v_dot2_f32_f16 v64, v68, v4, v64
	;;#ASMEND
	v_mov_b32_e32 v68, 0
	;;#ASMSTART
	v_dot2_f32_f16 v64, v69, v5, v64
	;;#ASMEND
	v_mov_b32_e32 v69, 0
	;; [unrolled: 4-line block ×3, first 2 shown]
	;;#ASMSTART
	v_dot2_f32_f16 v64, v71, v7, v64
	;;#ASMEND
	;;#ASMSTART
	v_dot2_f32_f16 v70, v0, v72, v70
	;;#ASMEND
	s_nop 0
	;;#ASMSTART
	v_dot2_f32_f16 v70, v1, v73, v70
	;;#ASMEND
	s_nop 0
	;;#ASMSTART
	v_dot2_f32_f16 v70, v2, v74, v70
	;;#ASMEND
	s_nop 0
	;;#ASMSTART
	v_dot2_f32_f16 v70, v3, v75, v70
	;;#ASMEND
	;;#ASMSTART
	v_dot2_f32_f16 v69, v0, v76, v69
	;;#ASMEND
	s_nop 0
	;;#ASMSTART
	v_dot2_f32_f16 v69, v1, v77, v69
	;;#ASMEND
	s_nop 0
	;;#ASMSTART
	v_dot2_f32_f16 v69, v2, v78, v69
	;;#ASMEND
	s_nop 0
	;;#ASMSTART
	v_dot2_f32_f16 v69, v3, v79, v69
	;;#ASMEND
	;;#ASMSTART
	v_dot2_f32_f16 v68, v0, v80, v68
	;;#ASMEND
	s_nop 0
	;;#ASMSTART
	v_dot2_f32_f16 v68, v1, v81, v68
	;;#ASMEND
	s_nop 0
	;;#ASMSTART
	v_dot2_f32_f16 v68, v2, v82, v68
	;;#ASMEND
	s_nop 0
	;;#ASMSTART
	v_dot2_f32_f16 v68, v3, v83, v68
	;;#ASMEND
	;;#ASMSTART
	v_dot2_f32_f16 v67, v0, v4, v67
	;;#ASMEND
	s_nop 0
	;;#ASMSTART
	v_dot2_f32_f16 v67, v1, v5, v67
	;;#ASMEND
	s_nop 0
	;;#ASMSTART
	v_dot2_f32_f16 v67, v2, v6, v67
	;;#ASMEND
	s_nop 0
	;;#ASMSTART
	v_dot2_f32_f16 v67, v3, v7, v67
	;;#ASMEND
	ds_read_b128 v[0:3], v40 offset:16
	ds_read_b128 v[4:7], v40 offset:4624
	;; [unrolled: 1-line block ×6, first 2 shown]
	s_waitcnt lgkmcnt(3)
	;;#ASMSTART
	v_dot2_f32_f16 v63, v0, v72, v63
	;;#ASMEND
	s_nop 0
	;;#ASMSTART
	v_dot2_f32_f16 v63, v1, v73, v63
	;;#ASMEND
	s_nop 0
	;;#ASMSTART
	v_dot2_f32_f16 v63, v2, v74, v63
	;;#ASMEND
	s_nop 0
	;;#ASMSTART
	v_dot2_f32_f16 v63, v3, v75, v63
	;;#ASMEND
	s_waitcnt lgkmcnt(2)
	;;#ASMSTART
	v_dot2_f32_f16 v66, v0, v76, v66
	;;#ASMEND
	s_nop 0
	;;#ASMSTART
	v_dot2_f32_f16 v66, v1, v77, v66
	;;#ASMEND
	s_nop 0
	;;#ASMSTART
	v_dot2_f32_f16 v66, v2, v78, v66
	;;#ASMEND
	s_nop 0
	;;#ASMSTART
	v_dot2_f32_f16 v66, v3, v79, v66
	;;#ASMEND
	;; [unrolled: 16-line block ×4, first 2 shown]
	;;#ASMSTART
	v_dot2_f32_f16 v70, v4, v72, v70
	;;#ASMEND
	s_nop 0
	;;#ASMSTART
	v_dot2_f32_f16 v70, v5, v73, v70
	;;#ASMEND
	s_nop 0
	;;#ASMSTART
	v_dot2_f32_f16 v70, v6, v74, v70
	;;#ASMEND
	s_nop 0
	;;#ASMSTART
	v_dot2_f32_f16 v70, v7, v75, v70
	;;#ASMEND
	;;#ASMSTART
	v_dot2_f32_f16 v69, v4, v76, v69
	;;#ASMEND
	s_nop 0
	;;#ASMSTART
	v_dot2_f32_f16 v69, v5, v77, v69
	;;#ASMEND
	s_nop 0
	;;#ASMSTART
	v_dot2_f32_f16 v69, v6, v78, v69
	;;#ASMEND
	s_nop 0
	;;#ASMSTART
	v_dot2_f32_f16 v69, v7, v79, v69
	;;#ASMEND
	;; [unrolled: 15-line block ×4, first 2 shown]
	ds_read_b128 v[0:3], v40 offset:32
	ds_read_b128 v[4:7], v40 offset:4640
	;; [unrolled: 1-line block ×6, first 2 shown]
	s_waitcnt lgkmcnt(3)
	;;#ASMSTART
	v_dot2_f32_f16 v63, v0, v72, v63
	;;#ASMEND
	s_nop 0
	;;#ASMSTART
	v_dot2_f32_f16 v63, v1, v73, v63
	;;#ASMEND
	s_nop 0
	;;#ASMSTART
	v_dot2_f32_f16 v63, v2, v74, v63
	;;#ASMEND
	s_nop 0
	;;#ASMSTART
	v_dot2_f32_f16 v63, v3, v75, v63
	;;#ASMEND
	s_waitcnt lgkmcnt(2)
	;;#ASMSTART
	v_dot2_f32_f16 v66, v0, v76, v66
	;;#ASMEND
	s_nop 0
	;;#ASMSTART
	v_dot2_f32_f16 v66, v1, v77, v66
	;;#ASMEND
	s_nop 0
	;;#ASMSTART
	v_dot2_f32_f16 v66, v2, v78, v66
	;;#ASMEND
	s_nop 0
	;;#ASMSTART
	v_dot2_f32_f16 v66, v3, v79, v66
	;;#ASMEND
	;; [unrolled: 16-line block ×4, first 2 shown]
	;;#ASMSTART
	v_dot2_f32_f16 v70, v4, v72, v70
	;;#ASMEND
	s_nop 0
	;;#ASMSTART
	v_dot2_f32_f16 v70, v5, v73, v70
	;;#ASMEND
	s_nop 0
	;;#ASMSTART
	v_dot2_f32_f16 v70, v6, v74, v70
	;;#ASMEND
	s_nop 0
	;;#ASMSTART
	v_dot2_f32_f16 v70, v7, v75, v70
	;;#ASMEND
	;;#ASMSTART
	v_dot2_f32_f16 v69, v4, v76, v69
	;;#ASMEND
	s_nop 0
	;;#ASMSTART
	v_dot2_f32_f16 v69, v5, v77, v69
	;;#ASMEND
	s_nop 0
	;;#ASMSTART
	v_dot2_f32_f16 v69, v6, v78, v69
	;;#ASMEND
	s_nop 0
	;;#ASMSTART
	v_dot2_f32_f16 v69, v7, v79, v69
	;;#ASMEND
	;; [unrolled: 15-line block ×4, first 2 shown]
	ds_read_b128 v[0:3], v40 offset:48
	ds_read_b128 v[4:7], v40 offset:4656
	;; [unrolled: 1-line block ×6, first 2 shown]
	s_waitcnt lgkmcnt(3)
	;;#ASMSTART
	v_dot2_f32_f16 v63, v0, v72, v63
	;;#ASMEND
	s_nop 0
	;;#ASMSTART
	v_dot2_f32_f16 v63, v1, v73, v63
	;;#ASMEND
	s_nop 0
	;;#ASMSTART
	v_dot2_f32_f16 v63, v2, v74, v63
	;;#ASMEND
	s_nop 0
	;;#ASMSTART
	v_dot2_f32_f16 v63, v3, v75, v63
	;;#ASMEND
	s_waitcnt lgkmcnt(2)
	;;#ASMSTART
	v_dot2_f32_f16 v66, v0, v76, v66
	;;#ASMEND
	s_nop 0
	;;#ASMSTART
	v_dot2_f32_f16 v66, v1, v77, v66
	;;#ASMEND
	s_nop 0
	;;#ASMSTART
	v_dot2_f32_f16 v66, v2, v78, v66
	;;#ASMEND
	s_nop 0
	;;#ASMSTART
	v_dot2_f32_f16 v66, v3, v79, v66
	;;#ASMEND
	;; [unrolled: 16-line block ×4, first 2 shown]
	;;#ASMSTART
	v_dot2_f32_f16 v70, v4, v72, v70
	;;#ASMEND
	s_nop 0
	;;#ASMSTART
	v_dot2_f32_f16 v70, v5, v73, v70
	;;#ASMEND
	s_nop 0
	;;#ASMSTART
	v_dot2_f32_f16 v70, v6, v74, v70
	;;#ASMEND
	s_nop 0
	;;#ASMSTART
	v_dot2_f32_f16 v70, v7, v75, v70
	;;#ASMEND
	;;#ASMSTART
	v_dot2_f32_f16 v69, v4, v76, v69
	;;#ASMEND
	s_nop 0
	;;#ASMSTART
	v_dot2_f32_f16 v69, v5, v77, v69
	;;#ASMEND
	s_nop 0
	;;#ASMSTART
	v_dot2_f32_f16 v69, v6, v78, v69
	;;#ASMEND
	s_nop 0
	;;#ASMSTART
	v_dot2_f32_f16 v69, v7, v79, v69
	;;#ASMEND
	;; [unrolled: 15-line block ×4, first 2 shown]
	ds_read_b128 v[0:3], v40 offset:64
	ds_read_b128 v[4:7], v40 offset:4672
	;; [unrolled: 1-line block ×6, first 2 shown]
	s_waitcnt lgkmcnt(3)
	;;#ASMSTART
	v_dot2_f32_f16 v63, v0, v72, v63
	;;#ASMEND
	s_nop 0
	;;#ASMSTART
	v_dot2_f32_f16 v63, v1, v73, v63
	;;#ASMEND
	s_nop 0
	;;#ASMSTART
	v_dot2_f32_f16 v63, v2, v74, v63
	;;#ASMEND
	s_nop 0
	;;#ASMSTART
	v_dot2_f32_f16 v63, v3, v75, v63
	;;#ASMEND
	s_waitcnt lgkmcnt(2)
	;;#ASMSTART
	v_dot2_f32_f16 v66, v0, v76, v66
	;;#ASMEND
	s_nop 0
	;;#ASMSTART
	v_dot2_f32_f16 v66, v1, v77, v66
	;;#ASMEND
	s_nop 0
	;;#ASMSTART
	v_dot2_f32_f16 v66, v2, v78, v66
	;;#ASMEND
	s_nop 0
	;;#ASMSTART
	v_dot2_f32_f16 v66, v3, v79, v66
	;;#ASMEND
	;; [unrolled: 16-line block ×4, first 2 shown]
	;;#ASMSTART
	v_dot2_f32_f16 v70, v4, v72, v70
	;;#ASMEND
	s_nop 0
	;;#ASMSTART
	v_dot2_f32_f16 v70, v5, v73, v70
	;;#ASMEND
	s_nop 0
	;;#ASMSTART
	v_dot2_f32_f16 v70, v6, v74, v70
	;;#ASMEND
	s_nop 0
	;;#ASMSTART
	v_dot2_f32_f16 v70, v7, v75, v70
	;;#ASMEND
	;;#ASMSTART
	v_dot2_f32_f16 v69, v4, v76, v69
	;;#ASMEND
	s_nop 0
	;;#ASMSTART
	v_dot2_f32_f16 v69, v5, v77, v69
	;;#ASMEND
	s_nop 0
	;;#ASMSTART
	v_dot2_f32_f16 v69, v6, v78, v69
	;;#ASMEND
	s_nop 0
	;;#ASMSTART
	v_dot2_f32_f16 v69, v7, v79, v69
	;;#ASMEND
	;; [unrolled: 15-line block ×4, first 2 shown]
	ds_read_b128 v[0:3], v40 offset:80
	ds_read_b128 v[4:7], v40 offset:4688
	;; [unrolled: 1-line block ×6, first 2 shown]
	s_waitcnt lgkmcnt(3)
	;;#ASMSTART
	v_dot2_f32_f16 v63, v0, v72, v63
	;;#ASMEND
	s_nop 0
	;;#ASMSTART
	v_dot2_f32_f16 v63, v1, v73, v63
	;;#ASMEND
	s_nop 0
	;;#ASMSTART
	v_dot2_f32_f16 v63, v2, v74, v63
	;;#ASMEND
	s_nop 0
	;;#ASMSTART
	v_dot2_f32_f16 v63, v3, v75, v63
	;;#ASMEND
	s_waitcnt lgkmcnt(2)
	;;#ASMSTART
	v_dot2_f32_f16 v66, v0, v76, v66
	;;#ASMEND
	s_nop 0
	;;#ASMSTART
	v_dot2_f32_f16 v66, v1, v77, v66
	;;#ASMEND
	s_nop 0
	;;#ASMSTART
	v_dot2_f32_f16 v66, v2, v78, v66
	;;#ASMEND
	s_nop 0
	;;#ASMSTART
	v_dot2_f32_f16 v66, v3, v79, v66
	;;#ASMEND
	;; [unrolled: 16-line block ×4, first 2 shown]
	;;#ASMSTART
	v_dot2_f32_f16 v70, v4, v72, v70
	;;#ASMEND
	s_nop 0
	;;#ASMSTART
	v_dot2_f32_f16 v70, v5, v73, v70
	;;#ASMEND
	s_nop 0
	;;#ASMSTART
	v_dot2_f32_f16 v70, v6, v74, v70
	;;#ASMEND
	s_nop 0
	;;#ASMSTART
	v_dot2_f32_f16 v70, v7, v75, v70
	;;#ASMEND
	;;#ASMSTART
	v_dot2_f32_f16 v69, v4, v76, v69
	;;#ASMEND
	s_nop 0
	;;#ASMSTART
	v_dot2_f32_f16 v69, v5, v77, v69
	;;#ASMEND
	s_nop 0
	;;#ASMSTART
	v_dot2_f32_f16 v69, v6, v78, v69
	;;#ASMEND
	s_nop 0
	;;#ASMSTART
	v_dot2_f32_f16 v69, v7, v79, v69
	;;#ASMEND
	;; [unrolled: 15-line block ×4, first 2 shown]
	ds_read_b128 v[0:3], v40 offset:96
	ds_read_b128 v[4:7], v40 offset:4704
	;; [unrolled: 1-line block ×6, first 2 shown]
	s_waitcnt lgkmcnt(3)
	;;#ASMSTART
	v_dot2_f32_f16 v63, v0, v72, v63
	;;#ASMEND
	s_nop 0
	;;#ASMSTART
	v_dot2_f32_f16 v63, v1, v73, v63
	;;#ASMEND
	s_nop 0
	;;#ASMSTART
	v_dot2_f32_f16 v63, v2, v74, v63
	;;#ASMEND
	s_nop 0
	;;#ASMSTART
	v_dot2_f32_f16 v63, v3, v75, v63
	;;#ASMEND
	s_waitcnt lgkmcnt(2)
	;;#ASMSTART
	v_dot2_f32_f16 v66, v0, v76, v66
	;;#ASMEND
	s_nop 0
	;;#ASMSTART
	v_dot2_f32_f16 v66, v1, v77, v66
	;;#ASMEND
	s_nop 0
	;;#ASMSTART
	v_dot2_f32_f16 v66, v2, v78, v66
	;;#ASMEND
	s_nop 0
	;;#ASMSTART
	v_dot2_f32_f16 v66, v3, v79, v66
	;;#ASMEND
	;; [unrolled: 16-line block ×4, first 2 shown]
	;;#ASMSTART
	v_dot2_f32_f16 v70, v4, v72, v70
	;;#ASMEND
	s_nop 0
	;;#ASMSTART
	v_dot2_f32_f16 v70, v5, v73, v70
	;;#ASMEND
	s_nop 0
	;;#ASMSTART
	v_dot2_f32_f16 v70, v6, v74, v70
	;;#ASMEND
	s_nop 0
	;;#ASMSTART
	v_dot2_f32_f16 v70, v7, v75, v70
	;;#ASMEND
	;;#ASMSTART
	v_dot2_f32_f16 v69, v4, v76, v69
	;;#ASMEND
	s_nop 0
	;;#ASMSTART
	v_dot2_f32_f16 v69, v5, v77, v69
	;;#ASMEND
	s_nop 0
	;;#ASMSTART
	v_dot2_f32_f16 v69, v6, v78, v69
	;;#ASMEND
	s_nop 0
	;;#ASMSTART
	v_dot2_f32_f16 v69, v7, v79, v69
	;;#ASMEND
	;; [unrolled: 15-line block ×4, first 2 shown]
	ds_read_b128 v[0:3], v40 offset:112
	ds_read_b128 v[4:7], v40 offset:4720
	;; [unrolled: 1-line block ×6, first 2 shown]
	s_waitcnt lgkmcnt(3)
	;;#ASMSTART
	v_dot2_f32_f16 v63, v0, v72, v63
	;;#ASMEND
	s_nop 0
	;;#ASMSTART
	v_dot2_f32_f16 v63, v1, v73, v63
	;;#ASMEND
	s_nop 0
	;;#ASMSTART
	v_dot2_f32_f16 v63, v2, v74, v63
	;;#ASMEND
	s_nop 0
	;;#ASMSTART
	v_dot2_f32_f16 v63, v3, v75, v63
	;;#ASMEND
	s_waitcnt lgkmcnt(2)
	;;#ASMSTART
	v_dot2_f32_f16 v66, v0, v76, v66
	;;#ASMEND
	s_nop 0
	;;#ASMSTART
	v_dot2_f32_f16 v66, v1, v77, v66
	;;#ASMEND
	s_nop 0
	;;#ASMSTART
	v_dot2_f32_f16 v66, v2, v78, v66
	;;#ASMEND
	s_nop 0
	;;#ASMSTART
	v_dot2_f32_f16 v66, v3, v79, v66
	;;#ASMEND
	;; [unrolled: 16-line block ×3, first 2 shown]
	s_waitcnt lgkmcnt(0)
	;;#ASMSTART
	v_dot2_f32_f16 v64, v0, v84, v64
	;;#ASMEND
	v_cndmask_b32_e32 v0, v29, v33, vcc
	;;#ASMSTART
	v_dot2_f32_f16 v64, v1, v85, v64
	;;#ASMEND
	v_cmp_lt_i32_e32 vcc, v34, v30
	;;#ASMSTART
	v_dot2_f32_f16 v64, v2, v86, v64
	;;#ASMEND
	v_add_u32_e32 v2, s2, v27
	;;#ASMSTART
	v_dot2_f32_f16 v64, v3, v87, v64
	;;#ASMEND
	;;#ASMSTART
	v_dot2_f32_f16 v70, v4, v72, v70
	;;#ASMEND
	s_nop 0
	;;#ASMSTART
	v_dot2_f32_f16 v70, v5, v73, v70
	;;#ASMEND
	s_nop 0
	;;#ASMSTART
	v_dot2_f32_f16 v70, v6, v74, v70
	;;#ASMEND
	s_nop 0
	;;#ASMSTART
	v_dot2_f32_f16 v70, v7, v75, v70
	;;#ASMEND
	;;#ASMSTART
	v_dot2_f32_f16 v69, v4, v76, v69
	;;#ASMEND
	s_nop 0
	;;#ASMSTART
	v_dot2_f32_f16 v69, v5, v77, v69
	;;#ASMEND
	s_nop 0
	;;#ASMSTART
	v_dot2_f32_f16 v69, v6, v78, v69
	;;#ASMEND
	s_nop 0
	;; [unrolled: 15-line block ×3, first 2 shown]
	;;#ASMSTART
	v_dot2_f32_f16 v68, v7, v83, v68
	;;#ASMEND
	;;#ASMSTART
	v_dot2_f32_f16 v67, v4, v84, v67
	;;#ASMEND
	v_lshlrev_b32_e32 v4, 2, v0
	v_cndmask_b32_e32 v0, v29, v34, vcc
	v_cmp_lt_i32_e32 vcc, v35, v30
	;;#ASMSTART
	v_dot2_f32_f16 v67, v5, v85, v67
	;;#ASMEND
	v_lshlrev_b32_e32 v5, 2, v0
	;;#ASMSTART
	v_dot2_f32_f16 v67, v6, v86, v67
	;;#ASMEND
	s_nop 0
	v_cndmask_b32_e32 v0, v29, v35, vcc
	v_cmp_lt_i32_e32 vcc, v32, v30
	v_lshlrev_b32_e32 v6, 2, v0
	;;#ASMSTART
	v_dot2_f32_f16 v67, v7, v87, v67
	;;#ASMEND
	s_nop 0
	v_cndmask_b32_e32 v0, v29, v32, vcc
	v_cmp_lt_i32_e32 vcc, v31, v30
	v_lshlrev_b32_e32 v7, 2, v0
	s_nop 0
	v_cndmask_b32_e32 v0, v29, v31, vcc
	v_lshlrev_b32_e32 v71, 2, v0
	v_add_u32_e32 v0, v2, v41
	v_ashrrev_i32_e32 v1, 31, v0
	v_lshl_add_u64 v[0:1], v[0:1], 1, s[34:35]
	global_load_ushort v3, v[0:1], off
	v_add_u32_e32 v2, v2, v42
	global_load_ushort v0, v[0:1], off offset:64
	s_waitcnt vmcnt(1)
	v_cvt_f32_f16_e32 v3, v3
	s_waitcnt vmcnt(0)
	v_cvt_f32_f16_e32 v1, v0
	v_add_f32_e32 v66, v66, v3
	v_add_f32_e32 v63, v63, v3
	;; [unrolled: 1-line block ×6, first 2 shown]
	v_max3_f32 v1, v61, v3, v1
	v_add_f32_e32 v72, 0x40051340, v63
	v_add_f32_e32 v0, 0x40051340, v70
	ds_bpermute_b32 v3, v4, v1
	v_max3_f32 v0, v62, v72, v0
	ds_bpermute_b32 v72, v4, v0
	s_waitcnt lgkmcnt(1)
	v_max_f32_e32 v3, v3, v3
	v_max_f32_e32 v1, v1, v3
	s_waitcnt lgkmcnt(0)
	v_max_f32_e32 v72, v72, v72
	ds_bpermute_b32 v3, v5, v1
	v_max_f32_e32 v0, v0, v72
	ds_bpermute_b32 v72, v5, v0
	s_waitcnt lgkmcnt(1)
	v_max_f32_e32 v3, v3, v3
	v_max_f32_e32 v1, v1, v3
	s_waitcnt lgkmcnt(0)
	v_max_f32_e32 v72, v72, v72
	ds_bpermute_b32 v3, v6, v1
	v_max_f32_e32 v0, v0, v72
	;; [unrolled: 8-line block ×4, first 2 shown]
	ds_bpermute_b32 v72, v71, v0
	s_waitcnt lgkmcnt(1)
	v_max_f32_e32 v3, v3, v3
	v_max_f32_e32 v1, v1, v3
	v_ashrrev_i32_e32 v3, 31, v2
	s_waitcnt lgkmcnt(0)
	v_max_f32_e32 v72, v72, v72
	v_lshl_add_u64 v[2:3], v[2:3], 1, s[34:35]
	v_max_f32_e32 v0, v0, v72
	global_load_ushort v72, v[2:3], off
	s_waitcnt vmcnt(0)
	v_cvt_f32_f16_e32 v72, v72
	global_load_ushort v2, v[2:3], off offset:64
	s_barrier
	v_add_f32_e32 v73, v65, v72
	v_add_f32_e32 v72, v64, v72
	;; [unrolled: 1-line block ×4, first 2 shown]
	s_waitcnt vmcnt(0)
	v_cvt_f32_f16_e32 v3, v2
	v_add_f32_e32 v68, v68, v3
	v_add_f32_e32 v74, v67, v3
	;; [unrolled: 1-line block ×4, first 2 shown]
	v_max3_f32 v2, v60, v65, v2
	v_max3_f32 v3, v59, v64, v3
	ds_bpermute_b32 v65, v4, v2
	ds_bpermute_b32 v4, v4, v3
	s_waitcnt lgkmcnt(1)
	v_max_f32_e32 v65, v65, v65
	s_waitcnt lgkmcnt(0)
	v_max_f32_e32 v4, v4, v4
	v_max_f32_e32 v3, v3, v4
	ds_bpermute_b32 v4, v5, v3
	v_max_f32_e32 v2, v2, v65
	ds_bpermute_b32 v65, v5, v2
	v_sub_f32_e32 v5, v62, v0
	s_waitcnt lgkmcnt(1)
	v_max_f32_e32 v4, v4, v4
	v_max_f32_e32 v3, v3, v4
	ds_bpermute_b32 v4, v6, v3
	s_waitcnt lgkmcnt(1)
	v_max_f32_e32 v65, v65, v65
	v_max_f32_e32 v2, v2, v65
	ds_bpermute_b32 v65, v6, v2
	;; [unrolled: 4-line block ×6, first 2 shown]
	s_waitcnt lgkmcnt(1)
	v_max_f32_e32 v4, v4, v4
	v_max_f32_e32 v3, v3, v4
	v_sub_f32_e32 v4, v63, v0
	v_mul_f32_e32 v6, 0x3fb8aa3b, v4
	v_fma_f32 v7, v4, s20, -v6
	v_rndne_f32_e32 v62, v6
	v_fmac_f32_e32 v7, 0x32a5705f, v4
	v_sub_f32_e32 v6, v6, v62
	v_add_f32_e32 v6, v6, v7
	v_exp_f32_e32 v6, v6
	v_cvt_i32_f32_e32 v7, v62
	v_cmp_ngt_f32_e32 vcc, s21, v4
	s_waitcnt lgkmcnt(0)
	v_max_f32_e32 v65, v65, v65
	v_max_f32_e32 v2, v2, v65
	v_ldexp_f32 v6, v6, v7
	v_cndmask_b32_e32 v6, 0, v6, vcc
	v_cmp_nlt_f32_e32 vcc, s25, v4
	v_sub_f32_e32 v60, v60, v2
	v_sub_f32_e32 v59, v59, v3
	v_cndmask_b32_e32 v4, v46, v6, vcc
	v_sub_f32_e32 v6, v70, v0
	v_mul_f32_e32 v7, 0x3fb8aa3b, v6
	v_fma_f32 v62, v6, s20, -v7
	v_rndne_f32_e32 v63, v7
	v_fmac_f32_e32 v62, 0x32a5705f, v6
	v_sub_f32_e32 v7, v7, v63
	v_add_f32_e32 v7, v7, v62
	v_exp_f32_e32 v7, v7
	v_cvt_i32_f32_e32 v62, v63
	v_cmp_ngt_f32_e32 vcc, s21, v6
	v_ldexp_f32 v7, v7, v62
	s_nop 0
	v_cndmask_b32_e32 v7, 0, v7, vcc
	v_cmp_nlt_f32_e32 vcc, s25, v6
	v_mul_f32_e32 v6, 0x3fb8aa3b, v5
	v_rndne_f32_e32 v63, v6
	v_cndmask_b32_e32 v62, v46, v7, vcc
	v_fma_f32 v7, v5, s20, -v6
	v_fmac_f32_e32 v7, 0x32a5705f, v5
	v_sub_f32_e32 v6, v6, v63
	v_add_f32_e32 v6, v6, v7
	v_exp_f32_e32 v6, v6
	v_cvt_i32_f32_e32 v7, v63
	v_cmp_ngt_f32_e32 vcc, s21, v5
	v_ldexp_f32 v6, v6, v7
	s_nop 0
	v_cndmask_b32_e32 v6, 0, v6, vcc
	v_cmp_nlt_f32_e32 vcc, s25, v5
	v_sub_f32_e32 v7, v61, v1
	s_nop 0
	v_cndmask_b32_e32 v64, v46, v6, vcc
	v_cvt_f16_f32_e32 v5, v64
	v_mul_u32_u24_e32 v6, 0x10001, v5
	v_sub_f32_e32 v5, v66, v1
	v_mul_f32_e32 v61, 0x3fb8aa3b, v5
	v_fma_f32 v63, v5, s20, -v61
	v_rndne_f32_e32 v65, v61
	v_fmac_f32_e32 v63, 0x32a5705f, v5
	v_sub_f32_e32 v61, v61, v65
	v_add_f32_e32 v61, v61, v63
	v_exp_f32_e32 v61, v61
	v_cvt_i32_f32_e32 v63, v65
	v_cmp_ngt_f32_e32 vcc, s21, v5
	v_ldexp_f32 v61, v61, v63
	s_nop 0
	v_cndmask_b32_e32 v61, 0, v61, vcc
	v_cmp_nlt_f32_e32 vcc, s25, v5
	s_nop 1
	v_cndmask_b32_e32 v5, v46, v61, vcc
	v_sub_f32_e32 v61, v69, v1
	v_mul_f32_e32 v63, 0x3fb8aa3b, v61
	v_fma_f32 v65, v61, s20, -v63
	v_rndne_f32_e32 v66, v63
	v_fmac_f32_e32 v65, 0x32a5705f, v61
	v_sub_f32_e32 v63, v63, v66
	v_add_f32_e32 v63, v63, v65
	v_exp_f32_e32 v63, v63
	v_cvt_i32_f32_e32 v65, v66
	v_cmp_ngt_f32_e32 vcc, s21, v61
	v_ldexp_f32 v63, v63, v65
	s_nop 0
	v_cndmask_b32_e32 v63, 0, v63, vcc
	v_cmp_nlt_f32_e32 vcc, s25, v61
	v_mul_f32_e32 v61, 0x3fb8aa3b, v7
	v_fma_f32 v65, v7, s20, -v61
	v_rndne_f32_e32 v66, v61
	v_fmac_f32_e32 v65, 0x32a5705f, v7
	v_sub_f32_e32 v61, v61, v66
	v_add_f32_e32 v61, v61, v65
	v_exp_f32_e32 v61, v61
	v_cvt_i32_f32_e32 v65, v66
	v_cndmask_b32_e32 v63, v46, v63, vcc
	v_cmp_ngt_f32_e32 vcc, s21, v7
	v_ldexp_f32 v61, v61, v65
	s_nop 0
	v_cndmask_b32_e32 v61, 0, v61, vcc
	v_cmp_nlt_f32_e32 vcc, s25, v7
	s_nop 1
	v_cndmask_b32_e32 v65, v46, v61, vcc
	v_sub_f32_e32 v61, v73, v2
	v_mul_f32_e32 v66, 0x3fb8aa3b, v61
	v_fma_f32 v67, v61, s20, -v66
	v_rndne_f32_e32 v69, v66
	v_fmac_f32_e32 v67, 0x32a5705f, v61
	v_sub_f32_e32 v66, v66, v69
	v_add_f32_e32 v66, v66, v67
	v_exp_f32_e32 v66, v66
	v_cvt_i32_f32_e32 v67, v69
	v_cmp_ngt_f32_e32 vcc, s21, v61
	v_cvt_f16_f32_e32 v7, v65
	v_ldexp_f32 v66, v66, v67
	v_cndmask_b32_e32 v66, 0, v66, vcc
	v_cmp_nlt_f32_e32 vcc, s25, v61
	v_sub_f32_e32 v61, v68, v2
	v_mul_f32_e32 v67, 0x3fb8aa3b, v61
	v_fma_f32 v68, v61, s20, -v67
	v_rndne_f32_e32 v69, v67
	v_fmac_f32_e32 v68, 0x32a5705f, v61
	v_sub_f32_e32 v67, v67, v69
	v_add_f32_e32 v67, v67, v68
	v_exp_f32_e32 v67, v67
	v_cvt_i32_f32_e32 v68, v69
	v_cndmask_b32_e32 v66, v46, v66, vcc
	v_cmp_ngt_f32_e32 vcc, s21, v61
	v_mul_u32_u24_e32 v7, 0x10001, v7
	v_ldexp_f32 v67, v67, v68
	v_cndmask_b32_e32 v67, 0, v67, vcc
	v_cmp_nlt_f32_e32 vcc, s25, v61
	v_mul_f32_e32 v61, 0x3fb8aa3b, v60
	v_rndne_f32_e32 v69, v61
	v_cndmask_b32_e32 v68, v46, v67, vcc
	v_fma_f32 v67, v60, s20, -v61
	v_fmac_f32_e32 v67, 0x32a5705f, v60
	v_sub_f32_e32 v61, v61, v69
	v_add_f32_e32 v61, v61, v67
	v_exp_f32_e32 v61, v61
	v_cvt_i32_f32_e32 v67, v69
	v_cmp_ngt_f32_e32 vcc, s21, v60
	v_ldexp_f32 v61, v61, v67
	s_nop 0
	v_cndmask_b32_e32 v61, 0, v61, vcc
	v_cmp_nlt_f32_e32 vcc, s25, v60
	s_nop 1
	v_cndmask_b32_e32 v70, v46, v61, vcc
	v_sub_f32_e32 v61, v72, v3
	v_mul_f32_e32 v67, 0x3fb8aa3b, v61
	v_fma_f32 v69, v61, s20, -v67
	v_rndne_f32_e32 v71, v67
	v_fmac_f32_e32 v69, 0x32a5705f, v61
	v_sub_f32_e32 v67, v67, v71
	v_add_f32_e32 v67, v67, v69
	v_exp_f32_e32 v67, v67
	v_cvt_i32_f32_e32 v69, v71
	v_cmp_ngt_f32_e32 vcc, s21, v61
	v_cvt_f16_f32_e32 v60, v70
	v_ldexp_f32 v67, v67, v69
	v_cndmask_b32_e32 v67, 0, v67, vcc
	v_cmp_nlt_f32_e32 vcc, s25, v61
	v_sub_f32_e32 v61, v74, v3
	v_mul_f32_e32 v69, 0x3fb8aa3b, v61
	v_fma_f32 v71, v61, s20, -v69
	v_rndne_f32_e32 v72, v69
	v_fmac_f32_e32 v71, 0x32a5705f, v61
	v_sub_f32_e32 v69, v69, v72
	v_add_f32_e32 v69, v69, v71
	v_exp_f32_e32 v69, v69
	v_cvt_i32_f32_e32 v71, v72
	v_cndmask_b32_e32 v67, v46, v67, vcc
	v_cmp_ngt_f32_e32 vcc, s21, v61
	v_mul_u32_u24_e32 v60, 0x10001, v60
	v_ldexp_f32 v69, v69, v71
	v_cndmask_b32_e32 v69, 0, v69, vcc
	v_cmp_nlt_f32_e32 vcc, s25, v61
	v_mul_f32_e32 v61, 0x3fb8aa3b, v59
	v_fma_f32 v71, v59, s20, -v61
	v_rndne_f32_e32 v72, v61
	v_fmac_f32_e32 v71, 0x32a5705f, v59
	v_sub_f32_e32 v61, v61, v72
	v_cndmask_b32_e32 v69, v46, v69, vcc
	v_add_f32_e32 v61, v61, v71
	v_cvt_i32_f32_e32 v71, v72
	v_pk_add_f32 v[72:73], v[4:5], v[62:63]
	v_pk_add_f32 v[74:75], v[66:67], v[68:69]
	v_pk_fma_f32 v[10:11], v[10:11], v[64:65], v[72:73]
	v_cvt_pk_f16_f32 v65, v66, v67
	v_cvt_pk_f16_f32 v64, v4, v5
	;; [unrolled: 1-line block ×4, first 2 shown]
	ds_write2_b64 v47, v[64:65], v[4:5] offset1:32
	v_lshl_add_u64 v[4:5], v[18:19], 2, s[6:7]
	v_lshl_add_u64 v[4:5], v[4:5], 0, v[12:13]
	;; [unrolled: 1-line block ×4, first 2 shown]
	global_load_dwordx4 v[62:65], v[4:5], off
	v_exp_f32_e32 v61, v61
	v_cmp_ngt_f32_e32 vcc, s21, v59
	v_ldexp_f32 v61, v61, v71
	s_nop 0
	v_cndmask_b32_e32 v61, 0, v61, vcc
	v_cmp_nlt_f32_e32 vcc, s25, v59
	s_waitcnt vmcnt(0)
	ds_write_b128 v44, v[62:65]
	global_load_dwordx4 v[62:65], v[66:67], off
	v_cndmask_b32_e32 v71, v46, v61, vcc
	v_cvt_f16_f32_e32 v59, v71
	v_pk_fma_f32 v[8:9], v[8:9], v[70:71], v[74:75]
	v_mul_u32_u24_e32 v59, 0x10001, v59
	v_pk_mul_f16 v58, v58, v59
	s_waitcnt vmcnt(0)
	ds_write_b128 v45, v[62:65]
	s_waitcnt lgkmcnt(0)
	s_barrier
	ds_read2_b32 v[4:5], v36 offset1:32
	ds_read_b128 v[62:65], v43
	ds_read_b128 v[66:69], v43 offset:16
	ds_read_b128 v[70:73], v43 offset:32
	;; [unrolled: 1-line block ×3, first 2 shown]
	s_waitcnt lgkmcnt(3)
	v_mul_u32_u24_sdwa v59, v62, s26 dst_sel:DWORD dst_unused:UNUSED_PAD src0_sel:WORD_0 src1_sel:DWORD
	v_mul_u32_u24_sdwa v61, v62, s26 dst_sel:DWORD dst_unused:UNUSED_PAD src0_sel:WORD_1 src1_sel:DWORD
	v_pk_mul_f16 v59, v4, v59
	v_mul_u32_u24_sdwa v62, v63, s26 dst_sel:DWORD dst_unused:UNUSED_PAD src0_sel:WORD_0 src1_sel:DWORD
	v_pk_fma_f16 v6, v57, v6, v59
	v_pk_mul_f16 v57, v4, v61
	v_mul_u32_u24_sdwa v63, v63, s26 dst_sel:DWORD dst_unused:UNUSED_PAD src0_sel:WORD_1 src1_sel:DWORD
	v_pk_fma_f16 v7, v56, v7, v57
	v_pk_mul_f16 v56, v4, v62
	v_pk_fma_f16 v4, v4, v63, v58
	v_pk_fma_f16 v55, v55, v60, v56
	v_mul_u32_u24_sdwa v56, v64, s26 dst_sel:DWORD dst_unused:UNUSED_PAD src0_sel:WORD_0 src1_sel:DWORD
	v_mul_u32_u24_sdwa v57, v64, s26 dst_sel:DWORD dst_unused:UNUSED_PAD src0_sel:WORD_1 src1_sel:DWORD
	v_mul_u32_u24_sdwa v58, v65, s26 dst_sel:DWORD dst_unused:UNUSED_PAD src0_sel:WORD_0 src1_sel:DWORD
	v_mul_u32_u24_sdwa v59, v65, s26 dst_sel:DWORD dst_unused:UNUSED_PAD src0_sel:WORD_1 src1_sel:DWORD
	v_pk_fma_f16 v6, v5, v56, v6
	v_pk_fma_f16 v7, v5, v57, v7
	;; [unrolled: 1-line block ×4, first 2 shown]
	ds_read2_b32 v[4:5], v36 offset0:64 offset1:96
	s_waitcnt lgkmcnt(3)
	v_mul_u32_u24_sdwa v57, v66, s26 dst_sel:DWORD dst_unused:UNUSED_PAD src0_sel:WORD_0 src1_sel:DWORD
	v_mul_u32_u24_sdwa v58, v66, s26 dst_sel:DWORD dst_unused:UNUSED_PAD src0_sel:WORD_1 src1_sel:DWORD
	v_mul_u32_u24_sdwa v59, v67, s26 dst_sel:DWORD dst_unused:UNUSED_PAD src0_sel:WORD_0 src1_sel:DWORD
	v_mul_u32_u24_sdwa v60, v67, s26 dst_sel:DWORD dst_unused:UNUSED_PAD src0_sel:WORD_1 src1_sel:DWORD
	s_waitcnt lgkmcnt(0)
	v_pk_fma_f16 v6, v4, v57, v6
	v_pk_fma_f16 v7, v4, v58, v7
	v_pk_fma_f16 v55, v4, v59, v55
	v_pk_fma_f16 v4, v4, v60, v56
	v_mul_u32_u24_sdwa v56, v68, s26 dst_sel:DWORD dst_unused:UNUSED_PAD src0_sel:WORD_0 src1_sel:DWORD
	v_mul_u32_u24_sdwa v57, v68, s26 dst_sel:DWORD dst_unused:UNUSED_PAD src0_sel:WORD_1 src1_sel:DWORD
	v_mul_u32_u24_sdwa v58, v69, s26 dst_sel:DWORD dst_unused:UNUSED_PAD src0_sel:WORD_0 src1_sel:DWORD
	v_mul_u32_u24_sdwa v59, v69, s26 dst_sel:DWORD dst_unused:UNUSED_PAD src0_sel:WORD_1 src1_sel:DWORD
	v_pk_fma_f16 v6, v5, v56, v6
	v_pk_fma_f16 v7, v5, v57, v7
	;; [unrolled: 1-line block ×4, first 2 shown]
	ds_read2_b32 v[4:5], v36 offset0:128 offset1:160
	v_mul_u32_u24_sdwa v57, v70, s26 dst_sel:DWORD dst_unused:UNUSED_PAD src0_sel:WORD_0 src1_sel:DWORD
	v_mul_u32_u24_sdwa v58, v70, s26 dst_sel:DWORD dst_unused:UNUSED_PAD src0_sel:WORD_1 src1_sel:DWORD
	v_mul_u32_u24_sdwa v59, v71, s26 dst_sel:DWORD dst_unused:UNUSED_PAD src0_sel:WORD_0 src1_sel:DWORD
	v_mul_u32_u24_sdwa v60, v71, s26 dst_sel:DWORD dst_unused:UNUSED_PAD src0_sel:WORD_1 src1_sel:DWORD
	s_waitcnt lgkmcnt(0)
	v_pk_fma_f16 v6, v4, v57, v6
	v_pk_fma_f16 v7, v4, v58, v7
	;; [unrolled: 1-line block ×4, first 2 shown]
	v_mul_u32_u24_sdwa v56, v72, s26 dst_sel:DWORD dst_unused:UNUSED_PAD src0_sel:WORD_0 src1_sel:DWORD
	v_mul_u32_u24_sdwa v57, v72, s26 dst_sel:DWORD dst_unused:UNUSED_PAD src0_sel:WORD_1 src1_sel:DWORD
	v_mul_u32_u24_sdwa v58, v73, s26 dst_sel:DWORD dst_unused:UNUSED_PAD src0_sel:WORD_0 src1_sel:DWORD
	v_mul_u32_u24_sdwa v59, v73, s26 dst_sel:DWORD dst_unused:UNUSED_PAD src0_sel:WORD_1 src1_sel:DWORD
	v_pk_fma_f16 v6, v5, v56, v6
	v_pk_fma_f16 v7, v5, v57, v7
	;; [unrolled: 1-line block ×4, first 2 shown]
	ds_read2_b32 v[4:5], v36 offset0:192 offset1:224
	v_mul_u32_u24_sdwa v57, v74, s26 dst_sel:DWORD dst_unused:UNUSED_PAD src0_sel:WORD_0 src1_sel:DWORD
	v_mul_u32_u24_sdwa v58, v74, s26 dst_sel:DWORD dst_unused:UNUSED_PAD src0_sel:WORD_1 src1_sel:DWORD
	v_mul_u32_u24_sdwa v59, v75, s26 dst_sel:DWORD dst_unused:UNUSED_PAD src0_sel:WORD_0 src1_sel:DWORD
	v_mul_u32_u24_sdwa v60, v75, s26 dst_sel:DWORD dst_unused:UNUSED_PAD src0_sel:WORD_1 src1_sel:DWORD
	s_waitcnt lgkmcnt(0)
	v_pk_fma_f16 v6, v4, v57, v6
	v_pk_fma_f16 v7, v4, v58, v7
	;; [unrolled: 1-line block ×4, first 2 shown]
	v_mul_u32_u24_sdwa v56, v76, s26 dst_sel:DWORD dst_unused:UNUSED_PAD src0_sel:WORD_0 src1_sel:DWORD
	v_mul_u32_u24_sdwa v57, v76, s26 dst_sel:DWORD dst_unused:UNUSED_PAD src0_sel:WORD_1 src1_sel:DWORD
	v_mul_u32_u24_sdwa v58, v77, s26 dst_sel:DWORD dst_unused:UNUSED_PAD src0_sel:WORD_0 src1_sel:DWORD
	v_mul_u32_u24_sdwa v59, v77, s26 dst_sel:DWORD dst_unused:UNUSED_PAD src0_sel:WORD_1 src1_sel:DWORD
	v_pk_fma_f16 v60, v5, v56, v6
	v_pk_fma_f16 v61, v5, v57, v7
	;; [unrolled: 1-line block ×4, first 2 shown]
	ds_read2_b32 v[56:57], v48 offset1:32
	ds_read_b128 v[4:7], v43 offset:64
	s_waitcnt lgkmcnt(0)
	v_mul_u32_u24_sdwa v59, v4, s26 dst_sel:DWORD dst_unused:UNUSED_PAD src0_sel:WORD_0 src1_sel:DWORD
	v_mul_u32_u24_sdwa v4, v4, s26 dst_sel:DWORD dst_unused:UNUSED_PAD src0_sel:WORD_1 src1_sel:DWORD
	v_mul_u32_u24_sdwa v62, v5, s26 dst_sel:DWORD dst_unused:UNUSED_PAD src0_sel:WORD_0 src1_sel:DWORD
	v_mul_u32_u24_sdwa v5, v5, s26 dst_sel:DWORD dst_unused:UNUSED_PAD src0_sel:WORD_1 src1_sel:DWORD
	v_pk_fma_f16 v59, v56, v59, v60
	v_pk_fma_f16 v4, v56, v4, v61
	v_pk_fma_f16 v55, v56, v62, v55
	v_pk_fma_f16 v5, v56, v5, v58
	v_mul_u32_u24_sdwa v56, v6, s26 dst_sel:DWORD dst_unused:UNUSED_PAD src0_sel:WORD_0 src1_sel:DWORD
	v_mul_u32_u24_sdwa v6, v6, s26 dst_sel:DWORD dst_unused:UNUSED_PAD src0_sel:WORD_1 src1_sel:DWORD
	v_mul_u32_u24_sdwa v58, v7, s26 dst_sel:DWORD dst_unused:UNUSED_PAD src0_sel:WORD_0 src1_sel:DWORD
	v_mul_u32_u24_sdwa v7, v7, s26 dst_sel:DWORD dst_unused:UNUSED_PAD src0_sel:WORD_1 src1_sel:DWORD
	v_pk_fma_f16 v59, v57, v56, v59
	v_pk_fma_f16 v60, v57, v6, v4
	v_pk_fma_f16 v55, v57, v58, v55
	v_pk_fma_f16 v58, v57, v7, v5
	ds_read2_b32 v[56:57], v48 offset0:64 offset1:96
	ds_read_b128 v[4:7], v43 offset:80
	s_waitcnt lgkmcnt(0)
	v_mul_u32_u24_sdwa v61, v4, s26 dst_sel:DWORD dst_unused:UNUSED_PAD src0_sel:WORD_0 src1_sel:DWORD
	v_mul_u32_u24_sdwa v4, v4, s26 dst_sel:DWORD dst_unused:UNUSED_PAD src0_sel:WORD_1 src1_sel:DWORD
	v_mul_u32_u24_sdwa v62, v5, s26 dst_sel:DWORD dst_unused:UNUSED_PAD src0_sel:WORD_0 src1_sel:DWORD
	v_mul_u32_u24_sdwa v5, v5, s26 dst_sel:DWORD dst_unused:UNUSED_PAD src0_sel:WORD_1 src1_sel:DWORD
	v_pk_fma_f16 v59, v56, v61, v59
	v_pk_fma_f16 v4, v56, v4, v60
	v_pk_fma_f16 v55, v56, v62, v55
	v_pk_fma_f16 v5, v56, v5, v58
	v_mul_u32_u24_sdwa v56, v6, s26 dst_sel:DWORD dst_unused:UNUSED_PAD src0_sel:WORD_0 src1_sel:DWORD
	v_mul_u32_u24_sdwa v6, v6, s26 dst_sel:DWORD dst_unused:UNUSED_PAD src0_sel:WORD_1 src1_sel:DWORD
	v_mul_u32_u24_sdwa v58, v7, s26 dst_sel:DWORD dst_unused:UNUSED_PAD src0_sel:WORD_0 src1_sel:DWORD
	v_mul_u32_u24_sdwa v7, v7, s26 dst_sel:DWORD dst_unused:UNUSED_PAD src0_sel:WORD_1 src1_sel:DWORD
	v_pk_fma_f16 v59, v57, v56, v59
	v_pk_fma_f16 v60, v57, v6, v4
	v_pk_fma_f16 v55, v57, v58, v55
	v_pk_fma_f16 v58, v57, v7, v5
	ds_read2_b32 v[56:57], v48 offset0:128 offset1:160
	ds_read_b128 v[4:7], v43 offset:96
	s_waitcnt lgkmcnt(0)
	v_mul_u32_u24_sdwa v61, v4, s26 dst_sel:DWORD dst_unused:UNUSED_PAD src0_sel:WORD_0 src1_sel:DWORD
	v_mul_u32_u24_sdwa v4, v4, s26 dst_sel:DWORD dst_unused:UNUSED_PAD src0_sel:WORD_1 src1_sel:DWORD
	v_mul_u32_u24_sdwa v62, v5, s26 dst_sel:DWORD dst_unused:UNUSED_PAD src0_sel:WORD_0 src1_sel:DWORD
	v_mul_u32_u24_sdwa v5, v5, s26 dst_sel:DWORD dst_unused:UNUSED_PAD src0_sel:WORD_1 src1_sel:DWORD
	v_pk_fma_f16 v59, v56, v61, v59
	v_pk_fma_f16 v4, v56, v4, v60
	v_pk_fma_f16 v55, v56, v62, v55
	v_pk_fma_f16 v5, v56, v5, v58
	v_mul_u32_u24_sdwa v56, v6, s26 dst_sel:DWORD dst_unused:UNUSED_PAD src0_sel:WORD_0 src1_sel:DWORD
	v_mul_u32_u24_sdwa v6, v6, s26 dst_sel:DWORD dst_unused:UNUSED_PAD src0_sel:WORD_1 src1_sel:DWORD
	v_mul_u32_u24_sdwa v58, v7, s26 dst_sel:DWORD dst_unused:UNUSED_PAD src0_sel:WORD_0 src1_sel:DWORD
	v_mul_u32_u24_sdwa v7, v7, s26 dst_sel:DWORD dst_unused:UNUSED_PAD src0_sel:WORD_1 src1_sel:DWORD
	v_pk_fma_f16 v59, v57, v56, v59
	v_pk_fma_f16 v60, v57, v6, v4
	v_pk_fma_f16 v55, v57, v58, v55
	v_pk_fma_f16 v58, v57, v7, v5
	ds_read2_b32 v[56:57], v48 offset0:192 offset1:224
	ds_read_b128 v[4:7], v43 offset:112
	s_waitcnt lgkmcnt(0)
	v_mul_u32_u24_sdwa v61, v4, s26 dst_sel:DWORD dst_unused:UNUSED_PAD src0_sel:WORD_0 src1_sel:DWORD
	v_mul_u32_u24_sdwa v4, v4, s26 dst_sel:DWORD dst_unused:UNUSED_PAD src0_sel:WORD_1 src1_sel:DWORD
	v_mul_u32_u24_sdwa v62, v5, s26 dst_sel:DWORD dst_unused:UNUSED_PAD src0_sel:WORD_0 src1_sel:DWORD
	v_mul_u32_u24_sdwa v5, v5, s26 dst_sel:DWORD dst_unused:UNUSED_PAD src0_sel:WORD_1 src1_sel:DWORD
	v_pk_fma_f16 v59, v56, v61, v59
	v_pk_fma_f16 v4, v56, v4, v60
	;; [unrolled: 1-line block ×4, first 2 shown]
	v_mul_u32_u24_sdwa v56, v6, s26 dst_sel:DWORD dst_unused:UNUSED_PAD src0_sel:WORD_0 src1_sel:DWORD
	v_mul_u32_u24_sdwa v6, v6, s26 dst_sel:DWORD dst_unused:UNUSED_PAD src0_sel:WORD_1 src1_sel:DWORD
	v_mul_u32_u24_sdwa v58, v7, s26 dst_sel:DWORD dst_unused:UNUSED_PAD src0_sel:WORD_0 src1_sel:DWORD
	v_mul_u32_u24_sdwa v7, v7, s26 dst_sel:DWORD dst_unused:UNUSED_PAD src0_sel:WORD_1 src1_sel:DWORD
	v_pk_fma_f16 v59, v57, v56, v59
	v_pk_fma_f16 v60, v57, v6, v4
	;; [unrolled: 1-line block ×4, first 2 shown]
	ds_read2_b32 v[56:57], v49 offset1:32
	ds_read_b128 v[4:7], v43 offset:128
	s_waitcnt lgkmcnt(0)
	v_mul_u32_u24_sdwa v61, v4, s26 dst_sel:DWORD dst_unused:UNUSED_PAD src0_sel:WORD_0 src1_sel:DWORD
	v_mul_u32_u24_sdwa v4, v4, s26 dst_sel:DWORD dst_unused:UNUSED_PAD src0_sel:WORD_1 src1_sel:DWORD
	v_mul_u32_u24_sdwa v62, v5, s26 dst_sel:DWORD dst_unused:UNUSED_PAD src0_sel:WORD_0 src1_sel:DWORD
	v_mul_u32_u24_sdwa v5, v5, s26 dst_sel:DWORD dst_unused:UNUSED_PAD src0_sel:WORD_1 src1_sel:DWORD
	v_pk_fma_f16 v59, v56, v61, v59
	v_pk_fma_f16 v4, v56, v4, v60
	v_pk_fma_f16 v55, v56, v62, v55
	v_pk_fma_f16 v5, v56, v5, v58
	v_mul_u32_u24_sdwa v56, v6, s26 dst_sel:DWORD dst_unused:UNUSED_PAD src0_sel:WORD_0 src1_sel:DWORD
	v_mul_u32_u24_sdwa v6, v6, s26 dst_sel:DWORD dst_unused:UNUSED_PAD src0_sel:WORD_1 src1_sel:DWORD
	v_mul_u32_u24_sdwa v58, v7, s26 dst_sel:DWORD dst_unused:UNUSED_PAD src0_sel:WORD_0 src1_sel:DWORD
	v_mul_u32_u24_sdwa v7, v7, s26 dst_sel:DWORD dst_unused:UNUSED_PAD src0_sel:WORD_1 src1_sel:DWORD
	v_pk_fma_f16 v59, v57, v56, v59
	v_pk_fma_f16 v60, v57, v6, v4
	v_pk_fma_f16 v55, v57, v58, v55
	v_pk_fma_f16 v58, v57, v7, v5
	ds_read2_b32 v[56:57], v49 offset0:64 offset1:96
	ds_read_b128 v[4:7], v43 offset:144
	s_waitcnt lgkmcnt(0)
	v_mul_u32_u24_sdwa v61, v4, s26 dst_sel:DWORD dst_unused:UNUSED_PAD src0_sel:WORD_0 src1_sel:DWORD
	v_mul_u32_u24_sdwa v4, v4, s26 dst_sel:DWORD dst_unused:UNUSED_PAD src0_sel:WORD_1 src1_sel:DWORD
	v_mul_u32_u24_sdwa v62, v5, s26 dst_sel:DWORD dst_unused:UNUSED_PAD src0_sel:WORD_0 src1_sel:DWORD
	v_mul_u32_u24_sdwa v5, v5, s26 dst_sel:DWORD dst_unused:UNUSED_PAD src0_sel:WORD_1 src1_sel:DWORD
	v_pk_fma_f16 v59, v56, v61, v59
	v_pk_fma_f16 v4, v56, v4, v60
	v_pk_fma_f16 v55, v56, v62, v55
	v_pk_fma_f16 v5, v56, v5, v58
	v_mul_u32_u24_sdwa v56, v6, s26 dst_sel:DWORD dst_unused:UNUSED_PAD src0_sel:WORD_0 src1_sel:DWORD
	v_mul_u32_u24_sdwa v6, v6, s26 dst_sel:DWORD dst_unused:UNUSED_PAD src0_sel:WORD_1 src1_sel:DWORD
	v_mul_u32_u24_sdwa v58, v7, s26 dst_sel:DWORD dst_unused:UNUSED_PAD src0_sel:WORD_0 src1_sel:DWORD
	v_mul_u32_u24_sdwa v7, v7, s26 dst_sel:DWORD dst_unused:UNUSED_PAD src0_sel:WORD_1 src1_sel:DWORD
	v_pk_fma_f16 v59, v57, v56, v59
	v_pk_fma_f16 v60, v57, v6, v4
	v_pk_fma_f16 v55, v57, v58, v55
	v_pk_fma_f16 v58, v57, v7, v5
	ds_read2_b32 v[56:57], v49 offset0:128 offset1:160
	;; [unrolled: 19-line block ×3, first 2 shown]
	ds_read_b128 v[4:7], v43 offset:176
	s_waitcnt lgkmcnt(0)
	v_mul_u32_u24_sdwa v61, v4, s26 dst_sel:DWORD dst_unused:UNUSED_PAD src0_sel:WORD_0 src1_sel:DWORD
	v_mul_u32_u24_sdwa v4, v4, s26 dst_sel:DWORD dst_unused:UNUSED_PAD src0_sel:WORD_1 src1_sel:DWORD
	v_mul_u32_u24_sdwa v62, v5, s26 dst_sel:DWORD dst_unused:UNUSED_PAD src0_sel:WORD_0 src1_sel:DWORD
	v_mul_u32_u24_sdwa v5, v5, s26 dst_sel:DWORD dst_unused:UNUSED_PAD src0_sel:WORD_1 src1_sel:DWORD
	v_pk_fma_f16 v59, v56, v61, v59
	v_pk_fma_f16 v4, v56, v4, v60
	;; [unrolled: 1-line block ×4, first 2 shown]
	v_mul_u32_u24_sdwa v56, v6, s26 dst_sel:DWORD dst_unused:UNUSED_PAD src0_sel:WORD_0 src1_sel:DWORD
	v_mul_u32_u24_sdwa v6, v6, s26 dst_sel:DWORD dst_unused:UNUSED_PAD src0_sel:WORD_1 src1_sel:DWORD
	v_mul_u32_u24_sdwa v58, v7, s26 dst_sel:DWORD dst_unused:UNUSED_PAD src0_sel:WORD_0 src1_sel:DWORD
	v_mul_u32_u24_sdwa v7, v7, s26 dst_sel:DWORD dst_unused:UNUSED_PAD src0_sel:WORD_1 src1_sel:DWORD
	v_pk_fma_f16 v59, v57, v56, v59
	v_pk_fma_f16 v60, v57, v6, v4
	;; [unrolled: 1-line block ×4, first 2 shown]
	ds_read2_b32 v[56:57], v50 offset1:32
	ds_read_b128 v[4:7], v43 offset:192
	s_waitcnt lgkmcnt(0)
	v_mul_u32_u24_sdwa v61, v4, s26 dst_sel:DWORD dst_unused:UNUSED_PAD src0_sel:WORD_0 src1_sel:DWORD
	v_mul_u32_u24_sdwa v4, v4, s26 dst_sel:DWORD dst_unused:UNUSED_PAD src0_sel:WORD_1 src1_sel:DWORD
	v_mul_u32_u24_sdwa v62, v5, s26 dst_sel:DWORD dst_unused:UNUSED_PAD src0_sel:WORD_0 src1_sel:DWORD
	v_mul_u32_u24_sdwa v5, v5, s26 dst_sel:DWORD dst_unused:UNUSED_PAD src0_sel:WORD_1 src1_sel:DWORD
	v_pk_fma_f16 v59, v56, v61, v59
	v_pk_fma_f16 v4, v56, v4, v60
	v_pk_fma_f16 v55, v56, v62, v55
	v_pk_fma_f16 v5, v56, v5, v58
	v_mul_u32_u24_sdwa v56, v6, s26 dst_sel:DWORD dst_unused:UNUSED_PAD src0_sel:WORD_0 src1_sel:DWORD
	v_mul_u32_u24_sdwa v6, v6, s26 dst_sel:DWORD dst_unused:UNUSED_PAD src0_sel:WORD_1 src1_sel:DWORD
	v_mul_u32_u24_sdwa v58, v7, s26 dst_sel:DWORD dst_unused:UNUSED_PAD src0_sel:WORD_0 src1_sel:DWORD
	v_mul_u32_u24_sdwa v7, v7, s26 dst_sel:DWORD dst_unused:UNUSED_PAD src0_sel:WORD_1 src1_sel:DWORD
	v_pk_fma_f16 v59, v57, v56, v59
	v_pk_fma_f16 v60, v57, v6, v4
	v_pk_fma_f16 v55, v57, v58, v55
	v_pk_fma_f16 v58, v57, v7, v5
	ds_read2_b32 v[56:57], v50 offset0:64 offset1:96
	ds_read_b128 v[4:7], v43 offset:208
	s_waitcnt lgkmcnt(0)
	v_mul_u32_u24_sdwa v61, v4, s26 dst_sel:DWORD dst_unused:UNUSED_PAD src0_sel:WORD_0 src1_sel:DWORD
	v_mul_u32_u24_sdwa v4, v4, s26 dst_sel:DWORD dst_unused:UNUSED_PAD src0_sel:WORD_1 src1_sel:DWORD
	v_mul_u32_u24_sdwa v62, v5, s26 dst_sel:DWORD dst_unused:UNUSED_PAD src0_sel:WORD_0 src1_sel:DWORD
	v_mul_u32_u24_sdwa v5, v5, s26 dst_sel:DWORD dst_unused:UNUSED_PAD src0_sel:WORD_1 src1_sel:DWORD
	v_pk_fma_f16 v59, v56, v61, v59
	v_pk_fma_f16 v4, v56, v4, v60
	v_pk_fma_f16 v55, v56, v62, v55
	v_pk_fma_f16 v5, v56, v5, v58
	v_mul_u32_u24_sdwa v56, v6, s26 dst_sel:DWORD dst_unused:UNUSED_PAD src0_sel:WORD_0 src1_sel:DWORD
	v_mul_u32_u24_sdwa v6, v6, s26 dst_sel:DWORD dst_unused:UNUSED_PAD src0_sel:WORD_1 src1_sel:DWORD
	v_mul_u32_u24_sdwa v58, v7, s26 dst_sel:DWORD dst_unused:UNUSED_PAD src0_sel:WORD_0 src1_sel:DWORD
	v_mul_u32_u24_sdwa v7, v7, s26 dst_sel:DWORD dst_unused:UNUSED_PAD src0_sel:WORD_1 src1_sel:DWORD
	v_pk_fma_f16 v59, v57, v56, v59
	v_pk_fma_f16 v60, v57, v6, v4
	v_pk_fma_f16 v55, v57, v58, v55
	v_pk_fma_f16 v58, v57, v7, v5
	ds_read2_b32 v[56:57], v50 offset0:128 offset1:160
	;; [unrolled: 19-line block ×3, first 2 shown]
	ds_read_b128 v[4:7], v43 offset:240
	s_waitcnt lgkmcnt(0)
	v_mul_u32_u24_sdwa v61, v4, s26 dst_sel:DWORD dst_unused:UNUSED_PAD src0_sel:WORD_0 src1_sel:DWORD
	v_mul_u32_u24_sdwa v4, v4, s26 dst_sel:DWORD dst_unused:UNUSED_PAD src0_sel:WORD_1 src1_sel:DWORD
	v_mul_u32_u24_sdwa v62, v5, s26 dst_sel:DWORD dst_unused:UNUSED_PAD src0_sel:WORD_0 src1_sel:DWORD
	v_mul_u32_u24_sdwa v5, v5, s26 dst_sel:DWORD dst_unused:UNUSED_PAD src0_sel:WORD_1 src1_sel:DWORD
	v_pk_fma_f16 v59, v56, v61, v59
	v_pk_fma_f16 v4, v56, v4, v60
	;; [unrolled: 1-line block ×4, first 2 shown]
	v_mul_u32_u24_sdwa v56, v6, s26 dst_sel:DWORD dst_unused:UNUSED_PAD src0_sel:WORD_0 src1_sel:DWORD
	v_mul_u32_u24_sdwa v6, v6, s26 dst_sel:DWORD dst_unused:UNUSED_PAD src0_sel:WORD_1 src1_sel:DWORD
	v_mul_u32_u24_sdwa v58, v7, s26 dst_sel:DWORD dst_unused:UNUSED_PAD src0_sel:WORD_0 src1_sel:DWORD
	v_mul_u32_u24_sdwa v7, v7, s26 dst_sel:DWORD dst_unused:UNUSED_PAD src0_sel:WORD_1 src1_sel:DWORD
	v_pk_fma_f16 v59, v57, v56, v59
	v_pk_fma_f16 v60, v57, v6, v4
	;; [unrolled: 1-line block ×4, first 2 shown]
	ds_read2_b32 v[56:57], v51 offset1:32
	ds_read_b128 v[4:7], v43 offset:256
	s_waitcnt lgkmcnt(0)
	v_mul_u32_u24_sdwa v61, v4, s26 dst_sel:DWORD dst_unused:UNUSED_PAD src0_sel:WORD_0 src1_sel:DWORD
	v_mul_u32_u24_sdwa v4, v4, s26 dst_sel:DWORD dst_unused:UNUSED_PAD src0_sel:WORD_1 src1_sel:DWORD
	v_mul_u32_u24_sdwa v62, v5, s26 dst_sel:DWORD dst_unused:UNUSED_PAD src0_sel:WORD_0 src1_sel:DWORD
	v_mul_u32_u24_sdwa v5, v5, s26 dst_sel:DWORD dst_unused:UNUSED_PAD src0_sel:WORD_1 src1_sel:DWORD
	v_pk_fma_f16 v59, v56, v61, v59
	v_pk_fma_f16 v4, v56, v4, v60
	v_pk_fma_f16 v55, v56, v62, v55
	v_pk_fma_f16 v5, v56, v5, v58
	v_mul_u32_u24_sdwa v56, v6, s26 dst_sel:DWORD dst_unused:UNUSED_PAD src0_sel:WORD_0 src1_sel:DWORD
	v_mul_u32_u24_sdwa v6, v6, s26 dst_sel:DWORD dst_unused:UNUSED_PAD src0_sel:WORD_1 src1_sel:DWORD
	v_mul_u32_u24_sdwa v58, v7, s26 dst_sel:DWORD dst_unused:UNUSED_PAD src0_sel:WORD_0 src1_sel:DWORD
	v_mul_u32_u24_sdwa v7, v7, s26 dst_sel:DWORD dst_unused:UNUSED_PAD src0_sel:WORD_1 src1_sel:DWORD
	v_pk_fma_f16 v59, v57, v56, v59
	v_pk_fma_f16 v60, v57, v6, v4
	v_pk_fma_f16 v55, v57, v58, v55
	v_pk_fma_f16 v58, v57, v7, v5
	ds_read2_b32 v[56:57], v51 offset0:64 offset1:96
	ds_read_b128 v[4:7], v43 offset:272
	s_waitcnt lgkmcnt(0)
	v_mul_u32_u24_sdwa v61, v4, s26 dst_sel:DWORD dst_unused:UNUSED_PAD src0_sel:WORD_0 src1_sel:DWORD
	v_mul_u32_u24_sdwa v4, v4, s26 dst_sel:DWORD dst_unused:UNUSED_PAD src0_sel:WORD_1 src1_sel:DWORD
	v_mul_u32_u24_sdwa v62, v5, s26 dst_sel:DWORD dst_unused:UNUSED_PAD src0_sel:WORD_0 src1_sel:DWORD
	v_mul_u32_u24_sdwa v5, v5, s26 dst_sel:DWORD dst_unused:UNUSED_PAD src0_sel:WORD_1 src1_sel:DWORD
	v_pk_fma_f16 v59, v56, v61, v59
	v_pk_fma_f16 v4, v56, v4, v60
	v_pk_fma_f16 v55, v56, v62, v55
	v_pk_fma_f16 v5, v56, v5, v58
	v_mul_u32_u24_sdwa v56, v6, s26 dst_sel:DWORD dst_unused:UNUSED_PAD src0_sel:WORD_0 src1_sel:DWORD
	v_mul_u32_u24_sdwa v6, v6, s26 dst_sel:DWORD dst_unused:UNUSED_PAD src0_sel:WORD_1 src1_sel:DWORD
	v_mul_u32_u24_sdwa v58, v7, s26 dst_sel:DWORD dst_unused:UNUSED_PAD src0_sel:WORD_0 src1_sel:DWORD
	v_mul_u32_u24_sdwa v7, v7, s26 dst_sel:DWORD dst_unused:UNUSED_PAD src0_sel:WORD_1 src1_sel:DWORD
	v_pk_fma_f16 v59, v57, v56, v59
	v_pk_fma_f16 v60, v57, v6, v4
	v_pk_fma_f16 v55, v57, v58, v55
	v_pk_fma_f16 v58, v57, v7, v5
	ds_read2_b32 v[56:57], v51 offset0:128 offset1:160
	;; [unrolled: 19-line block ×3, first 2 shown]
	ds_read_b128 v[4:7], v43 offset:304
	s_waitcnt lgkmcnt(0)
	v_mul_u32_u24_sdwa v61, v4, s26 dst_sel:DWORD dst_unused:UNUSED_PAD src0_sel:WORD_0 src1_sel:DWORD
	v_mul_u32_u24_sdwa v4, v4, s26 dst_sel:DWORD dst_unused:UNUSED_PAD src0_sel:WORD_1 src1_sel:DWORD
	v_mul_u32_u24_sdwa v62, v5, s26 dst_sel:DWORD dst_unused:UNUSED_PAD src0_sel:WORD_0 src1_sel:DWORD
	v_mul_u32_u24_sdwa v5, v5, s26 dst_sel:DWORD dst_unused:UNUSED_PAD src0_sel:WORD_1 src1_sel:DWORD
	v_pk_fma_f16 v59, v56, v61, v59
	v_pk_fma_f16 v4, v56, v4, v60
	v_pk_fma_f16 v55, v56, v62, v55
	v_pk_fma_f16 v5, v56, v5, v58
	v_mul_u32_u24_sdwa v56, v6, s26 dst_sel:DWORD dst_unused:UNUSED_PAD src0_sel:WORD_0 src1_sel:DWORD
	v_mul_u32_u24_sdwa v6, v6, s26 dst_sel:DWORD dst_unused:UNUSED_PAD src0_sel:WORD_1 src1_sel:DWORD
	v_mul_u32_u24_sdwa v58, v7, s26 dst_sel:DWORD dst_unused:UNUSED_PAD src0_sel:WORD_0 src1_sel:DWORD
	v_mul_u32_u24_sdwa v7, v7, s26 dst_sel:DWORD dst_unused:UNUSED_PAD src0_sel:WORD_1 src1_sel:DWORD
	v_pk_fma_f16 v59, v57, v56, v59
	v_pk_fma_f16 v60, v57, v6, v4
	;; [unrolled: 1-line block ×4, first 2 shown]
	ds_read2_b32 v[56:57], v52 offset1:32
	ds_read_b128 v[4:7], v43 offset:320
	s_waitcnt lgkmcnt(0)
	v_mul_u32_u24_sdwa v61, v4, s26 dst_sel:DWORD dst_unused:UNUSED_PAD src0_sel:WORD_0 src1_sel:DWORD
	v_mul_u32_u24_sdwa v4, v4, s26 dst_sel:DWORD dst_unused:UNUSED_PAD src0_sel:WORD_1 src1_sel:DWORD
	v_mul_u32_u24_sdwa v62, v5, s26 dst_sel:DWORD dst_unused:UNUSED_PAD src0_sel:WORD_0 src1_sel:DWORD
	v_mul_u32_u24_sdwa v5, v5, s26 dst_sel:DWORD dst_unused:UNUSED_PAD src0_sel:WORD_1 src1_sel:DWORD
	v_pk_fma_f16 v59, v56, v61, v59
	v_pk_fma_f16 v4, v56, v4, v60
	v_pk_fma_f16 v55, v56, v62, v55
	v_pk_fma_f16 v5, v56, v5, v58
	v_mul_u32_u24_sdwa v56, v6, s26 dst_sel:DWORD dst_unused:UNUSED_PAD src0_sel:WORD_0 src1_sel:DWORD
	v_mul_u32_u24_sdwa v6, v6, s26 dst_sel:DWORD dst_unused:UNUSED_PAD src0_sel:WORD_1 src1_sel:DWORD
	v_mul_u32_u24_sdwa v58, v7, s26 dst_sel:DWORD dst_unused:UNUSED_PAD src0_sel:WORD_0 src1_sel:DWORD
	v_mul_u32_u24_sdwa v7, v7, s26 dst_sel:DWORD dst_unused:UNUSED_PAD src0_sel:WORD_1 src1_sel:DWORD
	v_pk_fma_f16 v59, v57, v56, v59
	v_pk_fma_f16 v60, v57, v6, v4
	v_pk_fma_f16 v55, v57, v58, v55
	v_pk_fma_f16 v58, v57, v7, v5
	ds_read2_b32 v[56:57], v52 offset0:64 offset1:96
	ds_read_b128 v[4:7], v43 offset:336
	s_waitcnt lgkmcnt(0)
	v_mul_u32_u24_sdwa v61, v4, s26 dst_sel:DWORD dst_unused:UNUSED_PAD src0_sel:WORD_0 src1_sel:DWORD
	v_mul_u32_u24_sdwa v4, v4, s26 dst_sel:DWORD dst_unused:UNUSED_PAD src0_sel:WORD_1 src1_sel:DWORD
	v_mul_u32_u24_sdwa v62, v5, s26 dst_sel:DWORD dst_unused:UNUSED_PAD src0_sel:WORD_0 src1_sel:DWORD
	v_mul_u32_u24_sdwa v5, v5, s26 dst_sel:DWORD dst_unused:UNUSED_PAD src0_sel:WORD_1 src1_sel:DWORD
	v_pk_fma_f16 v59, v56, v61, v59
	v_pk_fma_f16 v4, v56, v4, v60
	v_pk_fma_f16 v55, v56, v62, v55
	v_pk_fma_f16 v5, v56, v5, v58
	v_mul_u32_u24_sdwa v56, v6, s26 dst_sel:DWORD dst_unused:UNUSED_PAD src0_sel:WORD_0 src1_sel:DWORD
	v_mul_u32_u24_sdwa v6, v6, s26 dst_sel:DWORD dst_unused:UNUSED_PAD src0_sel:WORD_1 src1_sel:DWORD
	v_mul_u32_u24_sdwa v58, v7, s26 dst_sel:DWORD dst_unused:UNUSED_PAD src0_sel:WORD_0 src1_sel:DWORD
	v_mul_u32_u24_sdwa v7, v7, s26 dst_sel:DWORD dst_unused:UNUSED_PAD src0_sel:WORD_1 src1_sel:DWORD
	v_pk_fma_f16 v59, v57, v56, v59
	v_pk_fma_f16 v60, v57, v6, v4
	v_pk_fma_f16 v55, v57, v58, v55
	v_pk_fma_f16 v58, v57, v7, v5
	ds_read2_b32 v[56:57], v52 offset0:128 offset1:160
	;; [unrolled: 19-line block ×3, first 2 shown]
	ds_read_b128 v[4:7], v43 offset:368
	s_waitcnt lgkmcnt(0)
	v_mul_u32_u24_sdwa v61, v4, s26 dst_sel:DWORD dst_unused:UNUSED_PAD src0_sel:WORD_0 src1_sel:DWORD
	v_mul_u32_u24_sdwa v4, v4, s26 dst_sel:DWORD dst_unused:UNUSED_PAD src0_sel:WORD_1 src1_sel:DWORD
	v_mul_u32_u24_sdwa v62, v5, s26 dst_sel:DWORD dst_unused:UNUSED_PAD src0_sel:WORD_0 src1_sel:DWORD
	v_mul_u32_u24_sdwa v5, v5, s26 dst_sel:DWORD dst_unused:UNUSED_PAD src0_sel:WORD_1 src1_sel:DWORD
	v_pk_fma_f16 v59, v56, v61, v59
	v_pk_fma_f16 v4, v56, v4, v60
	;; [unrolled: 1-line block ×4, first 2 shown]
	v_mul_u32_u24_sdwa v56, v6, s26 dst_sel:DWORD dst_unused:UNUSED_PAD src0_sel:WORD_0 src1_sel:DWORD
	v_mul_u32_u24_sdwa v6, v6, s26 dst_sel:DWORD dst_unused:UNUSED_PAD src0_sel:WORD_1 src1_sel:DWORD
	v_mul_u32_u24_sdwa v58, v7, s26 dst_sel:DWORD dst_unused:UNUSED_PAD src0_sel:WORD_0 src1_sel:DWORD
	v_mul_u32_u24_sdwa v7, v7, s26 dst_sel:DWORD dst_unused:UNUSED_PAD src0_sel:WORD_1 src1_sel:DWORD
	v_pk_fma_f16 v59, v57, v56, v59
	v_pk_fma_f16 v60, v57, v6, v4
	;; [unrolled: 1-line block ×4, first 2 shown]
	ds_read2_b32 v[56:57], v53 offset1:32
	ds_read_b128 v[4:7], v43 offset:384
	s_waitcnt lgkmcnt(0)
	v_mul_u32_u24_sdwa v61, v4, s26 dst_sel:DWORD dst_unused:UNUSED_PAD src0_sel:WORD_0 src1_sel:DWORD
	v_mul_u32_u24_sdwa v4, v4, s26 dst_sel:DWORD dst_unused:UNUSED_PAD src0_sel:WORD_1 src1_sel:DWORD
	v_mul_u32_u24_sdwa v62, v5, s26 dst_sel:DWORD dst_unused:UNUSED_PAD src0_sel:WORD_0 src1_sel:DWORD
	v_mul_u32_u24_sdwa v5, v5, s26 dst_sel:DWORD dst_unused:UNUSED_PAD src0_sel:WORD_1 src1_sel:DWORD
	v_pk_fma_f16 v59, v56, v61, v59
	v_pk_fma_f16 v4, v56, v4, v60
	v_pk_fma_f16 v55, v56, v62, v55
	v_pk_fma_f16 v5, v56, v5, v58
	v_mul_u32_u24_sdwa v56, v6, s26 dst_sel:DWORD dst_unused:UNUSED_PAD src0_sel:WORD_0 src1_sel:DWORD
	v_mul_u32_u24_sdwa v6, v6, s26 dst_sel:DWORD dst_unused:UNUSED_PAD src0_sel:WORD_1 src1_sel:DWORD
	v_mul_u32_u24_sdwa v58, v7, s26 dst_sel:DWORD dst_unused:UNUSED_PAD src0_sel:WORD_0 src1_sel:DWORD
	v_mul_u32_u24_sdwa v7, v7, s26 dst_sel:DWORD dst_unused:UNUSED_PAD src0_sel:WORD_1 src1_sel:DWORD
	v_pk_fma_f16 v59, v57, v56, v59
	v_pk_fma_f16 v60, v57, v6, v4
	v_pk_fma_f16 v55, v57, v58, v55
	v_pk_fma_f16 v58, v57, v7, v5
	ds_read2_b32 v[56:57], v53 offset0:64 offset1:96
	ds_read_b128 v[4:7], v43 offset:400
	s_waitcnt lgkmcnt(0)
	v_mul_u32_u24_sdwa v61, v4, s26 dst_sel:DWORD dst_unused:UNUSED_PAD src0_sel:WORD_0 src1_sel:DWORD
	v_mul_u32_u24_sdwa v4, v4, s26 dst_sel:DWORD dst_unused:UNUSED_PAD src0_sel:WORD_1 src1_sel:DWORD
	v_mul_u32_u24_sdwa v62, v5, s26 dst_sel:DWORD dst_unused:UNUSED_PAD src0_sel:WORD_0 src1_sel:DWORD
	v_mul_u32_u24_sdwa v5, v5, s26 dst_sel:DWORD dst_unused:UNUSED_PAD src0_sel:WORD_1 src1_sel:DWORD
	v_pk_fma_f16 v59, v56, v61, v59
	v_pk_fma_f16 v4, v56, v4, v60
	v_pk_fma_f16 v55, v56, v62, v55
	v_pk_fma_f16 v5, v56, v5, v58
	v_mul_u32_u24_sdwa v56, v6, s26 dst_sel:DWORD dst_unused:UNUSED_PAD src0_sel:WORD_0 src1_sel:DWORD
	v_mul_u32_u24_sdwa v6, v6, s26 dst_sel:DWORD dst_unused:UNUSED_PAD src0_sel:WORD_1 src1_sel:DWORD
	v_mul_u32_u24_sdwa v58, v7, s26 dst_sel:DWORD dst_unused:UNUSED_PAD src0_sel:WORD_0 src1_sel:DWORD
	v_mul_u32_u24_sdwa v7, v7, s26 dst_sel:DWORD dst_unused:UNUSED_PAD src0_sel:WORD_1 src1_sel:DWORD
	v_pk_fma_f16 v59, v57, v56, v59
	v_pk_fma_f16 v60, v57, v6, v4
	v_pk_fma_f16 v55, v57, v58, v55
	v_pk_fma_f16 v58, v57, v7, v5
	ds_read2_b32 v[56:57], v53 offset0:128 offset1:160
	;; [unrolled: 19-line block ×3, first 2 shown]
	ds_read_b128 v[4:7], v43 offset:432
	s_waitcnt lgkmcnt(0)
	v_mul_u32_u24_sdwa v61, v4, s26 dst_sel:DWORD dst_unused:UNUSED_PAD src0_sel:WORD_0 src1_sel:DWORD
	v_mul_u32_u24_sdwa v4, v4, s26 dst_sel:DWORD dst_unused:UNUSED_PAD src0_sel:WORD_1 src1_sel:DWORD
	v_mul_u32_u24_sdwa v62, v5, s26 dst_sel:DWORD dst_unused:UNUSED_PAD src0_sel:WORD_0 src1_sel:DWORD
	v_mul_u32_u24_sdwa v5, v5, s26 dst_sel:DWORD dst_unused:UNUSED_PAD src0_sel:WORD_1 src1_sel:DWORD
	v_pk_fma_f16 v59, v56, v61, v59
	v_pk_fma_f16 v4, v56, v4, v60
	;; [unrolled: 1-line block ×4, first 2 shown]
	v_mul_u32_u24_sdwa v56, v6, s26 dst_sel:DWORD dst_unused:UNUSED_PAD src0_sel:WORD_0 src1_sel:DWORD
	v_mul_u32_u24_sdwa v6, v6, s26 dst_sel:DWORD dst_unused:UNUSED_PAD src0_sel:WORD_1 src1_sel:DWORD
	v_mul_u32_u24_sdwa v58, v7, s26 dst_sel:DWORD dst_unused:UNUSED_PAD src0_sel:WORD_0 src1_sel:DWORD
	v_mul_u32_u24_sdwa v7, v7, s26 dst_sel:DWORD dst_unused:UNUSED_PAD src0_sel:WORD_1 src1_sel:DWORD
	v_pk_fma_f16 v59, v57, v56, v59
	v_pk_fma_f16 v60, v57, v6, v4
	;; [unrolled: 1-line block ×4, first 2 shown]
	ds_read2_b32 v[56:57], v54 offset1:32
	ds_read_b128 v[4:7], v43 offset:448
	s_waitcnt lgkmcnt(0)
	v_mul_u32_u24_sdwa v61, v4, s26 dst_sel:DWORD dst_unused:UNUSED_PAD src0_sel:WORD_0 src1_sel:DWORD
	v_mul_u32_u24_sdwa v4, v4, s26 dst_sel:DWORD dst_unused:UNUSED_PAD src0_sel:WORD_1 src1_sel:DWORD
	v_mul_u32_u24_sdwa v62, v5, s26 dst_sel:DWORD dst_unused:UNUSED_PAD src0_sel:WORD_0 src1_sel:DWORD
	v_mul_u32_u24_sdwa v5, v5, s26 dst_sel:DWORD dst_unused:UNUSED_PAD src0_sel:WORD_1 src1_sel:DWORD
	v_pk_fma_f16 v59, v56, v61, v59
	v_pk_fma_f16 v4, v56, v4, v60
	v_pk_fma_f16 v55, v56, v62, v55
	v_pk_fma_f16 v5, v56, v5, v58
	v_mul_u32_u24_sdwa v56, v6, s26 dst_sel:DWORD dst_unused:UNUSED_PAD src0_sel:WORD_0 src1_sel:DWORD
	v_mul_u32_u24_sdwa v6, v6, s26 dst_sel:DWORD dst_unused:UNUSED_PAD src0_sel:WORD_1 src1_sel:DWORD
	v_mul_u32_u24_sdwa v58, v7, s26 dst_sel:DWORD dst_unused:UNUSED_PAD src0_sel:WORD_0 src1_sel:DWORD
	v_mul_u32_u24_sdwa v7, v7, s26 dst_sel:DWORD dst_unused:UNUSED_PAD src0_sel:WORD_1 src1_sel:DWORD
	v_pk_fma_f16 v59, v57, v56, v59
	v_pk_fma_f16 v60, v57, v6, v4
	v_pk_fma_f16 v55, v57, v58, v55
	v_pk_fma_f16 v58, v57, v7, v5
	ds_read2_b32 v[56:57], v54 offset0:64 offset1:96
	ds_read_b128 v[4:7], v43 offset:464
	s_waitcnt lgkmcnt(0)
	v_mul_u32_u24_sdwa v61, v4, s26 dst_sel:DWORD dst_unused:UNUSED_PAD src0_sel:WORD_0 src1_sel:DWORD
	v_mul_u32_u24_sdwa v4, v4, s26 dst_sel:DWORD dst_unused:UNUSED_PAD src0_sel:WORD_1 src1_sel:DWORD
	v_mul_u32_u24_sdwa v62, v5, s26 dst_sel:DWORD dst_unused:UNUSED_PAD src0_sel:WORD_0 src1_sel:DWORD
	v_mul_u32_u24_sdwa v5, v5, s26 dst_sel:DWORD dst_unused:UNUSED_PAD src0_sel:WORD_1 src1_sel:DWORD
	v_pk_fma_f16 v59, v56, v61, v59
	v_pk_fma_f16 v4, v56, v4, v60
	v_pk_fma_f16 v55, v56, v62, v55
	v_pk_fma_f16 v5, v56, v5, v58
	v_mul_u32_u24_sdwa v56, v6, s26 dst_sel:DWORD dst_unused:UNUSED_PAD src0_sel:WORD_0 src1_sel:DWORD
	v_mul_u32_u24_sdwa v6, v6, s26 dst_sel:DWORD dst_unused:UNUSED_PAD src0_sel:WORD_1 src1_sel:DWORD
	v_mul_u32_u24_sdwa v58, v7, s26 dst_sel:DWORD dst_unused:UNUSED_PAD src0_sel:WORD_0 src1_sel:DWORD
	v_mul_u32_u24_sdwa v7, v7, s26 dst_sel:DWORD dst_unused:UNUSED_PAD src0_sel:WORD_1 src1_sel:DWORD
	v_pk_fma_f16 v59, v57, v56, v59
	v_pk_fma_f16 v60, v57, v6, v4
	v_pk_fma_f16 v55, v57, v58, v55
	v_pk_fma_f16 v58, v57, v7, v5
	ds_read2_b32 v[56:57], v54 offset0:128 offset1:160
	;; [unrolled: 19-line block ×3, first 2 shown]
	ds_read_b128 v[56:59], v43 offset:496
	s_waitcnt lgkmcnt(0)
	s_barrier
	s_load_dword s6, s[4:5], 0x4
	v_mul_u32_u24_sdwa v61, v56, s26 dst_sel:DWORD dst_unused:UNUSED_PAD src0_sel:WORD_0 src1_sel:DWORD
	v_mul_u32_u24_sdwa v56, v56, s26 dst_sel:DWORD dst_unused:UNUSED_PAD src0_sel:WORD_1 src1_sel:DWORD
	v_mul_u32_u24_sdwa v62, v57, s26 dst_sel:DWORD dst_unused:UNUSED_PAD src0_sel:WORD_0 src1_sel:DWORD
	v_mul_u32_u24_sdwa v57, v57, s26 dst_sel:DWORD dst_unused:UNUSED_PAD src0_sel:WORD_1 src1_sel:DWORD
	s_waitcnt lgkmcnt(0)
	s_lshl_b32 s6, s6, 6
	v_pk_fma_f16 v60, v4, v61, v60
	v_pk_fma_f16 v6, v4, v56, v6
	;; [unrolled: 1-line block ×4, first 2 shown]
	v_mul_u32_u24_sdwa v7, v58, s26 dst_sel:DWORD dst_unused:UNUSED_PAD src0_sel:WORD_0 src1_sel:DWORD
	v_mul_u32_u24_sdwa v56, v58, s26 dst_sel:DWORD dst_unused:UNUSED_PAD src0_sel:WORD_1 src1_sel:DWORD
	v_mul_u32_u24_sdwa v58, v59, s26 dst_sel:DWORD dst_unused:UNUSED_PAD src0_sel:WORD_0 src1_sel:DWORD
	v_mul_u32_u24_sdwa v59, v59, s26 dst_sel:DWORD dst_unused:UNUSED_PAD src0_sel:WORD_1 src1_sel:DWORD
	s_add_i32 s2, s6, s2
	v_pk_fma_f16 v57, v5, v7, v60
	v_pk_fma_f16 v56, v5, v56, v6
	;; [unrolled: 1-line block ×4, first 2 shown]
	s_cmp_ge_i32 s2, s30
	s_cbranch_scc0 .LBB37_9
.LBB37_10:
	v_cmp_lt_i32_e32 vcc, v33, v30
	s_cmp_lg_u64 s[12:13], 0
	s_cselect_b64 s[4:5], -1, 0
	v_cndmask_b32_e32 v4, v29, v33, vcc
	v_cmp_lt_i32_e32 vcc, v34, v30
	v_lshlrev_b32_e32 v7, 2, v4
	ds_bpermute_b32 v5, v7, v11
	v_cndmask_b32_e32 v4, v29, v34, vcc
	v_cmp_lt_i32_e32 vcc, v35, v30
	v_lshlrev_b32_e32 v13, 2, v4
	ds_bpermute_b32 v6, v7, v8
	v_cndmask_b32_e32 v4, v29, v35, vcc
	v_lshlrev_b32_e32 v14, 2, v4
	ds_bpermute_b32 v4, v7, v10
	ds_bpermute_b32 v7, v7, v9
	v_cmp_lt_i32_e32 vcc, v32, v30
	s_cmp_eq_u32 s3, 0
	s_cselect_b64 s[6:7], -1, 0
	s_waitcnt lgkmcnt(1)
	v_pk_add_f32 v[4:5], v[10:11], v[4:5]
	s_waitcnt lgkmcnt(0)
	v_pk_add_f32 v[6:7], v[8:9], v[6:7]
	ds_bpermute_b32 v10, v13, v4
	ds_bpermute_b32 v11, v13, v5
	;; [unrolled: 1-line block ×4, first 2 shown]
	v_cndmask_b32_e32 v15, v29, v32, vcc
	v_lshlrev_b32_e32 v13, 2, v15
	s_waitcnt lgkmcnt(2)
	v_pk_add_f32 v[4:5], v[4:5], v[10:11]
	ds_bpermute_b32 v10, v14, v4
	s_waitcnt lgkmcnt(1)
	v_pk_add_f32 v[6:7], v[6:7], v[8:9]
	ds_bpermute_b32 v11, v14, v5
	ds_bpermute_b32 v8, v14, v6
	;; [unrolled: 1-line block ×3, first 2 shown]
	v_cmp_lt_i32_e32 vcc, v31, v30
	s_and_b64 s[4:5], s[6:7], s[4:5]
	s_waitcnt lgkmcnt(2)
	v_pk_add_f32 v[4:5], v[4:5], v[10:11]
	ds_bpermute_b32 v10, v13, v4
	s_waitcnt lgkmcnt(1)
	v_pk_add_f32 v[6:7], v[6:7], v[8:9]
	ds_bpermute_b32 v11, v13, v5
	ds_bpermute_b32 v8, v13, v6
	;; [unrolled: 1-line block ×3, first 2 shown]
	v_cndmask_b32_e32 v14, v29, v31, vcc
	v_lshlrev_b32_e32 v13, 2, v14
	s_waitcnt lgkmcnt(2)
	v_pk_add_f32 v[4:5], v[4:5], v[10:11]
	ds_bpermute_b32 v10, v13, v4
	s_waitcnt lgkmcnt(1)
	v_pk_add_f32 v[8:9], v[6:7], v[8:9]
	ds_bpermute_b32 v11, v13, v5
	ds_bpermute_b32 v14, v13, v8
	;; [unrolled: 1-line block ×3, first 2 shown]
	v_lshlrev_b32_e32 v12, 1, v27
	s_and_b64 vcc, exec, s[4:5]
	s_waitcnt lgkmcnt(2)
	v_pk_add_f32 v[6:7], v[4:5], v[10:11]
	s_waitcnt lgkmcnt(0)
	v_pk_add_f32 v[4:5], v[8:9], v[14:15]
	s_cbranch_vccz .LBB37_12
; %bb.11:
	s_ashr_i32 s29, s28, 31
	s_lshl_b64 s[4:5], s[28:29], 2
	s_add_u32 s4, s12, s4
	s_addc_u32 s5, s13, s5
	v_mov_b32_e32 v8, 0
	global_load_dwordx2 v[14:15], v8, s[4:5]
	v_max_f32_e32 v8, v0, v0
	v_max_f32_e32 v9, v1, v1
	;; [unrolled: 1-line block ×3, first 2 shown]
	s_mov_b32 s5, 0x3fb8aa3b
	s_mov_b32 s4, 0xc2ce8ed0
	;; [unrolled: 1-line block ×3, first 2 shown]
	v_mov_b32_e32 v13, 0x7f800000
	s_waitcnt vmcnt(0)
	v_max_f32_e32 v11, v14, v14
	v_max_f32_e32 v8, v8, v11
	;; [unrolled: 1-line block ×3, first 2 shown]
	v_sub_f32_e32 v0, v0, v8
	v_max_f32_e32 v9, v9, v18
	v_max_f32_e32 v10, v10, v11
	v_sub_f32_e32 v11, v14, v8
	v_mul_f32_e32 v16, 0x3fb8aa3b, v0
	v_sub_f32_e32 v1, v1, v9
	v_mul_f32_e32 v19, 0x3fb8aa3b, v11
	v_fma_f32 v31, v0, s5, -v16
	v_rndne_f32_e32 v32, v16
	v_sub_f32_e32 v17, v15, v9
	v_mul_f32_e32 v20, 0x3fb8aa3b, v1
	v_fma_f32 v33, v11, s5, -v19
	v_rndne_f32_e32 v34, v19
	v_fmac_f32_e32 v31, 0x32a5705f, v0
	v_sub_f32_e32 v16, v16, v32
	v_sub_f32_e32 v2, v2, v10
	v_mul_f32_e32 v21, 0x3fb8aa3b, v17
	v_fma_f32 v35, v1, s5, -v20
	v_rndne_f32_e32 v36, v20
	v_fmac_f32_e32 v33, 0x32a5705f, v11
	v_sub_f32_e32 v19, v19, v34
	v_add_f32_e32 v16, v16, v31
	v_mul_f32_e32 v29, 0x3fb8aa3b, v2
	v_fma_f32 v37, v17, s5, -v21
	v_rndne_f32_e32 v38, v21
	v_cvt_i32_f32_e32 v32, v32
	v_fmac_f32_e32 v35, 0x32a5705f, v1
	v_sub_f32_e32 v20, v20, v36
	v_add_f32_e32 v19, v19, v33
	v_exp_f32_e32 v16, v16
	v_fma_f32 v39, v2, s5, -v29
	v_rndne_f32_e32 v40, v29
	v_cvt_i32_f32_e32 v34, v34
	v_fmac_f32_e32 v37, 0x32a5705f, v17
	v_sub_f32_e32 v21, v21, v38
	v_add_f32_e32 v20, v20, v35
	v_exp_f32_e32 v19, v19
	v_cvt_i32_f32_e32 v36, v36
	v_fmac_f32_e32 v39, 0x32a5705f, v2
	v_sub_f32_e32 v29, v29, v40
	v_add_f32_e32 v21, v21, v37
	v_exp_f32_e32 v20, v20
	v_cvt_i32_f32_e32 v38, v38
	v_add_f32_e32 v29, v29, v39
	v_exp_f32_e32 v21, v21
	v_cvt_i32_f32_e32 v40, v40
	v_exp_f32_e32 v29, v29
	v_ldexp_f32 v16, v16, v32
	v_cmp_ngt_f32_e32 vcc, s4, v0
	v_ldexp_f32 v19, v19, v34
	v_ldexp_f32 v20, v20, v36
	v_cndmask_b32_e32 v16, 0, v16, vcc
	v_cmp_ngt_f32_e32 vcc, s4, v11
	v_ldexp_f32 v21, v21, v38
	v_ldexp_f32 v29, v29, v40
	v_cndmask_b32_e32 v19, 0, v19, vcc
	v_cmp_ngt_f32_e32 vcc, s4, v1
	v_sub_f32_e32 v14, v14, v10
	v_mul_f32_e32 v30, 0x3fb8aa3b, v14
	v_cndmask_b32_e32 v20, 0, v20, vcc
	v_cmp_ngt_f32_e32 vcc, s4, v17
	v_fma_f32 v41, v14, s5, -v30
	v_rndne_f32_e32 v42, v30
	v_cndmask_b32_e32 v21, 0, v21, vcc
	v_cmp_ngt_f32_e32 vcc, s4, v2
	v_fmac_f32_e32 v41, 0x32a5705f, v14
	v_sub_f32_e32 v30, v30, v42
	v_cndmask_b32_e32 v29, 0, v29, vcc
	v_cmp_nlt_f32_e32 vcc, s2, v0
	v_add_f32_e32 v30, v30, v41
	v_cvt_i32_f32_e32 v42, v42
	v_cndmask_b32_e32 v0, v13, v16, vcc
	v_cmp_nlt_f32_e32 vcc, s2, v11
	v_cvt_f16_f32_e32 v11, v0
	v_exp_f32_e32 v30, v30
	v_cndmask_b32_e32 v16, v13, v19, vcc
	v_cmp_nlt_f32_e32 vcc, s2, v1
	v_mul_u32_u24_e32 v11, 0x10001, v11
	v_pk_mul_f16 v57, v57, v11
	v_max_f32_e32 v11, v3, v3
	v_max_f32_e32 v11, v11, v18
	v_cndmask_b32_e32 v1, v13, v20, vcc
	v_cmp_nlt_f32_e32 vcc, s2, v17
	v_sub_f32_e32 v3, v3, v11
	v_cvt_f16_f32_e32 v19, v1
	v_cndmask_b32_e32 v17, v13, v21, vcc
	v_cmp_nlt_f32_e32 vcc, s2, v2
	v_mul_f32_e32 v18, 0x3fb8aa3b, v3
	v_fma_f32 v21, v3, s5, -v18
	v_cndmask_b32_e32 v2, v13, v29, vcc
	v_rndne_f32_e32 v29, v18
	v_cvt_f16_f32_e32 v20, v2
	v_fmac_f32_e32 v21, 0x32a5705f, v3
	v_sub_f32_e32 v18, v18, v29
	v_add_f32_e32 v18, v18, v21
	v_ldexp_f32 v30, v30, v42
	v_mul_u32_u24_e32 v19, 0x10001, v19
	v_cmp_ngt_f32_e32 vcc, s4, v14
	v_exp_f32_e32 v18, v18
	v_cvt_i32_f32_e32 v21, v29
	v_pk_mul_f16 v56, v56, v19
	v_cndmask_b32_e32 v19, 0, v30, vcc
	v_cmp_nlt_f32_e32 vcc, s2, v14
	v_sub_f32_e32 v15, v15, v11
	v_ldexp_f32 v18, v18, v21
	v_cndmask_b32_e32 v14, v13, v19, vcc
	v_mul_u32_u24_e32 v19, 0x10001, v20
	v_pk_mul_f16 v55, v55, v19
	v_mul_f32_e32 v19, 0x3fb8aa3b, v15
	v_fma_f32 v20, v15, s5, -v19
	v_rndne_f32_e32 v21, v19
	v_fmac_f32_e32 v20, 0x32a5705f, v15
	v_sub_f32_e32 v19, v19, v21
	v_add_f32_e32 v19, v19, v20
	v_exp_f32_e32 v19, v19
	v_cvt_i32_f32_e32 v20, v21
	v_cmp_ngt_f32_e32 vcc, s4, v3
	v_pk_fma_f32 v[6:7], v[6:7], v[0:1], v[16:17]
	s_nop 0
	v_cndmask_b32_e32 v18, 0, v18, vcc
	v_cmp_nlt_f32_e32 vcc, s2, v3
	s_nop 1
	v_cndmask_b32_e32 v3, v13, v18, vcc
	v_ldexp_f32 v18, v19, v20
	v_cvt_f16_f32_e32 v19, v3
	v_cmp_ngt_f32_e32 vcc, s4, v15
	v_mul_u32_u24_e32 v0, 0x10001, v19
	s_nop 0
	v_cndmask_b32_e32 v18, 0, v18, vcc
	v_cmp_nlt_f32_e32 vcc, s2, v15
	v_pk_mul_f16 v58, v58, v0
	s_nop 0
	v_cndmask_b32_e32 v15, v13, v18, vcc
	v_pk_fma_f32 v[4:5], v[4:5], v[2:3], v[14:15]
	v_mov_b64_e32 v[0:1], v[8:9]
	v_mov_b64_e32 v[2:3], v[10:11]
.LBB37_12:
	v_cmp_gt_i32_e32 vcc, s22, v28
	s_and_saveexec_b64 s[4:5], vcc
	s_cbranch_execz .LBB37_31
; %bb.13:
	s_load_dword s2, s[0:1], 0xd4
	v_mov_b32_e32 v8, 1.0
	s_waitcnt lgkmcnt(0)
	s_cmp_lg_u32 s2, 1
	s_cselect_b64 s[0:1], -1, 0
	s_cmp_eq_u32 s2, 1
	s_cselect_b64 s[6:7], -1, 0
	s_and_b64 vcc, exec, s[0:1]
	s_cbranch_vccnz .LBB37_15
; %bb.14:
	v_div_scale_f32 v8, s[4:5], v6, v6, 1.0
	v_rcp_f32_e32 v9, v8
	v_div_scale_f32 v10, vcc, 1.0, v6, 1.0
	v_fma_f32 v11, -v8, v9, 1.0
	v_fmac_f32_e32 v9, v11, v9
	v_mul_f32_e32 v11, v10, v9
	v_fma_f32 v13, -v8, v11, v10
	v_fmac_f32_e32 v11, v13, v9
	v_fma_f32 v8, -v8, v11, v10
	v_div_fmas_f32 v8, v8, v9, v11
	v_div_fixup_f32 v8, v8, v6, 1.0
.LBB37_15:
	s_mul_i32 s8, s33, s22
	s_add_i32 s8, s8, s10
	v_add_u32_e32 v9, s8, v26
	v_mul_lo_u32 v9, v9, s23
	v_add_u32_e32 v10, s28, v9
	v_cvt_f32_f16_sdwa v15, v57 dst_sel:DWORD dst_unused:UNUSED_PAD src0_sel:WORD_1
	v_cvt_f32_f16_e32 v14, v57
	v_mul_lo_u32 v10, s2, v10
	v_add_u32_e32 v10, s3, v10
	v_cmp_eq_u32_e32 vcc, 0, v27
	v_lshl_add_u32 v16, v10, 6, v12
	v_mov_b32_e32 v17, 0
	v_lshl_add_u64 v[16:17], v[16:17], 2, s[16:17]
	v_pk_mul_f32 v[14:15], v[8:9], v[14:15] op_sel_hi:[0,1]
	s_and_b64 s[4:5], vcc, s[0:1]
	global_store_dwordx2 v[16:17], v[14:15], off
	s_and_saveexec_b64 s[0:1], s[4:5]
	s_cbranch_execz .LBB37_17
; %bb.16:
	v_ashrrev_i32_e32 v11, 31, v10
	v_lshl_add_u64 v[10:11], v[10:11], 3, s[18:19]
	v_mov_b32_e32 v14, v0
	v_mov_b32_e32 v15, v6
	global_store_dwordx2 v[10:11], v[14:15], off
.LBB37_17:
	s_or_b64 exec, exec, s[0:1]
	v_cndmask_b32_e64 v0, 0, 1, s[6:7]
	v_cmp_ne_u32_e64 s[0:1], 1, v0
	s_andn2_b64 vcc, exec, s[6:7]
	v_mov_b32_e32 v0, 1.0
	s_cbranch_vccnz .LBB37_19
; %bb.18:
	v_div_scale_f32 v0, s[6:7], v7, v7, 1.0
	v_rcp_f32_e32 v6, v0
	v_div_scale_f32 v8, vcc, 1.0, v7, 1.0
	v_fma_f32 v10, -v0, v6, 1.0
	v_fmac_f32_e32 v6, v10, v6
	v_mul_f32_e32 v10, v8, v6
	v_fma_f32 v11, -v0, v10, v8
	v_fmac_f32_e32 v10, v11, v6
	v_fma_f32 v0, -v0, v10, v8
	v_div_fmas_f32 v0, v0, v6, v10
	v_div_fixup_f32 v0, v0, v7, 1.0
.LBB37_19:
	s_add_i32 s9, s28, 1
	v_add_u32_e32 v6, s9, v9
	v_cvt_f32_f16_sdwa v11, v56 dst_sel:DWORD dst_unused:UNUSED_PAD src0_sel:WORD_1
	v_cvt_f32_f16_e32 v10, v56
	v_mul_lo_u32 v6, s2, v6
	v_add_u32_e32 v8, s3, v6
	v_lshl_add_u32 v14, v8, 6, v12
	v_mov_b32_e32 v15, 0
	v_lshl_add_u64 v[14:15], v[14:15], 2, s[16:17]
	v_pk_mul_f32 v[10:11], v[0:1], v[10:11] op_sel_hi:[0,1]
	global_store_dwordx2 v[14:15], v[10:11], off
	s_and_saveexec_b64 s[6:7], s[4:5]
	s_cbranch_execz .LBB37_21
; %bb.20:
	v_ashrrev_i32_e32 v9, 31, v8
	v_lshl_add_u64 v[8:9], v[8:9], 3, s[18:19]
	v_mov_b32_e32 v6, v1
	global_store_dwordx2 v[8:9], v[6:7], off
.LBB37_21:
	s_or_b64 exec, exec, s[6:7]
	v_cmp_gt_i32_e32 vcc, s22, v25
	s_and_b64 exec, exec, vcc
	s_cbranch_execz .LBB37_31
; %bb.22:
	s_and_b64 vcc, exec, s[0:1]
	v_mov_b32_e32 v0, 1.0
	s_cbranch_vccnz .LBB37_24
; %bb.23:
	v_div_scale_f32 v0, s[6:7], v4, v4, 1.0
	v_rcp_f32_e32 v1, v0
	v_div_scale_f32 v6, vcc, 1.0, v4, 1.0
	v_fma_f32 v7, -v0, v1, 1.0
	v_fmac_f32_e32 v1, v7, v1
	v_mul_f32_e32 v7, v6, v1
	v_fma_f32 v8, -v0, v7, v6
	v_fmac_f32_e32 v7, v8, v1
	v_fma_f32 v0, -v0, v7, v6
	v_div_fmas_f32 v0, v0, v1, v7
	v_div_fixup_f32 v0, v0, v4, 1.0
.LBB37_24:
	v_add_u32_e32 v1, s8, v24
	v_mul_lo_u32 v1, v1, s23
	v_add_u32_e32 v1, s28, v1
	v_cvt_f32_f16_sdwa v9, v55 dst_sel:DWORD dst_unused:UNUSED_PAD src0_sel:WORD_1
	v_cvt_f32_f16_e32 v8, v55
	v_mul_lo_u32 v1, s2, v1
	v_add_u32_e32 v6, s3, v1
	v_lshl_add_u32 v10, v6, 6, v12
	v_mov_b32_e32 v11, 0
	v_lshl_add_u64 v[10:11], v[10:11], 2, s[16:17]
	v_pk_mul_f32 v[0:1], v[0:1], v[8:9] op_sel_hi:[0,1]
	global_store_dwordx2 v[10:11], v[0:1], off
	s_and_saveexec_b64 s[6:7], s[4:5]
	s_cbranch_execz .LBB37_26
; %bb.25:
	v_ashrrev_i32_e32 v7, 31, v6
	v_lshl_add_u64 v[0:1], v[6:7], 3, s[18:19]
	v_mov_b32_e32 v6, v2
	v_mov_b32_e32 v7, v4
	global_store_dwordx2 v[0:1], v[6:7], off
.LBB37_26:
	s_or_b64 exec, exec, s[6:7]
	v_cmp_gt_i32_e32 vcc, s22, v23
	s_and_b64 exec, exec, vcc
	s_cbranch_execz .LBB37_31
; %bb.27:
	s_and_b64 vcc, exec, s[0:1]
	v_mov_b32_e32 v0, 1.0
	s_cbranch_vccnz .LBB37_29
; %bb.28:
	v_div_scale_f32 v0, s[0:1], v5, v5, 1.0
	v_rcp_f32_e32 v1, v0
	v_div_scale_f32 v2, vcc, 1.0, v5, 1.0
	v_fma_f32 v4, -v0, v1, 1.0
	v_fmac_f32_e32 v1, v4, v1
	v_mul_f32_e32 v4, v2, v1
	v_fma_f32 v6, -v0, v4, v2
	v_fmac_f32_e32 v4, v6, v1
	v_fma_f32 v0, -v0, v4, v2
	v_div_fmas_f32 v0, v0, v1, v4
	v_div_fixup_f32 v0, v0, v5, 1.0
.LBB37_29:
	v_add_u32_e32 v1, s8, v22
	v_mul_lo_u32 v1, v1, s23
	v_add_u32_e32 v1, s9, v1
	v_cvt_f32_f16_sdwa v9, v58 dst_sel:DWORD dst_unused:UNUSED_PAD src0_sel:WORD_1
	v_cvt_f32_f16_e32 v8, v58
	v_mul_lo_u32 v1, s2, v1
	v_add_u32_e32 v6, s3, v1
	v_lshl_add_u32 v10, v6, 6, v12
	v_mov_b32_e32 v11, 0
	v_lshl_add_u64 v[10:11], v[10:11], 2, s[16:17]
	v_pk_mul_f32 v[0:1], v[0:1], v[8:9] op_sel_hi:[0,1]
	global_store_dwordx2 v[10:11], v[0:1], off
	s_and_b64 exec, exec, s[4:5]
	s_cbranch_execz .LBB37_31
; %bb.30:
	v_ashrrev_i32_e32 v7, 31, v6
	v_lshl_add_u64 v[0:1], v[6:7], 3, s[18:19]
	v_mov_b32_e32 v4, v3
	global_store_dwordx2 v[0:1], v[4:5], off
.LBB37_31:
	s_endpgm
	.section	.rodata,"a",@progbits
	.p2align	6, 0x0
	.amdhsa_kernel _ZL15flash_attn_tileILi64ELi64ELi16ELi2ELb0EEvPKcS1_S1_S1_S1_PKiPfP15HIP_vector_typeIfLj2EEffffjfiS5_IjLj3EEiiiiiiiiiiiliiliiiiil
		.amdhsa_group_segment_fixed_size 17408
		.amdhsa_private_segment_fixed_size 0
		.amdhsa_kernarg_size 464
		.amdhsa_user_sgpr_count 2
		.amdhsa_user_sgpr_dispatch_ptr 0
		.amdhsa_user_sgpr_queue_ptr 0
		.amdhsa_user_sgpr_kernarg_segment_ptr 1
		.amdhsa_user_sgpr_dispatch_id 0
		.amdhsa_user_sgpr_kernarg_preload_length 0
		.amdhsa_user_sgpr_kernarg_preload_offset 0
		.amdhsa_user_sgpr_private_segment_size 0
		.amdhsa_uses_dynamic_stack 0
		.amdhsa_enable_private_segment 0
		.amdhsa_system_sgpr_workgroup_id_x 1
		.amdhsa_system_sgpr_workgroup_id_y 1
		.amdhsa_system_sgpr_workgroup_id_z 1
		.amdhsa_system_sgpr_workgroup_info 0
		.amdhsa_system_vgpr_workitem_id 1
		.amdhsa_next_free_vgpr 88
		.amdhsa_next_free_sgpr 44
		.amdhsa_accum_offset 88
		.amdhsa_reserve_vcc 1
		.amdhsa_float_round_mode_32 0
		.amdhsa_float_round_mode_16_64 0
		.amdhsa_float_denorm_mode_32 3
		.amdhsa_float_denorm_mode_16_64 3
		.amdhsa_dx10_clamp 1
		.amdhsa_ieee_mode 1
		.amdhsa_fp16_overflow 0
		.amdhsa_tg_split 0
		.amdhsa_exception_fp_ieee_invalid_op 0
		.amdhsa_exception_fp_denorm_src 0
		.amdhsa_exception_fp_ieee_div_zero 0
		.amdhsa_exception_fp_ieee_overflow 0
		.amdhsa_exception_fp_ieee_underflow 0
		.amdhsa_exception_fp_ieee_inexact 0
		.amdhsa_exception_int_div_zero 0
	.end_amdhsa_kernel
	.section	.text._ZL15flash_attn_tileILi64ELi64ELi16ELi2ELb0EEvPKcS1_S1_S1_S1_PKiPfP15HIP_vector_typeIfLj2EEffffjfiS5_IjLj3EEiiiiiiiiiiiliiliiiiil,"axG",@progbits,_ZL15flash_attn_tileILi64ELi64ELi16ELi2ELb0EEvPKcS1_S1_S1_S1_PKiPfP15HIP_vector_typeIfLj2EEffffjfiS5_IjLj3EEiiiiiiiiiiiliiliiiiil,comdat
.Lfunc_end37:
	.size	_ZL15flash_attn_tileILi64ELi64ELi16ELi2ELb0EEvPKcS1_S1_S1_S1_PKiPfP15HIP_vector_typeIfLj2EEffffjfiS5_IjLj3EEiiiiiiiiiiiliiliiiiil, .Lfunc_end37-_ZL15flash_attn_tileILi64ELi64ELi16ELi2ELb0EEvPKcS1_S1_S1_S1_PKiPfP15HIP_vector_typeIfLj2EEffffjfiS5_IjLj3EEiiiiiiiiiiiliiliiiiil
                                        ; -- End function
	.set _ZL15flash_attn_tileILi64ELi64ELi16ELi2ELb0EEvPKcS1_S1_S1_S1_PKiPfP15HIP_vector_typeIfLj2EEffffjfiS5_IjLj3EEiiiiiiiiiiiliiliiiiil.num_vgpr, 88
	.set _ZL15flash_attn_tileILi64ELi64ELi16ELi2ELb0EEvPKcS1_S1_S1_S1_PKiPfP15HIP_vector_typeIfLj2EEffffjfiS5_IjLj3EEiiiiiiiiiiiliiliiiiil.num_agpr, 0
	.set _ZL15flash_attn_tileILi64ELi64ELi16ELi2ELb0EEvPKcS1_S1_S1_S1_PKiPfP15HIP_vector_typeIfLj2EEffffjfiS5_IjLj3EEiiiiiiiiiiiliiliiiiil.numbered_sgpr, 44
	.set _ZL15flash_attn_tileILi64ELi64ELi16ELi2ELb0EEvPKcS1_S1_S1_S1_PKiPfP15HIP_vector_typeIfLj2EEffffjfiS5_IjLj3EEiiiiiiiiiiiliiliiiiil.num_named_barrier, 0
	.set _ZL15flash_attn_tileILi64ELi64ELi16ELi2ELb0EEvPKcS1_S1_S1_S1_PKiPfP15HIP_vector_typeIfLj2EEffffjfiS5_IjLj3EEiiiiiiiiiiiliiliiiiil.private_seg_size, 0
	.set _ZL15flash_attn_tileILi64ELi64ELi16ELi2ELb0EEvPKcS1_S1_S1_S1_PKiPfP15HIP_vector_typeIfLj2EEffffjfiS5_IjLj3EEiiiiiiiiiiiliiliiiiil.uses_vcc, 1
	.set _ZL15flash_attn_tileILi64ELi64ELi16ELi2ELb0EEvPKcS1_S1_S1_S1_PKiPfP15HIP_vector_typeIfLj2EEffffjfiS5_IjLj3EEiiiiiiiiiiiliiliiiiil.uses_flat_scratch, 0
	.set _ZL15flash_attn_tileILi64ELi64ELi16ELi2ELb0EEvPKcS1_S1_S1_S1_PKiPfP15HIP_vector_typeIfLj2EEffffjfiS5_IjLj3EEiiiiiiiiiiiliiliiiiil.has_dyn_sized_stack, 0
	.set _ZL15flash_attn_tileILi64ELi64ELi16ELi2ELb0EEvPKcS1_S1_S1_S1_PKiPfP15HIP_vector_typeIfLj2EEffffjfiS5_IjLj3EEiiiiiiiiiiiliiliiiiil.has_recursion, 0
	.set _ZL15flash_attn_tileILi64ELi64ELi16ELi2ELb0EEvPKcS1_S1_S1_S1_PKiPfP15HIP_vector_typeIfLj2EEffffjfiS5_IjLj3EEiiiiiiiiiiiliiliiiiil.has_indirect_call, 0
	.section	.AMDGPU.csdata,"",@progbits
; Kernel info:
; codeLenInByte = 16060
; TotalNumSgprs: 50
; NumVgprs: 88
; NumAgprs: 0
; TotalNumVgprs: 88
; ScratchSize: 0
; MemoryBound: 0
; FloatMode: 240
; IeeeMode: 1
; LDSByteSize: 17408 bytes/workgroup (compile time only)
; SGPRBlocks: 6
; VGPRBlocks: 10
; NumSGPRsForWavesPerEU: 50
; NumVGPRsForWavesPerEU: 88
; AccumOffset: 88
; Occupancy: 5
; WaveLimiterHint : 1
; COMPUTE_PGM_RSRC2:SCRATCH_EN: 0
; COMPUTE_PGM_RSRC2:USER_SGPR: 2
; COMPUTE_PGM_RSRC2:TRAP_HANDLER: 0
; COMPUTE_PGM_RSRC2:TGID_X_EN: 1
; COMPUTE_PGM_RSRC2:TGID_Y_EN: 1
; COMPUTE_PGM_RSRC2:TGID_Z_EN: 1
; COMPUTE_PGM_RSRC2:TIDIG_COMP_CNT: 1
; COMPUTE_PGM_RSRC3_GFX90A:ACCUM_OFFSET: 21
; COMPUTE_PGM_RSRC3_GFX90A:TG_SPLIT: 0
	.section	.text._ZL33flash_attn_stream_k_fixup_uniformILi64ELi16ELi2EEvPfPK15HIP_vector_typeIfLj2EEiiiiiiS1_IjLj3EES5_S5_,"axG",@progbits,_ZL33flash_attn_stream_k_fixup_uniformILi64ELi16ELi2EEvPfPK15HIP_vector_typeIfLj2EEiiiiiiS1_IjLj3EES5_S5_,comdat
	.globl	_ZL33flash_attn_stream_k_fixup_uniformILi64ELi16ELi2EEvPfPK15HIP_vector_typeIfLj2EEiiiiiiS1_IjLj3EES5_S5_ ; -- Begin function _ZL33flash_attn_stream_k_fixup_uniformILi64ELi16ELi2EEvPfPK15HIP_vector_typeIfLj2EEiiiiiiS1_IjLj3EES5_S5_
	.p2align	8
	.type	_ZL33flash_attn_stream_k_fixup_uniformILi64ELi16ELi2EEvPfPK15HIP_vector_typeIfLj2EEiiiiiiS1_IjLj3EES5_S5_,@function
_ZL33flash_attn_stream_k_fixup_uniformILi64ELi16ELi2EEvPfPK15HIP_vector_typeIfLj2EEiiiiiiS1_IjLj3EES5_S5_: ; @_ZL33flash_attn_stream_k_fixup_uniformILi64ELi16ELi2EEvPfPK15HIP_vector_typeIfLj2EEiiiiiiS1_IjLj3EES5_S5_
; %bb.0:
	s_load_dwordx8 s[8:15], s[0:1], 0x1c
	s_load_dwordx2 s[6:7], s[0:1], 0x10
	s_load_dwordx4 s[20:23], s[0:1], 0x3c
	s_waitcnt lgkmcnt(0)
	s_mul_hi_u32 s5, s11, s2
	s_add_i32 s5, s2, s5
	s_lshr_b32 s5, s5, s12
	s_mul_i32 s11, s5, s13
	s_sub_i32 s11, s2, s11
	s_mul_hi_u32 s12, s11, s14
	s_add_i32 s12, s11, s12
	s_lshr_b32 s16, s12, s15
	s_mul_i32 s12, s16, s20
	s_sub_i32 s11, s11, s12
	;; [unrolled: 5-line block ×3, first 2 shown]
	s_lshl_b32 s11, s12, 1
	s_lshl_b32 s12, s17, 4
	s_add_i32 s12, s12, s3
	s_cmp_lt_i32 s12, s6
	s_cselect_b64 s[12:13], -1, 0
	s_add_i32 s14, s11, s4
	s_cmp_lt_i32 s14, s9
	s_cselect_b64 s[14:15], -1, 0
	s_and_b64 s[12:13], s[12:13], s[14:15]
	s_andn2_b64 vcc, exec, s[12:13]
	s_cbranch_vccnz .LBB38_6
; %bb.1:
	s_load_dwordx4 s[12:15], s[0:1], 0x0
	s_mul_i32 s0, s5, s6
	s_add_i32 s0, s0, s3
	s_mul_i32 s0, s0, s7
	s_mul_i32 s16, s16, s9
	s_add_i32 s0, s0, s4
	s_add_i32 s0, s0, s16
	s_mul_i32 s1, s7, s17
	s_add_i32 s0, s0, s11
	s_lshl_b32 s1, s1, 10
	s_lshl_b32 s0, s0, 6
	s_add_i32 s1, s1, s0
	v_or_b32_e32 v4, s1, v0
	s_waitcnt lgkmcnt(0)
	v_mov_b32_e32 v2, s12
	v_mov_b32_e32 v3, s13
	v_ashrrev_i32_e32 v5, 31, v4
	v_lshl_add_u64 v[2:3], v[4:5], 2, v[2:3]
	global_load_dword v5, v[2:3], off
	s_mul_i32 s5, s10, s2
	s_lshl_b32 s11, s3, 1
	s_add_i32 s9, s5, s10
	s_add_i32 s0, s11, s4
	s_lshl_b32 s1, s9, 5
	s_add_i32 s0, s0, s1
	s_sub_i32 s0, s0, 32
	s_ashr_i32 s1, s0, 31
	s_lshl_b64 s[0:1], s[0:1], 3
	s_add_u32 s0, s14, s0
	s_addc_u32 s1, s15, s1
	s_load_dword s12, s[0:1], 0x4
	s_add_i32 s6, s9, -2
	s_cmp_lt_i32 s6, s5
	s_cbranch_scc1 .LBB38_4
; %bb.2:
	s_lshl_b32 s6, s8, 7
	s_ashr_i32 s7, s6, 31
	s_lshl_b64 s[6:7], s[6:7], 2
	s_add_u32 s6, s14, s6
	s_addc_u32 s7, s15, s7
	s_add_i32 s2, s2, 1
	s_load_dword s0, s[0:1], 0x0
	s_mul_i32 s1, s10, s2
	s_lshl_b32 s3, s3, 7
	s_lshl_b32 s10, s4, 6
	;; [unrolled: 1-line block ×3, first 2 shown]
	s_add_i32 s3, s10, s3
	s_lshl_b32 s1, s1, 5
	s_add_i32 s3, s3, s2
	s_add_i32 s1, s4, s1
	s_lshl_b32 s2, s8, 5
	s_add_i32 s1, s1, s2
	v_or_b32_e32 v0, s3, v0
	s_add_i32 s1, s1, s11
	s_add_i32 s9, s9, -1
	v_add_u32_e32 v0, 0xfffff000, v0
	s_sub_i32 s2, s1, 64
	s_waitcnt lgkmcnt(0)
	v_mov_b32_e32 v7, s0
	v_mov_b32_e32 v4, s12
	s_mov_b32 s4, 0x3fb8aa3b
	s_mov_b32 s8, 0xc2ce8ed0
	;; [unrolled: 1-line block ×3, first 2 shown]
	v_mov_b32_e32 v6, 0x7f800000
	s_mov_b32 s11, 0xc1a00000
.LBB38_3:                               ; =>This Inner Loop Header: Depth=1
	v_ashrrev_i32_e32 v1, 31, v0
	v_lshl_add_u64 v[8:9], v[0:1], 2, s[6:7]
	global_load_dword v9, v[8:9], off
	s_ashr_i32 s3, s2, 31
	s_lshl_b64 s[0:1], s[2:3], 3
	s_add_u32 s0, s14, s0
	s_addc_u32 s1, s15, s1
	s_load_dwordx2 s[0:1], s[0:1], 0x0
	v_max_f32_e32 v1, v7, v7
	s_add_i32 s9, s9, -1
	s_sub_i32 s2, s2, 32
	v_add_u32_e32 v0, 0xfffff800, v0
	s_waitcnt lgkmcnt(0)
	v_max_f32_e64 v10, s0, s0
	v_max_f32_e32 v1, v1, v10
	v_sub_f32_e32 v11, s0, v1
	v_sub_f32_e32 v10, v7, v1
	v_mul_f32_e32 v12, 0x3fb8aa3b, v11
	v_mov_b32_e32 v7, v1
	v_mul_f32_e32 v1, 0x3fb8aa3b, v10
	v_fma_f32 v15, v11, s4, -v12
	v_rndne_f32_e32 v16, v12
	v_fma_f32 v13, v10, s4, -v1
	v_rndne_f32_e32 v14, v1
	v_fmac_f32_e32 v15, 0x32a5705f, v11
	v_sub_f32_e32 v12, v12, v16
	v_fmac_f32_e32 v13, 0x32a5705f, v10
	v_sub_f32_e32 v1, v1, v14
	v_add_f32_e32 v12, v12, v15
	v_cvt_i32_f32_e32 v16, v16
	v_add_f32_e32 v1, v1, v13
	v_exp_f32_e32 v12, v12
	v_cvt_i32_f32_e32 v14, v14
	v_exp_f32_e32 v1, v1
	v_cmp_ngt_f32_e32 vcc, s8, v11
	v_ldexp_f32 v12, v12, v16
	v_mov_b32_e32 v8, s1
	v_ldexp_f32 v1, v1, v14
	v_cmp_ngt_f32_e64 s[0:1], s8, v10
	v_cndmask_b32_e32 v12, 0, v12, vcc
	v_cmp_nlt_f32_e32 vcc, s10, v11
	v_cndmask_b32_e64 v1, 0, v1, s[0:1]
	v_cmp_nlt_f32_e64 s[0:1], s10, v10
	v_cndmask_b32_e32 v12, v6, v12, vcc
	v_cmp_le_f32_e32 vcc, s11, v11
	v_cndmask_b32_e64 v1, v6, v1, s[0:1]
	v_cmp_le_f32_e64 s[0:1], s11, v10
	v_cndmask_b32_e32 v12, 0, v12, vcc
	s_cmp_le_i32 s9, s5
	v_cndmask_b32_e64 v10, 0, v1, s[0:1]
	s_waitcnt vmcnt(0)
	v_pk_mul_f32 v[8:9], v[8:9], v[12:13] op_sel_hi:[1,0]
	s_nop 0
	v_pk_fma_f32 v[4:5], v[4:5], v[10:11], v[8:9] op_sel_hi:[1,0,1]
	s_cbranch_scc0 .LBB38_3
	s_branch .LBB38_5
.LBB38_4:
	s_waitcnt lgkmcnt(0)
	v_mov_b32_e32 v4, s12
.LBB38_5:
	s_waitcnt vmcnt(0)
	v_div_scale_f32 v0, s[0:1], v4, v4, v5
	v_rcp_f32_e32 v1, v0
	v_div_scale_f32 v6, vcc, v5, v4, v5
	v_fma_f32 v7, -v0, v1, 1.0
	v_fmac_f32_e32 v1, v7, v1
	v_mul_f32_e32 v7, v6, v1
	v_fma_f32 v8, -v0, v7, v6
	v_fmac_f32_e32 v7, v8, v1
	v_fma_f32 v0, -v0, v7, v6
	v_div_fmas_f32 v0, v0, v1, v7
	v_div_fixup_f32 v0, v0, v4, v5
	global_store_dword v[2:3], v0, off
.LBB38_6:
	s_endpgm
	.section	.rodata,"a",@progbits
	.p2align	6, 0x0
	.amdhsa_kernel _ZL33flash_attn_stream_k_fixup_uniformILi64ELi16ELi2EEvPfPK15HIP_vector_typeIfLj2EEiiiiiiS1_IjLj3EES5_S5_
		.amdhsa_group_segment_fixed_size 0
		.amdhsa_private_segment_fixed_size 0
		.amdhsa_kernarg_size 76
		.amdhsa_user_sgpr_count 2
		.amdhsa_user_sgpr_dispatch_ptr 0
		.amdhsa_user_sgpr_queue_ptr 0
		.amdhsa_user_sgpr_kernarg_segment_ptr 1
		.amdhsa_user_sgpr_dispatch_id 0
		.amdhsa_user_sgpr_kernarg_preload_length 0
		.amdhsa_user_sgpr_kernarg_preload_offset 0
		.amdhsa_user_sgpr_private_segment_size 0
		.amdhsa_uses_dynamic_stack 0
		.amdhsa_enable_private_segment 0
		.amdhsa_system_sgpr_workgroup_id_x 1
		.amdhsa_system_sgpr_workgroup_id_y 1
		.amdhsa_system_sgpr_workgroup_id_z 1
		.amdhsa_system_sgpr_workgroup_info 0
		.amdhsa_system_vgpr_workitem_id 0
		.amdhsa_next_free_vgpr 17
		.amdhsa_next_free_sgpr 24
		.amdhsa_accum_offset 20
		.amdhsa_reserve_vcc 1
		.amdhsa_float_round_mode_32 0
		.amdhsa_float_round_mode_16_64 0
		.amdhsa_float_denorm_mode_32 3
		.amdhsa_float_denorm_mode_16_64 3
		.amdhsa_dx10_clamp 1
		.amdhsa_ieee_mode 1
		.amdhsa_fp16_overflow 0
		.amdhsa_tg_split 0
		.amdhsa_exception_fp_ieee_invalid_op 0
		.amdhsa_exception_fp_denorm_src 0
		.amdhsa_exception_fp_ieee_div_zero 0
		.amdhsa_exception_fp_ieee_overflow 0
		.amdhsa_exception_fp_ieee_underflow 0
		.amdhsa_exception_fp_ieee_inexact 0
		.amdhsa_exception_int_div_zero 0
	.end_amdhsa_kernel
	.section	.text._ZL33flash_attn_stream_k_fixup_uniformILi64ELi16ELi2EEvPfPK15HIP_vector_typeIfLj2EEiiiiiiS1_IjLj3EES5_S5_,"axG",@progbits,_ZL33flash_attn_stream_k_fixup_uniformILi64ELi16ELi2EEvPfPK15HIP_vector_typeIfLj2EEiiiiiiS1_IjLj3EES5_S5_,comdat
.Lfunc_end38:
	.size	_ZL33flash_attn_stream_k_fixup_uniformILi64ELi16ELi2EEvPfPK15HIP_vector_typeIfLj2EEiiiiiiS1_IjLj3EES5_S5_, .Lfunc_end38-_ZL33flash_attn_stream_k_fixup_uniformILi64ELi16ELi2EEvPfPK15HIP_vector_typeIfLj2EEiiiiiiS1_IjLj3EES5_S5_
                                        ; -- End function
	.set _ZL33flash_attn_stream_k_fixup_uniformILi64ELi16ELi2EEvPfPK15HIP_vector_typeIfLj2EEiiiiiiS1_IjLj3EES5_S5_.num_vgpr, 17
	.set _ZL33flash_attn_stream_k_fixup_uniformILi64ELi16ELi2EEvPfPK15HIP_vector_typeIfLj2EEiiiiiiS1_IjLj3EES5_S5_.num_agpr, 0
	.set _ZL33flash_attn_stream_k_fixup_uniformILi64ELi16ELi2EEvPfPK15HIP_vector_typeIfLj2EEiiiiiiS1_IjLj3EES5_S5_.numbered_sgpr, 24
	.set _ZL33flash_attn_stream_k_fixup_uniformILi64ELi16ELi2EEvPfPK15HIP_vector_typeIfLj2EEiiiiiiS1_IjLj3EES5_S5_.num_named_barrier, 0
	.set _ZL33flash_attn_stream_k_fixup_uniformILi64ELi16ELi2EEvPfPK15HIP_vector_typeIfLj2EEiiiiiiS1_IjLj3EES5_S5_.private_seg_size, 0
	.set _ZL33flash_attn_stream_k_fixup_uniformILi64ELi16ELi2EEvPfPK15HIP_vector_typeIfLj2EEiiiiiiS1_IjLj3EES5_S5_.uses_vcc, 1
	.set _ZL33flash_attn_stream_k_fixup_uniformILi64ELi16ELi2EEvPfPK15HIP_vector_typeIfLj2EEiiiiiiS1_IjLj3EES5_S5_.uses_flat_scratch, 0
	.set _ZL33flash_attn_stream_k_fixup_uniformILi64ELi16ELi2EEvPfPK15HIP_vector_typeIfLj2EEiiiiiiS1_IjLj3EES5_S5_.has_dyn_sized_stack, 0
	.set _ZL33flash_attn_stream_k_fixup_uniformILi64ELi16ELi2EEvPfPK15HIP_vector_typeIfLj2EEiiiiiiS1_IjLj3EES5_S5_.has_recursion, 0
	.set _ZL33flash_attn_stream_k_fixup_uniformILi64ELi16ELi2EEvPfPK15HIP_vector_typeIfLj2EEiiiiiiS1_IjLj3EES5_S5_.has_indirect_call, 0
	.section	.AMDGPU.csdata,"",@progbits
; Kernel info:
; codeLenInByte = 836
; TotalNumSgprs: 30
; NumVgprs: 17
; NumAgprs: 0
; TotalNumVgprs: 17
; ScratchSize: 0
; MemoryBound: 0
; FloatMode: 240
; IeeeMode: 1
; LDSByteSize: 0 bytes/workgroup (compile time only)
; SGPRBlocks: 3
; VGPRBlocks: 2
; NumSGPRsForWavesPerEU: 30
; NumVGPRsForWavesPerEU: 17
; AccumOffset: 20
; Occupancy: 8
; WaveLimiterHint : 0
; COMPUTE_PGM_RSRC2:SCRATCH_EN: 0
; COMPUTE_PGM_RSRC2:USER_SGPR: 2
; COMPUTE_PGM_RSRC2:TRAP_HANDLER: 0
; COMPUTE_PGM_RSRC2:TGID_X_EN: 1
; COMPUTE_PGM_RSRC2:TGID_Y_EN: 1
; COMPUTE_PGM_RSRC2:TGID_Z_EN: 1
; COMPUTE_PGM_RSRC2:TIDIG_COMP_CNT: 0
; COMPUTE_PGM_RSRC3_GFX90A:ACCUM_OFFSET: 4
; COMPUTE_PGM_RSRC3_GFX90A:TG_SPLIT: 0
	.section	.text._ZL33flash_attn_stream_k_fixup_generalILi64ELi16ELi2EEvPfPK15HIP_vector_typeIfLj2EEiiiiS1_IjLj3EES5_S5_S5_,"axG",@progbits,_ZL33flash_attn_stream_k_fixup_generalILi64ELi16ELi2EEvPfPK15HIP_vector_typeIfLj2EEiiiiS1_IjLj3EES5_S5_S5_,comdat
	.globl	_ZL33flash_attn_stream_k_fixup_generalILi64ELi16ELi2EEvPfPK15HIP_vector_typeIfLj2EEiiiiS1_IjLj3EES5_S5_S5_ ; -- Begin function _ZL33flash_attn_stream_k_fixup_generalILi64ELi16ELi2EEvPfPK15HIP_vector_typeIfLj2EEiiiiS1_IjLj3EES5_S5_S5_
	.p2align	8
	.type	_ZL33flash_attn_stream_k_fixup_generalILi64ELi16ELi2EEvPfPK15HIP_vector_typeIfLj2EEiiiiS1_IjLj3EES5_S5_S5_,@function
_ZL33flash_attn_stream_k_fixup_generalILi64ELi16ELi2EEvPfPK15HIP_vector_typeIfLj2EEiiiiS1_IjLj3EES5_S5_S5_: ; @_ZL33flash_attn_stream_k_fixup_generalILi64ELi16ELi2EEvPfPK15HIP_vector_typeIfLj2EEiiiiS1_IjLj3EES5_S5_S5_
; %bb.0:
	s_load_dwordx4 s[8:11], s[0:1], 0x10
	s_load_dword s22, s[0:1], 0x50
	s_mov_b32 s12, 0
	s_waitcnt lgkmcnt(0)
	s_mul_hi_i32 s13, s11, s2
	s_cmp_lg_u64 s[12:13], 0
	s_mul_i32 s5, s11, s2
	s_cbranch_scc0 .LBB39_20
; %bb.1:
	s_add_u32 s6, s22, 0
	s_addc_u32 s7, 0, 0
	s_xor_b64 s[6:7], s[6:7], 0
	v_cvt_f32_u32_e32 v1, s6
	v_cvt_f32_u32_e32 v2, s7
	s_sub_u32 s12, 0, s6
	s_subb_u32 s18, 0, s7
	v_fmamk_f32 v1, v2, 0x4f800000, v1
	v_rcp_f32_e32 v1, v1
	s_nop 0
	v_mul_f32_e32 v1, 0x5f7ffffc, v1
	v_mul_f32_e32 v2, 0x2f800000, v1
	v_trunc_f32_e32 v2, v2
	v_fmamk_f32 v1, v2, 0xcf800000, v1
	v_cvt_u32_f32_e32 v2, v2
	v_cvt_u32_f32_e32 v1, v1
	v_readfirstlane_b32 s19, v2
	v_readfirstlane_b32 s14, v1
	s_mul_i32 s15, s12, s19
	s_mul_hi_u32 s21, s12, s14
	s_mul_i32 s20, s18, s14
	s_add_i32 s15, s21, s15
	s_add_i32 s15, s15, s20
	s_mul_i32 s23, s12, s14
	s_mul_i32 s21, s14, s15
	s_mul_hi_u32 s24, s14, s23
	s_mul_hi_u32 s20, s14, s15
	s_add_u32 s21, s24, s21
	s_addc_u32 s20, 0, s20
	s_mul_hi_u32 s25, s19, s23
	s_mul_i32 s23, s19, s23
	s_add_u32 s21, s21, s23
	s_mul_hi_u32 s24, s19, s15
	s_addc_u32 s20, s20, s25
	s_addc_u32 s21, s24, 0
	s_mul_i32 s15, s19, s15
	s_add_u32 s15, s20, s15
	s_addc_u32 s20, 0, s21
	s_add_u32 s21, s14, s15
	s_cselect_b64 s[14:15], -1, 0
	s_cmp_lg_u64 s[14:15], 0
	s_addc_u32 s19, s19, s20
	s_mul_i32 s14, s12, s19
	s_mul_hi_u32 s15, s12, s21
	s_add_i32 s14, s15, s14
	s_mul_i32 s18, s18, s21
	s_add_i32 s14, s14, s18
	s_mul_i32 s12, s12, s21
	s_mul_hi_u32 s18, s19, s12
	s_mul_i32 s20, s19, s12
	s_mul_i32 s24, s21, s14
	s_mul_hi_u32 s12, s21, s12
	s_mul_hi_u32 s23, s21, s14
	s_add_u32 s12, s12, s24
	s_addc_u32 s23, 0, s23
	s_add_u32 s12, s12, s20
	s_mul_hi_u32 s15, s19, s14
	s_addc_u32 s12, s23, s18
	s_addc_u32 s15, s15, 0
	s_mul_i32 s14, s19, s14
	s_add_u32 s12, s12, s14
	s_addc_u32 s18, 0, s15
	s_add_u32 s20, s21, s12
	s_cselect_b64 s[14:15], -1, 0
	s_cmp_lg_u64 s[14:15], 0
	s_addc_u32 s18, s19, s18
	s_ashr_i32 s14, s13, 31
	s_add_u32 s12, s5, s14
	s_mov_b32 s15, s14
	s_addc_u32 s13, s13, s14
	s_xor_b64 s[12:13], s[12:13], s[14:15]
	s_mul_i32 s21, s12, s18
	s_mul_hi_u32 s23, s12, s20
	s_mul_hi_u32 s19, s12, s18
	s_add_u32 s21, s23, s21
	s_addc_u32 s19, 0, s19
	s_mul_hi_u32 s24, s13, s20
	s_mul_i32 s20, s13, s20
	s_add_u32 s20, s21, s20
	s_mul_hi_u32 s23, s13, s18
	s_addc_u32 s19, s19, s24
	s_addc_u32 s20, s23, 0
	s_mul_i32 s18, s13, s18
	s_add_u32 s23, s19, s18
	s_addc_u32 s24, 0, s20
	s_mul_i32 s18, s6, s24
	s_mul_hi_u32 s19, s6, s23
	s_add_i32 s18, s19, s18
	s_mul_i32 s19, s7, s23
	s_add_i32 s25, s18, s19
	s_sub_i32 s20, s13, s25
	s_mul_i32 s18, s6, s23
	s_sub_u32 s12, s12, s18
	s_cselect_b64 s[18:19], -1, 0
	s_cmp_lg_u64 s[18:19], 0
	s_subb_u32 s26, s20, s7
	s_sub_u32 s27, s12, s6
	s_cselect_b64 s[20:21], -1, 0
	s_cmp_lg_u64 s[20:21], 0
	s_subb_u32 s20, s26, 0
	s_cmp_ge_u32 s20, s7
	s_cselect_b32 s21, -1, 0
	s_cmp_ge_u32 s27, s6
	s_cselect_b32 s26, -1, 0
	s_cmp_eq_u32 s20, s7
	s_cselect_b32 s20, s26, s21
	s_add_u32 s21, s23, 1
	s_addc_u32 s26, s24, 0
	s_add_u32 s27, s23, 2
	s_addc_u32 s28, s24, 0
	s_cmp_lg_u32 s20, 0
	s_cselect_b32 s20, s27, s21
	s_cselect_b32 s21, s28, s26
	s_cmp_lg_u64 s[18:19], 0
	s_subb_u32 s13, s13, s25
	s_cmp_ge_u32 s13, s7
	s_cselect_b32 s18, -1, 0
	s_cmp_ge_u32 s12, s6
	s_cselect_b32 s6, -1, 0
	s_cmp_eq_u32 s13, s7
	s_cselect_b32 s6, s6, s18
	s_cmp_lg_u32 s6, 0
	s_cselect_b32 s7, s21, s24
	s_cselect_b32 s6, s20, s23
	s_xor_b64 s[12:13], s[14:15], 0
	s_xor_b64 s[6:7], s[6:7], s[12:13]
	s_sub_u32 s6, s6, s12
	s_load_dwordx4 s[12:15], s[0:1], 0x44
	s_cbranch_execnz .LBB39_3
.LBB39_2:
	v_cvt_f32_u32_e32 v1, s22
	s_sub_i32 s6, 0, s22
	v_rcp_iflag_f32_e32 v1, v1
	s_nop 0
	v_mul_f32_e32 v1, 0x4f7ffffe, v1
	v_cvt_u32_f32_e32 v1, v1
	s_nop 0
	v_readfirstlane_b32 s7, v1
	s_mul_i32 s6, s6, s7
	s_mul_hi_u32 s6, s7, s6
	s_add_i32 s7, s7, s6
	s_mul_hi_u32 s6, s5, s7
	s_waitcnt lgkmcnt(0)
	s_mul_i32 s15, s6, s22
	s_sub_i32 s5, s5, s15
	s_add_i32 s7, s6, 1
	s_sub_i32 s15, s5, s22
	s_cmp_ge_u32 s5, s22
	s_cselect_b32 s6, s7, s6
	s_cselect_b32 s5, s15, s5
	s_add_i32 s7, s6, 1
	s_cmp_ge_u32 s5, s22
	s_cselect_b32 s6, s7, s6
.LBB39_3:
	s_add_i32 s5, s2, 1
	s_mul_hi_i32 s21, s11, s5
	s_mov_b32 s20, 0
	s_cmp_lg_u64 s[20:21], 0
	s_mul_i32 s5, s11, s5
	s_cbranch_scc0 .LBB39_21
; %bb.4:
	s_add_u32 s16, s22, 0
	s_addc_u32 s17, 0, 0
	s_xor_b64 s[18:19], s[16:17], 0
	v_cvt_f32_u32_e32 v1, s18
	v_cvt_f32_u32_e32 v2, s19
	s_sub_u32 s7, 0, s18
	s_waitcnt lgkmcnt(0)
	s_subb_u32 s15, 0, s19
	v_fmamk_f32 v1, v2, 0x4f800000, v1
	v_rcp_f32_e32 v1, v1
	s_nop 0
	v_mul_f32_e32 v1, 0x5f7ffffc, v1
	v_mul_f32_e32 v2, 0x2f800000, v1
	v_trunc_f32_e32 v2, v2
	v_fmamk_f32 v1, v2, 0xcf800000, v1
	v_cvt_u32_f32_e32 v2, v2
	v_cvt_u32_f32_e32 v1, v1
	v_readfirstlane_b32 s20, v2
	v_readfirstlane_b32 s23, v1
	s_mul_i32 s24, s7, s20
	s_mul_hi_u32 s26, s7, s23
	s_mul_i32 s25, s15, s23
	s_add_i32 s24, s26, s24
	s_add_i32 s24, s24, s25
	s_mul_i32 s27, s7, s23
	s_mul_i32 s26, s23, s24
	s_mul_hi_u32 s28, s23, s27
	s_mul_hi_u32 s25, s23, s24
	s_add_u32 s26, s28, s26
	s_addc_u32 s25, 0, s25
	s_mul_hi_u32 s29, s20, s27
	s_mul_i32 s27, s20, s27
	s_add_u32 s26, s26, s27
	s_mul_hi_u32 s28, s20, s24
	s_addc_u32 s25, s25, s29
	s_addc_u32 s26, s28, 0
	s_mul_i32 s24, s20, s24
	s_add_u32 s24, s25, s24
	s_addc_u32 s26, 0, s26
	s_add_u32 s23, s23, s24
	s_cselect_b64 s[24:25], -1, 0
	s_cmp_lg_u64 s[24:25], 0
	s_addc_u32 s20, s20, s26
	s_mul_i32 s24, s7, s20
	s_mul_hi_u32 s25, s7, s23
	s_add_i32 s24, s25, s24
	s_mul_i32 s15, s15, s23
	s_add_i32 s24, s24, s15
	s_mul_i32 s7, s7, s23
	s_mul_hi_u32 s25, s20, s7
	s_mul_i32 s26, s20, s7
	s_mul_i32 s28, s23, s24
	s_mul_hi_u32 s7, s23, s7
	s_mul_hi_u32 s27, s23, s24
	s_add_u32 s7, s7, s28
	s_addc_u32 s27, 0, s27
	s_add_u32 s7, s7, s26
	s_mul_hi_u32 s15, s20, s24
	s_addc_u32 s7, s27, s25
	s_addc_u32 s15, s15, 0
	s_mul_i32 s24, s20, s24
	s_add_u32 s7, s7, s24
	s_addc_u32 s15, 0, s15
	s_add_u32 s7, s23, s7
	s_cselect_b64 s[24:25], -1, 0
	s_cmp_lg_u64 s[24:25], 0
	s_addc_u32 s15, s20, s15
	s_ashr_i32 s24, s21, 31
	s_add_u32 s20, s5, s24
	s_mov_b32 s25, s24
	s_addc_u32 s21, s21, s24
	s_xor_b64 s[20:21], s[20:21], s[24:25]
	s_mul_i32 s26, s20, s15
	s_mul_hi_u32 s27, s20, s7
	s_mul_hi_u32 s23, s20, s15
	s_add_u32 s26, s27, s26
	s_addc_u32 s23, 0, s23
	s_mul_hi_u32 s28, s21, s7
	s_mul_i32 s7, s21, s7
	s_add_u32 s7, s26, s7
	s_mul_hi_u32 s27, s21, s15
	s_addc_u32 s7, s23, s28
	s_addc_u32 s23, s27, 0
	s_mul_i32 s15, s21, s15
	s_add_u32 s7, s7, s15
	s_addc_u32 s15, 0, s23
	s_mul_i32 s23, s18, s15
	s_mul_hi_u32 s26, s18, s7
	s_add_i32 s23, s26, s23
	s_mul_i32 s26, s19, s7
	s_add_i32 s23, s23, s26
	s_sub_i32 s28, s21, s23
	s_mul_i32 s26, s18, s7
	s_sub_u32 s20, s20, s26
	s_cselect_b64 s[26:27], -1, 0
	s_cmp_lg_u64 s[26:27], 0
	s_subb_u32 s30, s28, s19
	s_sub_u32 s31, s20, s18
	s_cselect_b64 s[28:29], -1, 0
	s_cmp_lg_u64 s[28:29], 0
	s_subb_u32 s28, s30, 0
	s_cmp_ge_u32 s28, s19
	s_cselect_b32 s29, -1, 0
	s_cmp_ge_u32 s31, s18
	s_cselect_b32 s30, -1, 0
	s_cmp_eq_u32 s28, s19
	s_cselect_b32 s28, s30, s29
	s_add_u32 s29, s7, 1
	s_addc_u32 s30, s15, 0
	s_add_u32 s31, s7, 2
	s_addc_u32 s33, s15, 0
	s_cmp_lg_u32 s28, 0
	s_cselect_b32 s28, s31, s29
	s_cselect_b32 s29, s33, s30
	s_cmp_lg_u64 s[26:27], 0
	s_subb_u32 s21, s21, s23
	s_cmp_ge_u32 s21, s19
	s_cselect_b32 s23, -1, 0
	s_cmp_ge_u32 s20, s18
	s_cselect_b32 s18, -1, 0
	s_cmp_eq_u32 s21, s19
	s_cselect_b32 s18, s18, s23
	s_cmp_lg_u32 s18, 0
	s_cselect_b32 s19, s29, s15
	s_cselect_b32 s18, s28, s7
	s_xor_b64 s[20:21], s[24:25], 0
	s_xor_b64 s[18:19], s[18:19], s[20:21]
	s_sub_u32 s18, s18, s20
	s_cbranch_execnz .LBB39_6
.LBB39_5:
	v_cvt_f32_u32_e32 v1, s22
	s_sub_i32 s7, 0, s22
	v_rcp_iflag_f32_e32 v1, v1
	s_nop 0
	v_mul_f32_e32 v1, 0x4f7ffffe, v1
	v_cvt_u32_f32_e32 v1, v1
	s_waitcnt lgkmcnt(0)
	v_readfirstlane_b32 s15, v1
	s_mul_i32 s7, s7, s15
	s_mul_hi_u32 s7, s15, s7
	s_add_i32 s15, s15, s7
	s_mul_hi_u32 s7, s5, s15
	s_mul_i32 s16, s7, s22
	s_sub_i32 s5, s5, s16
	s_add_i32 s15, s7, 1
	s_sub_i32 s16, s5, s22
	s_cmp_ge_u32 s5, s22
	s_cselect_b32 s7, s15, s7
	s_cselect_b32 s5, s16, s5
	s_add_i32 s15, s7, 1
	s_cmp_ge_u32 s5, s22
	s_cselect_b32 s18, s15, s7
.LBB39_6:
	s_cmp_eq_u32 s6, s18
	s_waitcnt lgkmcnt(0)
	s_mul_hi_u32 s5, s6, s12
	s_cselect_b64 s[16:17], -1, 0
	s_add_i32 s5, s5, s6
	s_lshr_b32 s7, s5, s13
	s_mul_i32 s5, s7, s14
	s_cmp_eq_u32 s5, s6
	s_mul_hi_u32 s5, s18, s12
	s_cselect_b64 s[20:21], -1, 0
	s_add_i32 s5, s5, s18
	s_lshr_b32 s5, s5, s13
	s_cmp_eq_u32 s7, s5
	s_mul_i32 s5, s5, s14
	s_cselect_b64 s[24:25], -1, 0
	s_cmp_lg_u32 s5, s18
	s_cselect_b64 s[18:19], -1, 0
	s_and_b64 s[18:19], s[24:25], s[18:19]
	s_or_b64 s[16:17], s[16:17], s[20:21]
	s_or_b64 s[16:17], s[16:17], s[18:19]
	s_and_b64 vcc, exec, s[16:17]
	s_cbranch_vccnz .LBB39_23
; %bb.7:
	s_load_dwordx8 s[24:31], s[0:1], 0x20
	s_load_dword s15, s[0:1], 0x40
	s_waitcnt lgkmcnt(0)
	s_mul_hi_u32 s5, s6, s24
	s_add_i32 s5, s5, s6
	s_lshr_b32 s5, s5, s25
	s_mul_i32 s16, s5, s26
	s_sub_i32 s16, s6, s16
	s_mul_hi_u32 s17, s16, s27
	s_add_i32 s17, s16, s17
	s_lshr_b32 s20, s17, s28
	s_mul_i32 s17, s20, s29
	s_sub_i32 s16, s16, s17
	;; [unrolled: 5-line block ×3, first 2 shown]
	s_mul_hi_u32 s16, s15, s12
	s_add_i32 s15, s15, s16
	s_lshr_b32 s23, s15, s13
	s_lshl_b32 s15, s23, 4
	s_lshl_b32 s21, s17, 1
	s_add_i32 s15, s15, s3
	s_cmp_lt_i32 s15, s8
	s_cselect_b64 s[16:17], -1, 0
	s_add_i32 s15, s21, s4
	s_cmp_lt_i32 s15, s10
	s_cselect_b64 s[18:19], -1, 0
	s_and_b64 s[16:17], s[16:17], s[18:19]
	s_andn2_b64 vcc, exec, s[16:17]
	s_cbranch_vccnz .LBB39_23
; %bb.8:
	s_load_dwordx4 s[16:19], s[0:1], 0x0
	s_mov_b32 s0, 0
	s_lshl_b32 s15, s3, 1
	s_lshl_b32 s24, s22, 7
	s_mov_b32 s25, s0
	s_add_i32 s15, s15, s4
	s_waitcnt lgkmcnt(0)
	v_mov_b32_e32 v2, s16
	v_mov_b32_e32 v3, s17
	s_lshl_b64 s[16:17], s[24:25], 2
	s_add_u32 s16, s18, s16
	s_mul_i32 s1, s5, s8
	s_addc_u32 s17, s19, s17
	s_add_i32 s1, s1, s3
	s_mul_i32 s1, s1, s9
	s_mul_i32 s20, s20, s10
	s_add_i32 s1, s1, s4
	s_add_i32 s1, s1, s20
	s_mul_i32 s5, s9, s23
	s_add_i32 s1, s1, s21
	s_lshl_b32 s5, s5, 10
	s_lshl_b32 s1, s1, 6
	s_add_i32 s5, s5, s1
	v_or_b32_e32 v4, s5, v0
	v_ashrrev_i32_e32 v5, 31, v4
	v_lshl_add_u64 v[2:3], v[4:5], 2, v[2:3]
	global_load_dword v1, v[2:3], off
	v_cvt_f32_u32_e32 v4, s22
	s_lshl_b32 s1, s2, 5
	s_add_i32 s4, s15, s1
	s_ashr_i32 s5, s4, 31
	s_lshl_b64 s[4:5], s[4:5], 3
	v_rcp_iflag_f32_e32 v4, v4
	s_add_u32 s4, s18, s4
	s_addc_u32 s5, s19, s5
	s_load_dwordx2 s[4:5], s[4:5], 0x0
	v_mul_f32_e32 v4, 0x4f7ffffe, v4
	v_cvt_u32_f32_e32 v7, v4
	s_add_i32 s24, s2, -1
	v_lshl_or_b32 v6, s15, 6, v0
	s_waitcnt lgkmcnt(0)
	v_mov_b32_e32 v0, s5
	v_mov_b32_e32 v9, s4
	s_mov_b32 s10, 0x3fb8aa3b
	s_mov_b32 s20, 0xc2ce8ed0
	;; [unrolled: 1-line block ×4, first 2 shown]
	v_mov_b32_e32 v8, 0x7f800000
	s_mul_hi_i32 s1, s24, s11
	s_cmp_lg_u64 s[0:1], 0
	s_mul_i32 s8, s24, s11
	s_cbranch_scc0 .LBB39_19
.LBB39_9:
	s_add_u32 s2, s22, 0
	s_addc_u32 s3, 0, 0
	s_xor_b64 s[2:3], s[2:3], 0
	v_cvt_f32_u32_e32 v4, s2
	v_cvt_f32_u32_e32 v5, s3
	s_sub_u32 s9, 0, s2
	s_subb_u32 s25, 0, s3
	v_fmac_f32_e32 v4, 0x4f800000, v5
	v_rcp_f32_e32 v4, v4
	s_nop 0
	v_mul_f32_e32 v4, 0x5f7ffffc, v4
	v_mul_f32_e32 v5, 0x2f800000, v4
	v_trunc_f32_e32 v5, v5
	v_fmac_f32_e32 v4, 0xcf800000, v5
	v_cvt_u32_f32_e32 v5, v5
	v_cvt_u32_f32_e32 v4, v4
	v_readfirstlane_b32 s26, v5
	v_readfirstlane_b32 s4, v4
	s_mul_i32 s5, s9, s26
	s_mul_hi_u32 s28, s9, s4
	s_mul_i32 s27, s25, s4
	s_add_i32 s5, s28, s5
	s_mul_i32 s29, s9, s4
	s_add_i32 s5, s5, s27
	s_mul_i32 s28, s4, s5
	s_mul_hi_u32 s30, s4, s29
	s_mul_hi_u32 s27, s4, s5
	s_add_u32 s28, s30, s28
	s_addc_u32 s27, 0, s27
	s_mul_hi_u32 s31, s26, s29
	s_mul_i32 s29, s26, s29
	s_add_u32 s28, s28, s29
	s_mul_hi_u32 s30, s26, s5
	s_addc_u32 s27, s27, s31
	s_addc_u32 s28, s30, 0
	s_mul_i32 s5, s26, s5
	s_add_u32 s5, s27, s5
	s_addc_u32 s27, 0, s28
	s_add_u32 s28, s4, s5
	s_cselect_b64 s[4:5], -1, 0
	s_cmp_lg_u64 s[4:5], 0
	s_addc_u32 s26, s26, s27
	s_mul_i32 s4, s9, s26
	s_mul_hi_u32 s5, s9, s28
	s_add_i32 s4, s5, s4
	s_mul_i32 s25, s25, s28
	s_add_i32 s4, s4, s25
	s_mul_i32 s9, s9, s28
	s_mul_hi_u32 s25, s26, s9
	s_mul_i32 s27, s26, s9
	s_mul_i32 s30, s28, s4
	s_mul_hi_u32 s9, s28, s9
	s_mul_hi_u32 s29, s28, s4
	s_add_u32 s9, s9, s30
	s_addc_u32 s29, 0, s29
	s_add_u32 s9, s9, s27
	s_mul_hi_u32 s5, s26, s4
	s_addc_u32 s9, s29, s25
	s_addc_u32 s5, s5, 0
	s_mul_i32 s4, s26, s4
	s_add_u32 s4, s9, s4
	s_addc_u32 s9, 0, s5
	s_add_u32 s25, s28, s4
	s_cselect_b64 s[4:5], -1, 0
	s_cmp_lg_u64 s[4:5], 0
	s_addc_u32 s9, s26, s9
	s_ashr_i32 s4, s1, 31
	s_add_u32 s26, s8, s4
	s_mov_b32 s5, s4
	s_addc_u32 s27, s1, s4
	s_xor_b64 s[26:27], s[26:27], s[4:5]
	s_mul_i32 s28, s26, s9
	s_mul_hi_u32 s29, s26, s25
	s_mul_hi_u32 s1, s26, s9
	s_add_u32 s28, s29, s28
	s_addc_u32 s1, 0, s1
	s_mul_hi_u32 s30, s27, s25
	s_mul_i32 s25, s27, s25
	s_add_u32 s25, s28, s25
	s_mul_hi_u32 s29, s27, s9
	s_addc_u32 s1, s1, s30
	s_addc_u32 s25, s29, 0
	s_mul_i32 s9, s27, s9
	s_add_u32 s1, s1, s9
	s_addc_u32 s9, 0, s25
	s_mul_i32 s25, s2, s9
	s_mul_hi_u32 s28, s2, s1
	s_add_i32 s25, s28, s25
	s_mul_i32 s28, s3, s1
	s_add_i32 s25, s25, s28
	s_sub_i32 s30, s27, s25
	s_mul_i32 s28, s2, s1
	s_sub_u32 s26, s26, s28
	s_cselect_b64 s[28:29], -1, 0
	s_cmp_lg_u64 s[28:29], 0
	s_subb_u32 s33, s30, s3
	s_sub_u32 s34, s26, s2
	s_cselect_b64 s[30:31], -1, 0
	s_cmp_lg_u64 s[30:31], 0
	s_subb_u32 s30, s33, 0
	s_cmp_ge_u32 s30, s3
	s_cselect_b32 s31, -1, 0
	s_cmp_ge_u32 s34, s2
	s_cselect_b32 s33, -1, 0
	s_cmp_eq_u32 s30, s3
	s_cselect_b32 s30, s33, s31
	s_add_u32 s31, s1, 1
	s_addc_u32 s33, s9, 0
	s_add_u32 s34, s1, 2
	s_addc_u32 s35, s9, 0
	s_cmp_lg_u32 s30, 0
	s_cselect_b32 s30, s34, s31
	s_cselect_b32 s31, s35, s33
	s_cmp_lg_u64 s[28:29], 0
	s_subb_u32 s25, s27, s25
	s_cmp_ge_u32 s25, s3
	s_cselect_b32 s27, -1, 0
	s_cmp_ge_u32 s26, s2
	s_cselect_b32 s2, -1, 0
	s_cmp_eq_u32 s25, s3
	s_cselect_b32 s2, s2, s27
	s_cmp_lg_u32 s2, 0
	s_cselect_b32 s3, s31, s9
	s_cselect_b32 s2, s30, s1
	s_xor_b64 s[4:5], s[4:5], 0
	s_xor_b64 s[2:3], s[2:3], s[4:5]
	s_sub_u32 s4, s2, s4
	s_cbranch_execnz .LBB39_11
.LBB39_10:
	s_sub_i32 s1, 0, s22
	v_readfirstlane_b32 s2, v7
	s_mul_i32 s1, s1, s2
	s_mul_hi_u32 s1, s2, s1
	s_add_i32 s2, s2, s1
	s_mul_hi_u32 s1, s8, s2
	s_mul_i32 s3, s1, s22
	s_sub_i32 s3, s8, s3
	s_add_i32 s2, s1, 1
	s_sub_i32 s4, s3, s22
	s_cmp_ge_u32 s3, s22
	s_cselect_b32 s1, s2, s1
	s_cselect_b32 s3, s4, s3
	s_add_i32 s2, s1, 1
	s_cmp_ge_u32 s3, s22
	s_cselect_b32 s4, s2, s1
.LBB39_11:
	s_cmp_lg_u32 s6, s4
	s_cbranch_scc0 .LBB39_15
; %bb.12:
	s_add_i32 s1, s24, s22
	s_lshl_b32 s1, s1, 5
	s_add_i32 s2, s1, s15
	s_mov_b32 s3, s0
	s_lshl_b64 s[2:3], s[2:3], 3
	s_add_u32 s8, s18, s2
	s_mul_hi_u32 s1, s4, s12
	s_addc_u32 s9, s19, s3
	s_add_i32 s1, s1, s4
	s_lshr_b32 s1, s1, s13
	s_mul_i32 s2, s1, s14
	s_cmp_eq_u32 s2, s4
	s_cselect_b64 s[2:3], -1, 0
	s_cmp_lt_u32 s1, s7
	s_cselect_b64 s[26:27], -1, 0
	s_or_b64 s[26:27], s[26:27], s[2:3]
	s_mov_b64 s[2:3], -1
	s_and_b64 vcc, exec, s[26:27]
	s_mov_b32 s1, s24
	s_mov_b32 s25, s6
	s_cbranch_vccnz .LBB39_14
; %bb.13:
	s_add_i32 s1, s24, -1
	s_mov_b64 s[2:3], 0
	s_mov_b32 s25, s4
.LBB39_14:
	v_lshl_add_u32 v4, s24, 11, v6
	v_ashrrev_i32_e32 v5, 31, v4
	v_lshl_add_u64 v[4:5], v[4:5], 2, s[16:17]
	global_load_dword v5, v[4:5], off
	s_load_dwordx2 s[4:5], s[8:9], 0x0
	v_max_f32_e32 v4, v9, v9
	s_waitcnt lgkmcnt(0)
	v_max_f32_e64 v10, s4, s4
	v_max_f32_e32 v10, v4, v10
	v_sub_f32_e32 v11, v9, v10
	v_sub_f32_e32 v13, s4, v10
	v_mul_f32_e32 v4, 0x3fb8aa3b, v11
	v_mul_f32_e32 v12, 0x3fb8aa3b, v13
	v_fma_f32 v14, v11, s10, -v4
	v_rndne_f32_e32 v15, v4
	v_fma_f32 v16, v13, s10, -v12
	v_rndne_f32_e32 v17, v12
	v_fmac_f32_e32 v14, 0x32a5705f, v11
	v_sub_f32_e32 v4, v4, v15
	v_fmac_f32_e32 v16, 0x32a5705f, v13
	v_sub_f32_e32 v12, v12, v17
	v_add_f32_e32 v4, v4, v14
	v_cvt_i32_f32_e32 v15, v15
	v_add_f32_e32 v12, v12, v16
	v_exp_f32_e32 v14, v4
	v_cvt_i32_f32_e32 v17, v17
	v_exp_f32_e32 v12, v12
	v_cmp_ngt_f32_e32 vcc, s20, v11
	v_ldexp_f32 v14, v14, v15
	v_mov_b32_e32 v4, s5
	v_ldexp_f32 v12, v12, v17
	v_cndmask_b32_e32 v14, 0, v14, vcc
	v_cmp_ngt_f32_e32 vcc, s20, v13
	s_nop 1
	v_cndmask_b32_e32 v12, 0, v12, vcc
	v_cmp_nlt_f32_e32 vcc, s21, v11
	s_nop 1
	v_cndmask_b32_e32 v14, v8, v14, vcc
	v_cmp_nlt_f32_e32 vcc, s21, v13
	s_nop 1
	v_cndmask_b32_e32 v15, v8, v12, vcc
	v_cmp_le_f32_e32 vcc, s23, v11
	s_nop 1
	v_cndmask_b32_e32 v12, 0, v14, vcc
	v_cmp_le_f32_e32 vcc, s23, v13
	s_nop 1
	v_cndmask_b32_e32 v14, 0, v15, vcc
	s_waitcnt vmcnt(0)
	v_pk_mul_f32 v[4:5], v[4:5], v[14:15] op_sel_hi:[1,0]
	s_nop 0
	v_pk_fma_f32 v[4:5], v[0:1], v[12:13], v[4:5] op_sel_hi:[1,0,1]
	s_cbranch_execz .LBB39_16
	s_branch .LBB39_17
.LBB39_15:
                                        ; implicit-def: $vgpr4_vgpr5
                                        ; implicit-def: $sgpr2_sgpr3
                                        ; implicit-def: $vgpr10
                                        ; implicit-def: $sgpr1
                                        ; implicit-def: $sgpr25
.LBB39_16:
	s_add_i32 s1, s24, -1
	s_mov_b64 s[2:3], 0
	s_mov_b32 s25, s6
	v_mov_b32_e32 v10, v9
	s_waitcnt vmcnt(0)
	v_mov_b64_e32 v[4:5], v[0:1]
.LBB39_17:
	s_andn2_b64 vcc, exec, s[2:3]
	s_cbranch_vccz .LBB39_22
; %bb.18:
	s_mov_b32 s6, s25
	s_mov_b32 s24, s1
	v_mov_b32_e32 v9, v10
	s_waitcnt vmcnt(0)
	v_mov_b64_e32 v[0:1], v[4:5]
	s_mul_hi_i32 s1, s24, s11
	s_cmp_lg_u64 s[0:1], 0
	s_mul_i32 s8, s24, s11
	s_cbranch_scc1 .LBB39_9
.LBB39_19:
                                        ; implicit-def: $sgpr4_sgpr5
	s_branch .LBB39_10
.LBB39_20:
                                        ; implicit-def: $sgpr6_sgpr7
	s_load_dwordx4 s[12:15], s[0:1], 0x44
	s_branch .LBB39_2
.LBB39_21:
                                        ; implicit-def: $sgpr18_sgpr19
	s_branch .LBB39_5
.LBB39_22:
	v_div_scale_f32 v0, s[0:1], v4, v4, v5
	s_waitcnt vmcnt(0)
	v_rcp_f32_e32 v1, v0
	v_div_scale_f32 v6, vcc, v5, v4, v5
	v_fma_f32 v7, -v0, v1, 1.0
	v_fmac_f32_e32 v1, v7, v1
	v_mul_f32_e32 v7, v6, v1
	v_fma_f32 v8, -v0, v7, v6
	v_fmac_f32_e32 v7, v8, v1
	v_fma_f32 v0, -v0, v7, v6
	v_div_fmas_f32 v0, v0, v1, v7
	v_div_fixup_f32 v0, v0, v4, v5
	global_store_dword v[2:3], v0, off
.LBB39_23:
	s_endpgm
	.section	.rodata,"a",@progbits
	.p2align	6, 0x0
	.amdhsa_kernel _ZL33flash_attn_stream_k_fixup_generalILi64ELi16ELi2EEvPfPK15HIP_vector_typeIfLj2EEiiiiS1_IjLj3EES5_S5_S5_
		.amdhsa_group_segment_fixed_size 0
		.amdhsa_private_segment_fixed_size 0
		.amdhsa_kernarg_size 336
		.amdhsa_user_sgpr_count 2
		.amdhsa_user_sgpr_dispatch_ptr 0
		.amdhsa_user_sgpr_queue_ptr 0
		.amdhsa_user_sgpr_kernarg_segment_ptr 1
		.amdhsa_user_sgpr_dispatch_id 0
		.amdhsa_user_sgpr_kernarg_preload_length 0
		.amdhsa_user_sgpr_kernarg_preload_offset 0
		.amdhsa_user_sgpr_private_segment_size 0
		.amdhsa_uses_dynamic_stack 0
		.amdhsa_enable_private_segment 0
		.amdhsa_system_sgpr_workgroup_id_x 1
		.amdhsa_system_sgpr_workgroup_id_y 1
		.amdhsa_system_sgpr_workgroup_id_z 1
		.amdhsa_system_sgpr_workgroup_info 0
		.amdhsa_system_vgpr_workitem_id 0
		.amdhsa_next_free_vgpr 18
		.amdhsa_next_free_sgpr 36
		.amdhsa_accum_offset 20
		.amdhsa_reserve_vcc 1
		.amdhsa_float_round_mode_32 0
		.amdhsa_float_round_mode_16_64 0
		.amdhsa_float_denorm_mode_32 3
		.amdhsa_float_denorm_mode_16_64 3
		.amdhsa_dx10_clamp 1
		.amdhsa_ieee_mode 1
		.amdhsa_fp16_overflow 0
		.amdhsa_tg_split 0
		.amdhsa_exception_fp_ieee_invalid_op 0
		.amdhsa_exception_fp_denorm_src 0
		.amdhsa_exception_fp_ieee_div_zero 0
		.amdhsa_exception_fp_ieee_overflow 0
		.amdhsa_exception_fp_ieee_underflow 0
		.amdhsa_exception_fp_ieee_inexact 0
		.amdhsa_exception_int_div_zero 0
	.end_amdhsa_kernel
	.section	.text._ZL33flash_attn_stream_k_fixup_generalILi64ELi16ELi2EEvPfPK15HIP_vector_typeIfLj2EEiiiiS1_IjLj3EES5_S5_S5_,"axG",@progbits,_ZL33flash_attn_stream_k_fixup_generalILi64ELi16ELi2EEvPfPK15HIP_vector_typeIfLj2EEiiiiS1_IjLj3EES5_S5_S5_,comdat
.Lfunc_end39:
	.size	_ZL33flash_attn_stream_k_fixup_generalILi64ELi16ELi2EEvPfPK15HIP_vector_typeIfLj2EEiiiiS1_IjLj3EES5_S5_S5_, .Lfunc_end39-_ZL33flash_attn_stream_k_fixup_generalILi64ELi16ELi2EEvPfPK15HIP_vector_typeIfLj2EEiiiiS1_IjLj3EES5_S5_S5_
                                        ; -- End function
	.set _ZL33flash_attn_stream_k_fixup_generalILi64ELi16ELi2EEvPfPK15HIP_vector_typeIfLj2EEiiiiS1_IjLj3EES5_S5_S5_.num_vgpr, 18
	.set _ZL33flash_attn_stream_k_fixup_generalILi64ELi16ELi2EEvPfPK15HIP_vector_typeIfLj2EEiiiiS1_IjLj3EES5_S5_S5_.num_agpr, 0
	.set _ZL33flash_attn_stream_k_fixup_generalILi64ELi16ELi2EEvPfPK15HIP_vector_typeIfLj2EEiiiiS1_IjLj3EES5_S5_S5_.numbered_sgpr, 36
	.set _ZL33flash_attn_stream_k_fixup_generalILi64ELi16ELi2EEvPfPK15HIP_vector_typeIfLj2EEiiiiS1_IjLj3EES5_S5_S5_.num_named_barrier, 0
	.set _ZL33flash_attn_stream_k_fixup_generalILi64ELi16ELi2EEvPfPK15HIP_vector_typeIfLj2EEiiiiS1_IjLj3EES5_S5_S5_.private_seg_size, 0
	.set _ZL33flash_attn_stream_k_fixup_generalILi64ELi16ELi2EEvPfPK15HIP_vector_typeIfLj2EEiiiiS1_IjLj3EES5_S5_S5_.uses_vcc, 1
	.set _ZL33flash_attn_stream_k_fixup_generalILi64ELi16ELi2EEvPfPK15HIP_vector_typeIfLj2EEiiiiS1_IjLj3EES5_S5_S5_.uses_flat_scratch, 0
	.set _ZL33flash_attn_stream_k_fixup_generalILi64ELi16ELi2EEvPfPK15HIP_vector_typeIfLj2EEiiiiS1_IjLj3EES5_S5_S5_.has_dyn_sized_stack, 0
	.set _ZL33flash_attn_stream_k_fixup_generalILi64ELi16ELi2EEvPfPK15HIP_vector_typeIfLj2EEiiiiS1_IjLj3EES5_S5_S5_.has_recursion, 0
	.set _ZL33flash_attn_stream_k_fixup_generalILi64ELi16ELi2EEvPfPK15HIP_vector_typeIfLj2EEiiiiS1_IjLj3EES5_S5_S5_.has_indirect_call, 0
	.section	.AMDGPU.csdata,"",@progbits
; Kernel info:
; codeLenInByte = 2940
; TotalNumSgprs: 42
; NumVgprs: 18
; NumAgprs: 0
; TotalNumVgprs: 18
; ScratchSize: 0
; MemoryBound: 0
; FloatMode: 240
; IeeeMode: 1
; LDSByteSize: 0 bytes/workgroup (compile time only)
; SGPRBlocks: 5
; VGPRBlocks: 2
; NumSGPRsForWavesPerEU: 42
; NumVGPRsForWavesPerEU: 18
; AccumOffset: 20
; Occupancy: 8
; WaveLimiterHint : 0
; COMPUTE_PGM_RSRC2:SCRATCH_EN: 0
; COMPUTE_PGM_RSRC2:USER_SGPR: 2
; COMPUTE_PGM_RSRC2:TRAP_HANDLER: 0
; COMPUTE_PGM_RSRC2:TGID_X_EN: 1
; COMPUTE_PGM_RSRC2:TGID_Y_EN: 1
; COMPUTE_PGM_RSRC2:TGID_Z_EN: 1
; COMPUTE_PGM_RSRC2:TIDIG_COMP_CNT: 0
; COMPUTE_PGM_RSRC3_GFX90A:ACCUM_OFFSET: 4
; COMPUTE_PGM_RSRC3_GFX90A:TG_SPLIT: 0
	.section	.text._ZL15flash_attn_tileILi64ELi64ELi8ELi2ELb0EEvPKcS1_S1_S1_S1_PKiPfP15HIP_vector_typeIfLj2EEffffjfiS5_IjLj3EEiiiiiiiiiiiliiliiiiil,"axG",@progbits,_ZL15flash_attn_tileILi64ELi64ELi8ELi2ELb0EEvPKcS1_S1_S1_S1_PKiPfP15HIP_vector_typeIfLj2EEffffjfiS5_IjLj3EEiiiiiiiiiiiliiliiiiil,comdat
	.globl	_ZL15flash_attn_tileILi64ELi64ELi8ELi2ELb0EEvPKcS1_S1_S1_S1_PKiPfP15HIP_vector_typeIfLj2EEffffjfiS5_IjLj3EEiiiiiiiiiiiliiliiiiil ; -- Begin function _ZL15flash_attn_tileILi64ELi64ELi8ELi2ELb0EEvPKcS1_S1_S1_S1_PKiPfP15HIP_vector_typeIfLj2EEffffjfiS5_IjLj3EEiiiiiiiiiiiliiliiiiil
	.p2align	8
	.type	_ZL15flash_attn_tileILi64ELi64ELi8ELi2ELb0EEvPKcS1_S1_S1_S1_PKiPfP15HIP_vector_typeIfLj2EEffffjfiS5_IjLj3EEiiiiiiiiiiiliiliiiiil,@function
_ZL15flash_attn_tileILi64ELi64ELi8ELi2ELb0EEvPKcS1_S1_S1_S1_PKiPfP15HIP_vector_typeIfLj2EEffffjfiS5_IjLj3EEiiiiiiiiiiiliiliiiiil: ; @_ZL15flash_attn_tileILi64ELi64ELi8ELi2ELb0EEvPKcS1_S1_S1_S1_PKiPfP15HIP_vector_typeIfLj2EEffffjfiS5_IjLj3EEiiiiiiiiiiiliiliiiiil
; %bb.0:
	s_load_dwordx4 s[20:23], s[0:1], 0x5c
	s_load_dwordx2 s[30:31], s[0:1], 0x80
	s_load_dwordx2 s[36:37], s[0:1], 0xb8
	s_mov_b64 s[34:35], 0
	s_waitcnt lgkmcnt(0)
	s_lshr_b32 s5, s23, 31
	s_add_i32 s5, s23, s5
	s_ashr_i32 s5, s5, 1
	v_cvt_f32_u32_e32 v1, s5
	s_sub_i32 s6, 0, s5
	v_rcp_iflag_f32_e32 v1, v1
	s_nop 0
	v_mul_f32_e32 v1, 0x4f7ffffe, v1
	v_cvt_u32_f32_e32 v1, v1
	s_nop 0
	v_readfirstlane_b32 s7, v1
	s_mul_i32 s6, s6, s7
	s_mul_hi_u32 s6, s7, s6
	s_add_i32 s7, s7, s6
	s_mul_hi_u32 s6, s4, s7
	s_mul_i32 s7, s6, s5
	s_sub_i32 s7, s4, s7
	s_add_i32 s8, s6, 1
	s_sub_i32 s9, s7, s5
	s_cmp_ge_u32 s7, s5
	s_cselect_b32 s6, s8, s6
	s_cselect_b32 s7, s9, s7
	s_add_i32 s8, s6, 1
	s_cmp_ge_u32 s7, s5
	s_cselect_b32 s33, s8, s6
	s_abs_i32 s5, s31
	v_cvt_f32_u32_e32 v1, s5
	s_lshl_b32 s4, s4, 1
	s_mul_i32 s8, s33, s23
	s_sub_i32 s9, 0, s5
	v_rcp_iflag_f32_e32 v1, v1
	s_sub_i32 s28, s4, s8
	s_abs_i32 s7, s23
	s_xor_b32 s6, s23, s31
	v_mul_f32_e32 v1, 0x4f7ffffe, v1
	v_cvt_u32_f32_e32 v1, v1
	s_ashr_i32 s6, s6, 31
	v_readfirstlane_b32 s4, v1
	s_mul_i32 s9, s9, s4
	s_mul_hi_u32 s8, s4, s9
	s_add_i32 s4, s4, s8
	s_mul_hi_u32 s4, s7, s4
	s_mul_i32 s8, s4, s5
	s_sub_i32 s7, s7, s8
	s_add_i32 s9, s4, 1
	s_sub_i32 s8, s7, s5
	s_cmp_ge_u32 s7, s5
	s_cselect_b32 s4, s9, s4
	s_cselect_b32 s7, s8, s7
	s_add_i32 s8, s4, 1
	s_cmp_ge_u32 s7, s5
	s_cselect_b32 s4, s8, s4
	s_xor_b32 s4, s4, s6
	s_sub_i32 s31, s4, s6
	s_abs_i32 s29, s31
	v_cvt_f32_u32_e32 v1, s29
	s_load_dwordx16 s[4:19], s[0:1], 0x0
	v_rcp_iflag_f32_e32 v1, v1
	s_waitcnt lgkmcnt(0)
	s_cmp_eq_u64 s[10:11], 0
	v_mul_f32_e32 v1, 0x4f7ffffe, v1
	v_cvt_u32_f32_e32 v1, v1
	s_nop 0
	v_readfirstlane_b32 s38, v1
	s_cbranch_scc1 .LBB40_2
; %bb.1:
	s_abs_i32 s26, s36
	v_cvt_f32_u32_e32 v1, s26
	s_sub_i32 s35, 0, s26
	s_abs_i32 s34, s33
	s_ashr_i32 s27, s33, 31
	v_rcp_iflag_f32_e32 v1, v1
	s_load_dwordx2 s[24:25], s[0:1], 0xc8
	v_mul_f32_e32 v1, 0x4f7ffffe, v1
	v_cvt_u32_f32_e32 v1, v1
	s_nop 0
	v_readfirstlane_b32 s36, v1
	s_mul_i32 s35, s35, s36
	s_mul_hi_u32 s35, s36, s35
	s_add_i32 s36, s36, s35
	s_mul_hi_u32 s35, s34, s36
	s_mul_i32 s35, s35, s26
	s_sub_i32 s34, s34, s35
	s_sub_i32 s35, s34, s26
	s_cmp_ge_u32 s34, s26
	s_cselect_b32 s34, s35, s34
	s_sub_i32 s35, s34, s26
	s_cmp_ge_u32 s34, s26
	s_cselect_b32 s26, s35, s34
	s_xor_b32 s26, s26, s27
	s_sub_i32 s26, s26, s27
	s_ashr_i32 s27, s26, 31
	s_waitcnt lgkmcnt(0)
	s_mul_hi_u32 s34, s24, s26
	s_mul_i32 s27, s24, s27
	s_mul_i32 s25, s25, s26
	s_add_i32 s27, s34, s27
	s_add_i32 s27, s27, s25
	s_mul_i32 s24, s24, s26
	s_add_u32 s34, s10, s24
	s_addc_u32 s35, s11, s27
.LBB40_2:
	s_load_dwordx4 s[24:27], s[0:1], 0x70
	v_bfe_u32 v1, v0, 10, 10
	v_lshl_add_u32 v17, s2, 3, v1
	v_mul_hi_u32 v2, s20, v17
	v_add_u32_e32 v2, v17, v2
	s_waitcnt lgkmcnt(0)
	s_mul_i32 s10, s33, s26
	s_ashr_i32 s26, s10, 31
	s_mul_i32 s11, s28, s25
	s_add_u32 s4, s4, s10
	s_addc_u32 s5, s5, s26
	s_ashr_i32 s10, s11, 31
	s_add_u32 s4, s4, s11
	v_lshrrev_b32_e32 v2, s21, v2
	s_addc_u32 s5, s5, s10
	v_mul_lo_u32 v2, v2, s22
	s_ashr_i32 s21, s24, 31
	s_mov_b32 s20, s24
	v_sub_u32_e32 v2, v17, v2
	s_lshr_b64 s[26:27], s[20:21], 2
	v_mad_u64_u32 v[4:5], s[26:27], s26, v2, 0
	v_mov_b32_e32 v6, v5
	s_lshr_b32 s10, s21, 2
	v_mad_u64_u32 v[6:7], s[20:21], s10, v2, v[6:7]
	v_mov_b32_e32 v5, v6
	v_and_b32_e32 v16, 0x3ff, v0
	v_lshl_add_u64 v[4:5], v[4:5], 2, s[4:5]
	v_lshlrev_b32_e32 v6, 3, v16
	v_mov_b32_e32 v7, 0
	s_ashr_i32 s11, s25, 31
	v_lshl_add_u64 v[4:5], v[4:5], 0, v[6:7]
	s_and_b32 s10, s25, -4
	global_load_dwordx2 v[6:7], v[4:5], off
	v_lshl_add_u64 v[4:5], v[4:5], 0, s[10:11]
	global_load_dwordx2 v[4:5], v[4:5], off
	s_load_dword s4, s[0:1], 0x40
	v_mov_b32_e32 v0, 0x5800
	v_lshl_add_u32 v40, v1, 8, v0
	v_lshl_add_u32 v0, v16, 2, v40
	s_cmp_eq_u64 s[14:15], 0
	s_waitcnt vmcnt(1) lgkmcnt(0)
	v_fma_mixlo_f16 v3, s4, v6, 0
	v_fma_mixlo_f16 v6, s4, v7, 0
	s_waitcnt vmcnt(0)
	v_fma_mixlo_f16 v5, s4, v5, 0
	v_lshlrev_b32_e32 v6, 16, v6
	v_fma_mixlo_f16 v4, s4, v4, 0
	v_lshlrev_b32_e32 v5, 16, v5
	v_or_b32_sdwa v3, v6, v3 dst_sel:DWORD dst_unused:UNUSED_PAD src0_sel:DWORD src1_sel:WORD_0
	v_or_b32_sdwa v4, v5, v4 dst_sel:DWORD dst_unused:UNUSED_PAD src0_sel:DWORD src1_sel:WORD_0
	ds_write2_b32 v0, v3, v4 offset1:32
	s_waitcnt lgkmcnt(0)
	s_barrier
	s_cbranch_scc1 .LBB40_4
; %bb.3:
	s_load_dword s4, s[0:1], 0xd0
	s_mov_b32 s5, 0
	s_waitcnt lgkmcnt(0)
	s_mul_i32 s4, s4, s33
	s_add_i32 s4, s4, s2
	s_lshl_b64 s[4:5], s[4:5], 2
	s_add_u32 s4, s14, s4
	s_addc_u32 s5, s15, s5
	s_load_dword s30, s[4:5], 0x0
.LBB40_4:
	s_lshl_b32 s2, s3, 7
	s_waitcnt lgkmcnt(0)
	s_cmp_lt_i32 s2, s30
	v_mbcnt_lo_u32_b32 v3, -1, 0
	s_cbranch_scc1 .LBB40_7
; %bb.5:
	v_mbcnt_hi_u32_b32 v31, -1, v3
	v_and_b32_e32 v0, 0x60, v31
	v_add_u32_e32 v41, 32, v0
	v_xor_b32_e32 v46, 16, v31
	v_xor_b32_e32 v45, 8, v31
	;; [unrolled: 1-line block ×5, first 2 shown]
	s_cbranch_execz .LBB40_8
; %bb.6:
	v_mov_b32_e32 v27, 0
	v_mov_b32_e32 v1, 0xfeffffff
	v_mov_b32_e32 v76, 0
	v_mov_b32_e32 v0, v1
	v_mov_b32_e32 v26, v27
	v_mov_b32_e32 v75, 0
	s_branch .LBB40_10
.LBB40_7:
                                        ; implicit-def: $vgpr31
                                        ; implicit-def: $vgpr41
                                        ; implicit-def: $vgpr46
                                        ; implicit-def: $vgpr45
                                        ; implicit-def: $vgpr44
                                        ; implicit-def: $vgpr43
                                        ; implicit-def: $vgpr42
.LBB40_8:
	s_sub_i32 s4, 0, s29
	s_mul_i32 s4, s4, s38
	s_mul_hi_u32 s4, s38, s4
	s_add_i32 s38, s38, s4
	s_load_dwordx2 s[4:5], s[0:1], 0x8c
	s_load_dwordx4 s[24:27], s[0:1], 0x98
	s_abs_i32 s14, s28
	s_mul_hi_u32 s15, s14, s38
	s_ashr_i32 s36, s28, 31
	s_waitcnt lgkmcnt(0)
	s_ashr_i32 s11, s4, 2
	s_ashr_i32 s4, s33, 31
	;; [unrolled: 1-line block ×4, first 2 shown]
	s_mul_hi_u32 s37, s24, s33
	s_mul_i32 s38, s24, s4
	s_add_i32 s37, s37, s38
	s_mul_i32 s25, s25, s33
	s_ashr_i32 s31, s31, 31
	s_add_i32 s37, s37, s25
	s_mul_i32 s24, s24, s33
	s_add_u32 s6, s6, s24
	s_mul_i32 s25, s15, s29
	s_addc_u32 s7, s7, s37
	s_sub_i32 s14, s14, s25
	s_xor_b32 s24, s36, s31
	s_add_i32 s25, s15, 1
	s_sub_i32 s31, s14, s29
	s_cmp_ge_u32 s14, s29
	s_cselect_b32 s15, s25, s15
	s_cselect_b32 s14, s31, s14
	s_add_i32 s25, s15, 1
	s_cmp_ge_u32 s14, s29
	s_load_dwordx2 s[20:21], s[0:1], 0xa8
	s_cselect_b32 s14, s25, s15
	s_xor_b32 s14, s14, s24
	s_sub_i32 s24, s14, s24
	s_mul_i32 s5, s24, s5
	s_ashr_i32 s15, s5, 31
	s_add_u32 s14, s6, s5
	s_waitcnt lgkmcnt(0)
	s_mul_hi_u32 s5, s20, s33
	s_mul_i32 s4, s20, s4
	s_addc_u32 s15, s7, s15
	s_add_i32 s4, s5, s4
	s_mul_i32 s5, s21, s33
	s_add_i32 s4, s4, s5
	s_mul_i32 s5, s20, s33
	s_add_u32 s5, s8, s5
	s_mul_i32 s24, s24, s27
	s_addc_u32 s4, s9, s4
	s_ashr_i32 s6, s24, 31
	v_lshlrev_b32_e32 v47, 2, v16
	s_add_u32 s8, s5, s24
	v_lshrrev_b32_e32 v0, 3, v16
	v_and_b32_e32 v4, 28, v47
	s_addc_u32 s9, s4, s6
	v_lshl_add_u32 v0, v1, 2, v0
	v_lshlrev_b32_e32 v5, 2, v4
	s_movk_i32 s4, 0x90
	v_mad_u32_u24 v48, v0, s4, v5
	v_mul_lo_u32 v20, s11, v0
	s_lshl_b32 s4, s11, 5
	v_add_u32_e32 v22, s4, v20
	v_add_u32_e32 v24, s4, v22
	;; [unrolled: 1-line block ×3, first 2 shown]
	v_mad_u64_u32 v[30:31], s[4:5], v2, s26, v[16:17]
	v_mul_lo_u32 v32, s10, v0
	s_lshl_b32 s4, s10, 5
	v_add_u32_e32 v34, s4, v32
	v_mov_b32_e32 v2, 0x4800
	v_add_u32_e32 v36, s4, v34
	v_mbcnt_hi_u32_b32 v31, -1, v3
	v_mov_b32_e32 v19, 0
	v_lshl_add_u32 v53, v1, 9, v2
	v_lshl_or_b32 v54, v0, 7, v5
	v_add_u32_e32 v38, s4, v36
	s_add_u32 s4, s0, 0xd0
	v_mov_b32_e32 v0, 0xfeffffff
	v_and_b32_e32 v1, 0x60, v31
	v_ashrrev_i32_e32 v21, 31, v20
	v_add_u32_e32 v49, 0x1200, v48
	v_ashrrev_i32_e32 v23, 31, v22
	v_add_u32_e32 v50, 0x2400, v48
	;; [unrolled: 2-line block ×3, first 2 shown]
	v_ashrrev_i32_e32 v29, 31, v28
	v_mul_u32_u24_e32 v52, 0x90, v16
	v_ashrrev_i32_e32 v33, 31, v32
	v_add_u32_e32 v55, 0x1000, v54
	v_ashrrev_i32_e32 v35, 31, v34
	v_add_u32_e32 v56, 0x2000, v54
	;; [unrolled: 2-line block ×3, first 2 shown]
	v_ashrrev_i32_e32 v39, 31, v38
	s_addc_u32 s5, s1, 0
	v_lshlrev_b32_e32 v18, 2, v4
	v_add_u32_e32 v41, 32, v1
	v_xor_b32_e32 v46, 16, v31
	v_xor_b32_e32 v45, 8, v31
	;; [unrolled: 1-line block ×5, first 2 shown]
	s_mov_b32 s20, 0x3fb8aa3b
	s_mov_b32 s21, 0xc2ce8ed0
	;; [unrolled: 1-line block ×3, first 2 shown]
	v_mov_b32_e32 v58, 0x7f800000
	s_mov_b32 s25, 0x10001
	v_add_u32_e32 v59, v53, v47
	v_add_u32_e32 v60, 0x400, v47
	;; [unrolled: 1-line block ×16, first 2 shown]
	v_mov_b32_e32 v75, v19
	v_mov_b32_e32 v76, v19
	;; [unrolled: 1-line block ×5, first 2 shown]
.LBB40_9:                               ; =>This Inner Loop Header: Depth=1
	s_mul_hi_i32 s7, s2, s11
	s_mul_i32 s6, s2, s11
	s_lshl_b64 s[6:7], s[6:7], 2
	s_add_u32 s6, s14, s6
	s_addc_u32 s7, s15, s7
	v_mov_b32_e32 v77, v1
	v_mov_b32_e32 v78, v0
	v_lshl_add_u64 v[0:1], v[20:21], 2, s[6:7]
	v_lshl_add_u64 v[0:1], v[0:1], 0, v[18:19]
	global_load_dwordx4 v[0:3], v[0:1], off
	v_mov_b32_e32 v79, 0
	v_mov_b32_e32 v80, 0
	;; [unrolled: 1-line block ×3, first 2 shown]
	v_cmp_lt_i32_e32 vcc, v46, v41
	s_waitcnt vmcnt(0)
	ds_write_b128 v48, v[0:3]
	v_lshl_add_u64 v[0:1], v[22:23], 2, s[6:7]
	v_lshl_add_u64 v[0:1], v[0:1], 0, v[18:19]
	global_load_dwordx4 v[0:3], v[0:1], off
	s_waitcnt vmcnt(0)
	ds_write_b128 v49, v[0:3]
	v_lshl_add_u64 v[0:1], v[24:25], 2, s[6:7]
	v_lshl_add_u64 v[0:1], v[0:1], 0, v[18:19]
	global_load_dwordx4 v[0:3], v[0:1], off
	;; [unrolled: 5-line block ×3, first 2 shown]
	s_mul_hi_i32 s7, s2, s10
	s_mul_i32 s6, s2, s10
	s_lshl_b64 s[6:7], s[6:7], 2
	s_add_u32 s6, s8, s6
	s_addc_u32 s7, s9, s7
	s_waitcnt vmcnt(0)
	ds_write_b128 v51, v[0:3]
	s_waitcnt lgkmcnt(0)
	s_barrier
	ds_read_b128 v[82:85], v52
	ds_read_b128 v[86:89], v52 offset:4608
	ds_read_b128 v[12:15], v52 offset:9216
	;; [unrolled: 1-line block ×3, first 2 shown]
	ds_read_b128 v[8:11], v40
	ds_read_b128 v[4:7], v40 offset:128
	s_waitcnt lgkmcnt(1)
	;;#ASMSTART
	v_dot2_f32_f16 v79, v82, v8, v79
	;;#ASMEND
	s_nop 0
	;;#ASMSTART
	v_dot2_f32_f16 v79, v83, v9, v79
	;;#ASMEND
	s_nop 0
	;; [unrolled: 4-line block ×3, first 2 shown]
	;;#ASMSTART
	v_dot2_f32_f16 v79, v85, v11, v79
	;;#ASMEND
	s_waitcnt lgkmcnt(0)
	;;#ASMSTART
	v_dot2_f32_f16 v80, v82, v4, v80
	;;#ASMEND
	v_mov_b32_e32 v82, 0
	;;#ASMSTART
	v_dot2_f32_f16 v80, v83, v5, v80
	;;#ASMEND
	v_mov_b32_e32 v83, 0
	;; [unrolled: 4-line block ×3, first 2 shown]
	;;#ASMSTART
	v_dot2_f32_f16 v80, v85, v7, v80
	;;#ASMEND
	;;#ASMSTART
	v_dot2_f32_f16 v82, v86, v8, v82
	;;#ASMEND
	s_nop 0
	;;#ASMSTART
	v_dot2_f32_f16 v82, v87, v9, v82
	;;#ASMEND
	s_nop 0
	;;#ASMSTART
	v_dot2_f32_f16 v82, v88, v10, v82
	;;#ASMEND
	s_nop 0
	;;#ASMSTART
	v_dot2_f32_f16 v82, v89, v11, v82
	;;#ASMEND
	;;#ASMSTART
	v_dot2_f32_f16 v81, v86, v4, v81
	;;#ASMEND
	s_nop 0
	;;#ASMSTART
	v_dot2_f32_f16 v81, v87, v5, v81
	;;#ASMEND
	s_nop 0
	;;#ASMSTART
	v_dot2_f32_f16 v81, v88, v6, v81
	;;#ASMEND
	s_nop 0
	;; [unrolled: 15-line block ×3, first 2 shown]
	;;#ASMSTART
	v_dot2_f32_f16 v84, v15, v11, v84
	;;#ASMEND
	;;#ASMSTART
	v_dot2_f32_f16 v83, v12, v4, v83
	;;#ASMEND
	v_mov_b32_e32 v12, 0
	;;#ASMSTART
	v_dot2_f32_f16 v83, v13, v5, v83
	;;#ASMEND
	s_nop 0
	;;#ASMSTART
	v_dot2_f32_f16 v83, v14, v6, v83
	;;#ASMEND
	s_nop 0
	;;#ASMSTART
	v_dot2_f32_f16 v83, v15, v7, v83
	;;#ASMEND
	;;#ASMSTART
	v_dot2_f32_f16 v12, v0, v8, v12
	;;#ASMEND
	v_mov_b32_e32 v8, 0
	;;#ASMSTART
	v_dot2_f32_f16 v12, v1, v9, v12
	;;#ASMEND
	s_nop 0
	;;#ASMSTART
	v_dot2_f32_f16 v12, v2, v10, v12
	;;#ASMEND
	s_nop 0
	;;#ASMSTART
	v_dot2_f32_f16 v12, v3, v11, v12
	;;#ASMEND
	;;#ASMSTART
	v_dot2_f32_f16 v8, v0, v4, v8
	;;#ASMEND
	s_nop 0
	;;#ASMSTART
	v_dot2_f32_f16 v8, v1, v5, v8
	;;#ASMEND
	s_nop 0
	;; [unrolled: 4-line block ×3, first 2 shown]
	;;#ASMSTART
	v_dot2_f32_f16 v8, v3, v7, v8
	;;#ASMEND
	ds_read_b128 v[0:3], v52 offset:16
	ds_read_b128 v[4:7], v52 offset:4624
	;; [unrolled: 1-line block ×6, first 2 shown]
	s_waitcnt lgkmcnt(1)
	;;#ASMSTART
	v_dot2_f32_f16 v79, v0, v94, v79
	;;#ASMEND
	s_nop 0
	;;#ASMSTART
	v_dot2_f32_f16 v79, v1, v95, v79
	;;#ASMEND
	s_nop 0
	;; [unrolled: 4-line block ×3, first 2 shown]
	;;#ASMSTART
	v_dot2_f32_f16 v79, v3, v97, v79
	;;#ASMEND
	s_waitcnt lgkmcnt(0)
	;;#ASMSTART
	v_dot2_f32_f16 v80, v0, v98, v80
	;;#ASMEND
	s_nop 0
	;;#ASMSTART
	v_dot2_f32_f16 v80, v1, v99, v80
	;;#ASMEND
	s_nop 0
	;;#ASMSTART
	v_dot2_f32_f16 v80, v2, v100, v80
	;;#ASMEND
	s_nop 0
	;;#ASMSTART
	v_dot2_f32_f16 v80, v3, v101, v80
	;;#ASMEND
	;;#ASMSTART
	v_dot2_f32_f16 v82, v4, v94, v82
	;;#ASMEND
	s_nop 0
	;;#ASMSTART
	v_dot2_f32_f16 v82, v5, v95, v82
	;;#ASMEND
	s_nop 0
	;;#ASMSTART
	v_dot2_f32_f16 v82, v6, v96, v82
	;;#ASMEND
	s_nop 0
	;;#ASMSTART
	v_dot2_f32_f16 v82, v7, v97, v82
	;;#ASMEND
	;; [unrolled: 15-line block ×7, first 2 shown]
	ds_read_b128 v[0:3], v52 offset:32
	ds_read_b128 v[4:7], v52 offset:4640
	;; [unrolled: 1-line block ×6, first 2 shown]
	s_waitcnt lgkmcnt(1)
	;;#ASMSTART
	v_dot2_f32_f16 v79, v0, v94, v79
	;;#ASMEND
	s_nop 0
	;;#ASMSTART
	v_dot2_f32_f16 v79, v1, v95, v79
	;;#ASMEND
	s_nop 0
	;; [unrolled: 4-line block ×3, first 2 shown]
	;;#ASMSTART
	v_dot2_f32_f16 v79, v3, v97, v79
	;;#ASMEND
	s_waitcnt lgkmcnt(0)
	;;#ASMSTART
	v_dot2_f32_f16 v80, v0, v98, v80
	;;#ASMEND
	s_nop 0
	;;#ASMSTART
	v_dot2_f32_f16 v80, v1, v99, v80
	;;#ASMEND
	s_nop 0
	;;#ASMSTART
	v_dot2_f32_f16 v80, v2, v100, v80
	;;#ASMEND
	s_nop 0
	;;#ASMSTART
	v_dot2_f32_f16 v80, v3, v101, v80
	;;#ASMEND
	;;#ASMSTART
	v_dot2_f32_f16 v82, v4, v94, v82
	;;#ASMEND
	s_nop 0
	;;#ASMSTART
	v_dot2_f32_f16 v82, v5, v95, v82
	;;#ASMEND
	s_nop 0
	;;#ASMSTART
	v_dot2_f32_f16 v82, v6, v96, v82
	;;#ASMEND
	s_nop 0
	;;#ASMSTART
	v_dot2_f32_f16 v82, v7, v97, v82
	;;#ASMEND
	;; [unrolled: 15-line block ×7, first 2 shown]
	ds_read_b128 v[0:3], v52 offset:48
	ds_read_b128 v[4:7], v52 offset:4656
	;; [unrolled: 1-line block ×6, first 2 shown]
	s_waitcnt lgkmcnt(1)
	;;#ASMSTART
	v_dot2_f32_f16 v79, v0, v94, v79
	;;#ASMEND
	s_nop 0
	;;#ASMSTART
	v_dot2_f32_f16 v79, v1, v95, v79
	;;#ASMEND
	s_nop 0
	;; [unrolled: 4-line block ×3, first 2 shown]
	;;#ASMSTART
	v_dot2_f32_f16 v79, v3, v97, v79
	;;#ASMEND
	s_waitcnt lgkmcnt(0)
	;;#ASMSTART
	v_dot2_f32_f16 v80, v0, v98, v80
	;;#ASMEND
	s_nop 0
	;;#ASMSTART
	v_dot2_f32_f16 v80, v1, v99, v80
	;;#ASMEND
	s_nop 0
	;;#ASMSTART
	v_dot2_f32_f16 v80, v2, v100, v80
	;;#ASMEND
	s_nop 0
	;;#ASMSTART
	v_dot2_f32_f16 v80, v3, v101, v80
	;;#ASMEND
	;;#ASMSTART
	v_dot2_f32_f16 v82, v4, v94, v82
	;;#ASMEND
	s_nop 0
	;;#ASMSTART
	v_dot2_f32_f16 v82, v5, v95, v82
	;;#ASMEND
	s_nop 0
	;;#ASMSTART
	v_dot2_f32_f16 v82, v6, v96, v82
	;;#ASMEND
	s_nop 0
	;;#ASMSTART
	v_dot2_f32_f16 v82, v7, v97, v82
	;;#ASMEND
	;; [unrolled: 15-line block ×7, first 2 shown]
	ds_read_b128 v[0:3], v52 offset:64
	ds_read_b128 v[4:7], v52 offset:4672
	;; [unrolled: 1-line block ×6, first 2 shown]
	s_waitcnt lgkmcnt(1)
	;;#ASMSTART
	v_dot2_f32_f16 v79, v0, v94, v79
	;;#ASMEND
	s_nop 0
	;;#ASMSTART
	v_dot2_f32_f16 v79, v1, v95, v79
	;;#ASMEND
	s_nop 0
	;; [unrolled: 4-line block ×3, first 2 shown]
	;;#ASMSTART
	v_dot2_f32_f16 v79, v3, v97, v79
	;;#ASMEND
	s_waitcnt lgkmcnt(0)
	;;#ASMSTART
	v_dot2_f32_f16 v80, v0, v98, v80
	;;#ASMEND
	s_nop 0
	;;#ASMSTART
	v_dot2_f32_f16 v80, v1, v99, v80
	;;#ASMEND
	s_nop 0
	;;#ASMSTART
	v_dot2_f32_f16 v80, v2, v100, v80
	;;#ASMEND
	s_nop 0
	;;#ASMSTART
	v_dot2_f32_f16 v80, v3, v101, v80
	;;#ASMEND
	;;#ASMSTART
	v_dot2_f32_f16 v82, v4, v94, v82
	;;#ASMEND
	s_nop 0
	;;#ASMSTART
	v_dot2_f32_f16 v82, v5, v95, v82
	;;#ASMEND
	s_nop 0
	;;#ASMSTART
	v_dot2_f32_f16 v82, v6, v96, v82
	;;#ASMEND
	s_nop 0
	;;#ASMSTART
	v_dot2_f32_f16 v82, v7, v97, v82
	;;#ASMEND
	;; [unrolled: 15-line block ×7, first 2 shown]
	ds_read_b128 v[0:3], v52 offset:80
	ds_read_b128 v[4:7], v52 offset:4688
	;; [unrolled: 1-line block ×6, first 2 shown]
	s_waitcnt lgkmcnt(1)
	;;#ASMSTART
	v_dot2_f32_f16 v79, v0, v94, v79
	;;#ASMEND
	s_nop 0
	;;#ASMSTART
	v_dot2_f32_f16 v79, v1, v95, v79
	;;#ASMEND
	s_nop 0
	;; [unrolled: 4-line block ×3, first 2 shown]
	;;#ASMSTART
	v_dot2_f32_f16 v79, v3, v97, v79
	;;#ASMEND
	s_waitcnt lgkmcnt(0)
	;;#ASMSTART
	v_dot2_f32_f16 v80, v0, v98, v80
	;;#ASMEND
	s_nop 0
	;;#ASMSTART
	v_dot2_f32_f16 v80, v1, v99, v80
	;;#ASMEND
	s_nop 0
	;;#ASMSTART
	v_dot2_f32_f16 v80, v2, v100, v80
	;;#ASMEND
	s_nop 0
	;;#ASMSTART
	v_dot2_f32_f16 v80, v3, v101, v80
	;;#ASMEND
	;;#ASMSTART
	v_dot2_f32_f16 v82, v4, v94, v82
	;;#ASMEND
	s_nop 0
	;;#ASMSTART
	v_dot2_f32_f16 v82, v5, v95, v82
	;;#ASMEND
	s_nop 0
	;;#ASMSTART
	v_dot2_f32_f16 v82, v6, v96, v82
	;;#ASMEND
	s_nop 0
	;;#ASMSTART
	v_dot2_f32_f16 v82, v7, v97, v82
	;;#ASMEND
	;;#ASMSTART
	v_dot2_f32_f16 v81, v4, v98, v81
	;;#ASMEND
	s_nop 0
	;;#ASMSTART
	v_dot2_f32_f16 v81, v5, v99, v81
	;;#ASMEND
	s_nop 0
	;;#ASMSTART
	v_dot2_f32_f16 v81, v6, v100, v81
	;;#ASMEND
	s_nop 0
	;;#ASMSTART
	v_dot2_f32_f16 v81, v7, v101, v81
	;;#ASMEND
	;;#ASMSTART
	v_dot2_f32_f16 v84, v86, v94, v84
	;;#ASMEND
	s_nop 0
	;;#ASMSTART
	v_dot2_f32_f16 v84, v87, v95, v84
	;;#ASMEND
	s_nop 0
	;;#ASMSTART
	v_dot2_f32_f16 v84, v88, v96, v84
	;;#ASMEND
	s_nop 0
	;;#ASMSTART
	v_dot2_f32_f16 v84, v89, v97, v84
	;;#ASMEND
	;;#ASMSTART
	v_dot2_f32_f16 v83, v86, v98, v83
	;;#ASMEND
	s_nop 0
	;;#ASMSTART
	v_dot2_f32_f16 v83, v87, v99, v83
	;;#ASMEND
	s_nop 0
	;;#ASMSTART
	v_dot2_f32_f16 v83, v88, v100, v83
	;;#ASMEND
	s_nop 0
	;;#ASMSTART
	v_dot2_f32_f16 v83, v89, v101, v83
	;;#ASMEND
	;;#ASMSTART
	v_dot2_f32_f16 v12, v90, v94, v12
	;;#ASMEND
	s_nop 0
	;;#ASMSTART
	v_dot2_f32_f16 v12, v91, v95, v12
	;;#ASMEND
	s_nop 0
	;;#ASMSTART
	v_dot2_f32_f16 v12, v92, v96, v12
	;;#ASMEND
	s_nop 0
	;;#ASMSTART
	v_dot2_f32_f16 v12, v93, v97, v12
	;;#ASMEND
	;;#ASMSTART
	v_dot2_f32_f16 v8, v90, v98, v8
	;;#ASMEND
	s_nop 0
	;;#ASMSTART
	v_dot2_f32_f16 v8, v91, v99, v8
	;;#ASMEND
	s_nop 0
	;;#ASMSTART
	v_dot2_f32_f16 v8, v92, v100, v8
	;;#ASMEND
	s_nop 0
	;;#ASMSTART
	v_dot2_f32_f16 v8, v93, v101, v8
	;;#ASMEND
	ds_read_b128 v[0:3], v52 offset:96
	ds_read_b128 v[4:7], v52 offset:4704
	;; [unrolled: 1-line block ×6, first 2 shown]
	s_waitcnt lgkmcnt(1)
	;;#ASMSTART
	v_dot2_f32_f16 v79, v0, v94, v79
	;;#ASMEND
	s_nop 0
	;;#ASMSTART
	v_dot2_f32_f16 v79, v1, v95, v79
	;;#ASMEND
	s_nop 0
	;; [unrolled: 4-line block ×3, first 2 shown]
	;;#ASMSTART
	v_dot2_f32_f16 v79, v3, v97, v79
	;;#ASMEND
	s_waitcnt lgkmcnt(0)
	;;#ASMSTART
	v_dot2_f32_f16 v80, v0, v98, v80
	;;#ASMEND
	s_nop 0
	;;#ASMSTART
	v_dot2_f32_f16 v80, v1, v99, v80
	;;#ASMEND
	s_nop 0
	;;#ASMSTART
	v_dot2_f32_f16 v80, v2, v100, v80
	;;#ASMEND
	s_nop 0
	;;#ASMSTART
	v_dot2_f32_f16 v80, v3, v101, v80
	;;#ASMEND
	;;#ASMSTART
	v_dot2_f32_f16 v82, v4, v94, v82
	;;#ASMEND
	s_nop 0
	;;#ASMSTART
	v_dot2_f32_f16 v82, v5, v95, v82
	;;#ASMEND
	s_nop 0
	;;#ASMSTART
	v_dot2_f32_f16 v82, v6, v96, v82
	;;#ASMEND
	s_nop 0
	;;#ASMSTART
	v_dot2_f32_f16 v82, v7, v97, v82
	;;#ASMEND
	;; [unrolled: 15-line block ×7, first 2 shown]
	ds_read_b128 v[0:3], v52 offset:112
	ds_read_b128 v[4:7], v52 offset:4720
	;; [unrolled: 1-line block ×6, first 2 shown]
	s_waitcnt lgkmcnt(1)
	;;#ASMSTART
	v_dot2_f32_f16 v79, v0, v94, v79
	;;#ASMEND
	s_nop 0
	;;#ASMSTART
	v_dot2_f32_f16 v79, v1, v95, v79
	;;#ASMEND
	s_nop 0
	;; [unrolled: 4-line block ×3, first 2 shown]
	;;#ASMSTART
	v_dot2_f32_f16 v79, v3, v97, v79
	;;#ASMEND
	s_waitcnt lgkmcnt(0)
	;;#ASMSTART
	v_dot2_f32_f16 v80, v0, v98, v80
	;;#ASMEND
	v_add_u32_e32 v0, s2, v30
	;;#ASMSTART
	v_dot2_f32_f16 v80, v1, v99, v80
	;;#ASMEND
	v_cndmask_b32_e32 v1, v31, v46, vcc
	;;#ASMSTART
	v_dot2_f32_f16 v80, v2, v100, v80
	;;#ASMEND
	v_cmp_lt_i32_e32 vcc, v45, v41
	;;#ASMSTART
	v_dot2_f32_f16 v80, v3, v101, v80
	;;#ASMEND
	;;#ASMSTART
	v_dot2_f32_f16 v82, v4, v94, v82
	;;#ASMEND
	v_lshlrev_b32_e32 v2, 2, v1
	;;#ASMSTART
	v_dot2_f32_f16 v82, v5, v95, v82
	;;#ASMEND
	s_nop 0
	;;#ASMSTART
	v_dot2_f32_f16 v82, v6, v96, v82
	;;#ASMEND
	v_cndmask_b32_e32 v1, v31, v45, vcc
	;;#ASMSTART
	v_dot2_f32_f16 v82, v7, v97, v82
	;;#ASMEND
	;;#ASMSTART
	v_dot2_f32_f16 v81, v4, v98, v81
	;;#ASMEND
	v_cmp_lt_i32_e32 vcc, v44, v41
	;;#ASMSTART
	v_dot2_f32_f16 v81, v5, v99, v81
	;;#ASMEND
	v_lshlrev_b32_e32 v3, 2, v1
	;;#ASMSTART
	v_dot2_f32_f16 v81, v6, v100, v81
	;;#ASMEND
	s_nop 0
	;;#ASMSTART
	v_dot2_f32_f16 v81, v7, v101, v81
	;;#ASMEND
	;;#ASMSTART
	v_dot2_f32_f16 v84, v86, v94, v84
	;;#ASMEND
	v_cndmask_b32_e32 v1, v31, v44, vcc
	;;#ASMSTART
	v_dot2_f32_f16 v84, v87, v95, v84
	;;#ASMEND
	v_cmp_lt_i32_e32 vcc, v43, v41
	;;#ASMSTART
	v_dot2_f32_f16 v84, v88, v96, v84
	;;#ASMEND
	v_lshlrev_b32_e32 v4, 2, v1
	;;#ASMSTART
	v_dot2_f32_f16 v84, v89, v97, v84
	;;#ASMEND
	;;#ASMSTART
	v_dot2_f32_f16 v83, v86, v98, v83
	;;#ASMEND
	s_nop 0
	;;#ASMSTART
	v_dot2_f32_f16 v83, v87, v99, v83
	;;#ASMEND
	v_cndmask_b32_e32 v1, v31, v43, vcc
	;;#ASMSTART
	v_dot2_f32_f16 v83, v88, v100, v83
	;;#ASMEND
	v_cmp_lt_i32_e32 vcc, v42, v41
	;;#ASMSTART
	v_dot2_f32_f16 v83, v89, v101, v83
	;;#ASMEND
	;;#ASMSTART
	v_dot2_f32_f16 v12, v90, v94, v12
	;;#ASMEND
	v_lshlrev_b32_e32 v5, 2, v1
	;;#ASMSTART
	v_dot2_f32_f16 v12, v91, v95, v12
	;;#ASMEND
	s_nop 0
	;;#ASMSTART
	v_dot2_f32_f16 v12, v92, v96, v12
	;;#ASMEND
	v_cndmask_b32_e32 v1, v31, v42, vcc
	;;#ASMSTART
	v_dot2_f32_f16 v12, v93, v97, v12
	;;#ASMEND
	;;#ASMSTART
	v_dot2_f32_f16 v8, v90, v98, v8
	;;#ASMEND
	v_lshlrev_b32_e32 v6, 2, v1
	;;#ASMSTART
	v_dot2_f32_f16 v8, v91, v99, v8
	;;#ASMEND
	v_ashrrev_i32_e32 v1, 31, v0
	;;#ASMSTART
	v_dot2_f32_f16 v8, v92, v100, v8
	;;#ASMEND
	v_lshl_add_u64 v[0:1], v[0:1], 1, s[34:35]
	;;#ASMSTART
	v_dot2_f32_f16 v8, v93, v101, v8
	;;#ASMEND
	global_load_ushort v7, v[0:1], off
	global_load_ushort v11, v[0:1], off offset:64
	s_waitcnt vmcnt(1)
	v_cvt_f32_f16_e32 v7, v7
	s_waitcnt vmcnt(0)
	v_cvt_f32_f16_e32 v11, v11
	v_add_f32_e32 v9, v79, v7
	v_add_f32_e32 v13, v82, v11
	;; [unrolled: 1-line block ×4, first 2 shown]
	v_max3_f32 v10, v78, v10, v14
	global_load_ushort v14, v[0:1], off offset:128
	v_add_f32_e32 v7, v80, v7
	global_load_ushort v0, v[0:1], off offset:192
	v_add_f32_e32 v11, v81, v11
	s_barrier
	s_waitcnt vmcnt(1)
	v_cvt_f32_f16_e32 v14, v14
	s_waitcnt vmcnt(0)
	v_cvt_f32_f16_e32 v1, v0
	v_add_f32_e32 v15, v84, v14
	v_add_f32_e32 v79, 0x40051340, v15
	;; [unrolled: 1-line block ×4, first 2 shown]
	v_max3_f32 v0, v10, v79, v0
	ds_bpermute_b32 v10, v2, v0
	v_add_f32_e32 v79, 0x40051340, v11
	v_add_f32_e32 v14, v83, v14
	;; [unrolled: 1-line block ×4, first 2 shown]
	s_waitcnt lgkmcnt(0)
	v_max_f32_e32 v10, v10, v10
	v_max_f32_e32 v0, v0, v10
	ds_bpermute_b32 v10, v3, v0
	s_waitcnt lgkmcnt(0)
	v_max_f32_e32 v10, v10, v10
	v_max_f32_e32 v0, v0, v10
	ds_bpermute_b32 v10, v4, v0
	;; [unrolled: 4-line block ×4, first 2 shown]
	s_waitcnt lgkmcnt(0)
	v_max_f32_e32 v10, v10, v10
	v_max_f32_e32 v0, v0, v10
	v_add_f32_e32 v10, 0x40051340, v7
	v_max3_f32 v10, v77, v10, v79
	v_add_f32_e32 v79, 0x40051340, v14
	v_max3_f32 v1, v10, v79, v1
	ds_bpermute_b32 v2, v2, v1
	s_waitcnt lgkmcnt(0)
	v_max_f32_e32 v2, v2, v2
	v_max_f32_e32 v1, v1, v2
	ds_bpermute_b32 v2, v3, v1
	v_sub_f32_e32 v3, v9, v0
	v_cmp_ngt_f32_e32 vcc, s21, v3
	s_waitcnt lgkmcnt(0)
	v_max_f32_e32 v2, v2, v2
	v_max_f32_e32 v1, v1, v2
	ds_bpermute_b32 v2, v4, v1
	v_mul_f32_e32 v4, 0x3fb8aa3b, v3
	s_waitcnt lgkmcnt(0)
	v_max_f32_e32 v2, v2, v2
	v_max_f32_e32 v1, v1, v2
	ds_bpermute_b32 v2, v5, v1
	v_fma_f32 v5, v3, s20, -v4
	v_fmac_f32_e32 v5, 0x32a5705f, v3
	s_waitcnt lgkmcnt(0)
	v_max_f32_e32 v2, v2, v2
	v_max_f32_e32 v1, v1, v2
	ds_bpermute_b32 v2, v6, v1
	v_rndne_f32_e32 v6, v4
	v_sub_f32_e32 v4, v4, v6
	v_add_f32_e32 v4, v4, v5
	v_exp_f32_e32 v4, v4
	v_cvt_i32_f32_e32 v5, v6
	s_waitcnt lgkmcnt(0)
	v_max_f32_e32 v2, v2, v2
	v_max_f32_e32 v1, v1, v2
	v_sub_f32_e32 v2, v78, v0
	v_ldexp_f32 v4, v4, v5
	v_cndmask_b32_e32 v4, 0, v4, vcc
	v_cmp_nlt_f32_e32 vcc, s24, v3
	v_sub_f32_e32 v3, v13, v0
	v_mul_f32_e32 v5, 0x3fb8aa3b, v3
	v_fma_f32 v6, v3, s20, -v5
	v_rndne_f32_e32 v8, v5
	v_fmac_f32_e32 v6, 0x32a5705f, v3
	v_sub_f32_e32 v5, v5, v8
	v_add_f32_e32 v5, v5, v6
	v_exp_f32_e32 v5, v5
	v_cvt_i32_f32_e32 v6, v8
	v_cndmask_b32_e32 v4, v58, v4, vcc
	v_cmp_ngt_f32_e32 vcc, s21, v3
	v_ldexp_f32 v5, v5, v6
	s_nop 0
	v_cndmask_b32_e32 v5, 0, v5, vcc
	v_cmp_nlt_f32_e32 vcc, s24, v3
	v_sub_f32_e32 v3, v15, v0
	s_nop 0
	v_cndmask_b32_e32 v6, v58, v5, vcc
	v_mul_f32_e32 v5, 0x3fb8aa3b, v3
	v_fma_f32 v8, v3, s20, -v5
	v_rndne_f32_e32 v9, v5
	v_fmac_f32_e32 v8, 0x32a5705f, v3
	v_sub_f32_e32 v5, v5, v9
	v_add_f32_e32 v5, v5, v8
	v_exp_f32_e32 v5, v5
	v_cvt_i32_f32_e32 v8, v9
	v_cmp_ngt_f32_e32 vcc, s21, v3
	v_ldexp_f32 v5, v5, v8
	s_nop 0
	v_cndmask_b32_e32 v5, 0, v5, vcc
	v_cmp_nlt_f32_e32 vcc, s24, v3
	v_sub_f32_e32 v3, v12, v0
	s_nop 0
	v_cndmask_b32_e32 v8, v58, v5, vcc
	v_mul_f32_e32 v5, 0x3fb8aa3b, v3
	v_fma_f32 v9, v3, s20, -v5
	v_rndne_f32_e32 v10, v5
	v_fmac_f32_e32 v9, 0x32a5705f, v3
	v_sub_f32_e32 v5, v5, v10
	v_add_f32_e32 v5, v5, v9
	v_exp_f32_e32 v5, v5
	v_cvt_i32_f32_e32 v9, v10
	v_cmp_ngt_f32_e32 vcc, s21, v3
	v_ldexp_f32 v5, v5, v9
	s_nop 0
	v_cndmask_b32_e32 v5, 0, v5, vcc
	v_cmp_nlt_f32_e32 vcc, s24, v3
	v_mul_f32_e32 v3, 0x3fb8aa3b, v2
	v_rndne_f32_e32 v9, v3
	v_cndmask_b32_e32 v10, v58, v5, vcc
	v_fma_f32 v5, v2, s20, -v3
	v_fmac_f32_e32 v5, 0x32a5705f, v2
	v_sub_f32_e32 v3, v3, v9
	v_add_f32_e32 v3, v3, v5
	v_exp_f32_e32 v3, v3
	v_cvt_i32_f32_e32 v5, v9
	v_cmp_ngt_f32_e32 vcc, s21, v2
	v_ldexp_f32 v3, v3, v5
	v_sub_f32_e32 v5, v7, v1
	v_mul_f32_e32 v7, 0x3fb8aa3b, v5
	v_fma_f32 v9, v5, s20, -v7
	v_rndne_f32_e32 v13, v7
	v_fmac_f32_e32 v9, 0x32a5705f, v5
	v_sub_f32_e32 v7, v7, v13
	v_add_f32_e32 v7, v7, v9
	v_exp_f32_e32 v7, v7
	v_cvt_i32_f32_e32 v9, v13
	v_cndmask_b32_e32 v3, 0, v3, vcc
	v_cmp_nlt_f32_e32 vcc, s24, v2
	v_ldexp_f32 v7, v7, v9
	s_nop 0
	v_cndmask_b32_e32 v12, v58, v3, vcc
	v_cmp_ngt_f32_e32 vcc, s21, v5
	v_sub_f32_e32 v3, v77, v1
	v_cvt_f16_f32_e32 v2, v12
	v_cndmask_b32_e32 v7, 0, v7, vcc
	v_cmp_nlt_f32_e32 vcc, s24, v5
	v_mul_u32_u24_e32 v2, 0x10001, v2
	s_nop 0
	v_cndmask_b32_e32 v5, v58, v7, vcc
	v_sub_f32_e32 v7, v11, v1
	v_mul_f32_e32 v9, 0x3fb8aa3b, v7
	v_fma_f32 v11, v7, s20, -v9
	v_rndne_f32_e32 v13, v9
	v_fmac_f32_e32 v11, 0x32a5705f, v7
	v_sub_f32_e32 v9, v9, v13
	v_add_f32_e32 v9, v9, v11
	v_exp_f32_e32 v9, v9
	v_cvt_i32_f32_e32 v11, v13
	v_cmp_ngt_f32_e32 vcc, s21, v7
	v_ldexp_f32 v9, v9, v11
	s_nop 0
	v_cndmask_b32_e32 v9, 0, v9, vcc
	v_cmp_nlt_f32_e32 vcc, s24, v7
	s_nop 1
	v_cndmask_b32_e32 v7, v58, v9, vcc
	v_sub_f32_e32 v9, v14, v1
	v_mul_f32_e32 v11, 0x3fb8aa3b, v9
	v_fma_f32 v13, v9, s20, -v11
	v_rndne_f32_e32 v14, v11
	v_fmac_f32_e32 v13, 0x32a5705f, v9
	v_sub_f32_e32 v11, v11, v14
	v_add_f32_e32 v11, v11, v13
	v_exp_f32_e32 v11, v11
	v_cvt_i32_f32_e32 v13, v14
	v_cmp_ngt_f32_e32 vcc, s21, v9
	v_ldexp_f32 v11, v11, v13
	s_nop 0
	v_cndmask_b32_e32 v11, 0, v11, vcc
	v_cmp_nlt_f32_e32 vcc, s24, v9
	s_nop 1
	v_cndmask_b32_e32 v9, v58, v11, vcc
	v_sub_f32_e32 v11, v80, v1
	v_mul_f32_e32 v13, 0x3fb8aa3b, v11
	v_fma_f32 v14, v11, s20, -v13
	v_rndne_f32_e32 v15, v13
	v_fmac_f32_e32 v14, 0x32a5705f, v11
	v_sub_f32_e32 v13, v13, v15
	v_add_f32_e32 v13, v13, v14
	v_exp_f32_e32 v13, v13
	v_cvt_i32_f32_e32 v14, v15
	v_cmp_ngt_f32_e32 vcc, s21, v11
	v_ldexp_f32 v13, v13, v14
	s_nop 0
	v_cndmask_b32_e32 v13, 0, v13, vcc
	v_cmp_nlt_f32_e32 vcc, s24, v11
	s_nop 1
	v_cndmask_b32_e32 v11, v58, v13, vcc
	v_mul_f32_e32 v13, 0x3fb8aa3b, v3
	v_fma_f32 v14, v3, s20, -v13
	v_rndne_f32_e32 v15, v13
	v_fmac_f32_e32 v14, 0x32a5705f, v3
	v_sub_f32_e32 v13, v13, v15
	v_add_f32_e32 v13, v13, v14
	v_exp_f32_e32 v13, v13
	v_cvt_i32_f32_e32 v14, v15
	v_cmp_ngt_f32_e32 vcc, s21, v3
	v_ldexp_f32 v13, v13, v14
	v_pk_add_f32 v[14:15], v[4:5], v[6:7]
	v_cvt_pk_f16_f32 v4, v4, v5
	v_cvt_pk_f16_f32 v5, v6, v7
	ds_write2_b32 v59, v4, v5 offset1:32
	v_cvt_pk_f16_f32 v4, v8, v9
	v_cvt_pk_f16_f32 v5, v10, v11
	v_lshl_add_u64 v[6:7], v[34:35], 2, s[6:7]
	v_cndmask_b32_e32 v13, 0, v13, vcc
	v_cmp_nlt_f32_e32 vcc, s24, v3
	v_pk_add_f32 v[14:15], v[8:9], v[14:15]
	ds_write2_b32 v59, v4, v5 offset0:64 offset1:96
	v_lshl_add_u64 v[4:5], v[32:33], 2, s[6:7]
	v_lshl_add_u64 v[8:9], v[6:7], 0, v[18:19]
	;; [unrolled: 1-line block ×3, first 2 shown]
	v_cndmask_b32_e32 v13, v58, v13, vcc
	v_pk_add_f32 v[14:15], v[10:11], v[14:15]
	v_lshl_add_u64 v[4:5], v[4:5], 0, v[18:19]
	v_lshl_add_u64 v[10:11], v[6:7], 0, v[18:19]
	;; [unrolled: 1-line block ×3, first 2 shown]
	v_pk_fma_f32 v[26:27], v[26:27], v[12:13], v[14:15]
	v_cvt_f16_f32_e32 v3, v13
	v_lshl_add_u64 v[12:13], v[6:7], 0, v[18:19]
	global_load_dwordx4 v[4:7], v[4:5], off
	v_mul_u32_u24_e32 v3, 0x10001, v3
	s_waitcnt vmcnt(0)
	ds_write_b128 v54, v[4:7]
	global_load_dwordx4 v[4:7], v[8:9], off
	s_waitcnt vmcnt(0)
	ds_write_b128 v55, v[4:7]
	global_load_dwordx4 v[4:7], v[10:11], off
	;; [unrolled: 3-line block ×3, first 2 shown]
	s_waitcnt vmcnt(0)
	ds_write_b128 v57, v[4:7]
	s_waitcnt lgkmcnt(0)
	s_barrier
	ds_read2_b32 v[8:9], v47 offset1:32
	ds_read_b128 v[4:7], v53
	s_waitcnt lgkmcnt(0)
	v_mul_u32_u24_sdwa v10, v4, s25 dst_sel:DWORD dst_unused:UNUSED_PAD src0_sel:WORD_0 src1_sel:DWORD
	v_mul_u32_u24_sdwa v4, v4, s25 dst_sel:DWORD dst_unused:UNUSED_PAD src0_sel:WORD_1 src1_sel:DWORD
	v_pk_mul_f16 v10, v8, v10
	v_pk_mul_f16 v4, v8, v4
	v_pk_fma_f16 v2, v76, v2, v10
	v_pk_fma_f16 v3, v75, v3, v4
	v_mul_u32_u24_sdwa v4, v5, s25 dst_sel:DWORD dst_unused:UNUSED_PAD src0_sel:WORD_0 src1_sel:DWORD
	v_mul_u32_u24_sdwa v5, v5, s25 dst_sel:DWORD dst_unused:UNUSED_PAD src0_sel:WORD_1 src1_sel:DWORD
	v_pk_fma_f16 v4, v9, v4, v2
	v_pk_fma_f16 v5, v9, v5, v3
	ds_read2_b32 v[2:3], v47 offset0:64 offset1:96
	v_mul_u32_u24_sdwa v8, v6, s25 dst_sel:DWORD dst_unused:UNUSED_PAD src0_sel:WORD_0 src1_sel:DWORD
	v_mul_u32_u24_sdwa v6, v6, s25 dst_sel:DWORD dst_unused:UNUSED_PAD src0_sel:WORD_1 src1_sel:DWORD
	s_waitcnt lgkmcnt(0)
	v_pk_fma_f16 v4, v2, v8, v4
	v_pk_fma_f16 v2, v2, v6, v5
	v_mul_u32_u24_sdwa v5, v7, s25 dst_sel:DWORD dst_unused:UNUSED_PAD src0_sel:WORD_0 src1_sel:DWORD
	v_mul_u32_u24_sdwa v6, v7, s25 dst_sel:DWORD dst_unused:UNUSED_PAD src0_sel:WORD_1 src1_sel:DWORD
	v_pk_fma_f16 v8, v3, v5, v4
	v_pk_fma_f16 v9, v3, v6, v2
	ds_read2_b32 v[6:7], v47 offset0:128 offset1:160
	ds_read_b128 v[2:5], v53 offset:16
	s_waitcnt lgkmcnt(0)
	v_mul_u32_u24_sdwa v10, v2, s25 dst_sel:DWORD dst_unused:UNUSED_PAD src0_sel:WORD_0 src1_sel:DWORD
	v_mul_u32_u24_sdwa v2, v2, s25 dst_sel:DWORD dst_unused:UNUSED_PAD src0_sel:WORD_1 src1_sel:DWORD
	v_pk_fma_f16 v8, v6, v10, v8
	v_pk_fma_f16 v2, v6, v2, v9
	v_mul_u32_u24_sdwa v6, v3, s25 dst_sel:DWORD dst_unused:UNUSED_PAD src0_sel:WORD_0 src1_sel:DWORD
	v_mul_u32_u24_sdwa v3, v3, s25 dst_sel:DWORD dst_unused:UNUSED_PAD src0_sel:WORD_1 src1_sel:DWORD
	v_pk_fma_f16 v6, v7, v6, v8
	v_pk_fma_f16 v7, v7, v3, v2
	ds_read2_b32 v[2:3], v47 offset0:192 offset1:224
	v_mul_u32_u24_sdwa v8, v4, s25 dst_sel:DWORD dst_unused:UNUSED_PAD src0_sel:WORD_0 src1_sel:DWORD
	v_mul_u32_u24_sdwa v4, v4, s25 dst_sel:DWORD dst_unused:UNUSED_PAD src0_sel:WORD_1 src1_sel:DWORD
	s_waitcnt lgkmcnt(0)
	v_pk_fma_f16 v6, v2, v8, v6
	v_pk_fma_f16 v2, v2, v4, v7
	v_mul_u32_u24_sdwa v4, v5, s25 dst_sel:DWORD dst_unused:UNUSED_PAD src0_sel:WORD_0 src1_sel:DWORD
	v_mul_u32_u24_sdwa v5, v5, s25 dst_sel:DWORD dst_unused:UNUSED_PAD src0_sel:WORD_1 src1_sel:DWORD
	v_pk_fma_f16 v8, v3, v4, v6
	v_pk_fma_f16 v9, v3, v5, v2
	ds_read2_b32 v[6:7], v60 offset1:32
	ds_read_b128 v[2:5], v53 offset:32
	s_waitcnt lgkmcnt(0)
	v_mul_u32_u24_sdwa v10, v2, s25 dst_sel:DWORD dst_unused:UNUSED_PAD src0_sel:WORD_0 src1_sel:DWORD
	v_mul_u32_u24_sdwa v2, v2, s25 dst_sel:DWORD dst_unused:UNUSED_PAD src0_sel:WORD_1 src1_sel:DWORD
	v_pk_fma_f16 v8, v6, v10, v8
	v_pk_fma_f16 v2, v6, v2, v9
	v_mul_u32_u24_sdwa v6, v3, s25 dst_sel:DWORD dst_unused:UNUSED_PAD src0_sel:WORD_0 src1_sel:DWORD
	v_mul_u32_u24_sdwa v3, v3, s25 dst_sel:DWORD dst_unused:UNUSED_PAD src0_sel:WORD_1 src1_sel:DWORD
	v_pk_fma_f16 v6, v7, v6, v8
	v_pk_fma_f16 v7, v7, v3, v2
	ds_read2_b32 v[2:3], v60 offset0:64 offset1:96
	v_mul_u32_u24_sdwa v8, v4, s25 dst_sel:DWORD dst_unused:UNUSED_PAD src0_sel:WORD_0 src1_sel:DWORD
	v_mul_u32_u24_sdwa v4, v4, s25 dst_sel:DWORD dst_unused:UNUSED_PAD src0_sel:WORD_1 src1_sel:DWORD
	s_waitcnt lgkmcnt(0)
	v_pk_fma_f16 v6, v2, v8, v6
	v_pk_fma_f16 v2, v2, v4, v7
	v_mul_u32_u24_sdwa v4, v5, s25 dst_sel:DWORD dst_unused:UNUSED_PAD src0_sel:WORD_0 src1_sel:DWORD
	v_mul_u32_u24_sdwa v5, v5, s25 dst_sel:DWORD dst_unused:UNUSED_PAD src0_sel:WORD_1 src1_sel:DWORD
	v_pk_fma_f16 v8, v3, v4, v6
	v_pk_fma_f16 v9, v3, v5, v2
	ds_read2_b32 v[6:7], v60 offset0:128 offset1:160
	ds_read_b128 v[2:5], v53 offset:48
	s_waitcnt lgkmcnt(0)
	v_mul_u32_u24_sdwa v10, v2, s25 dst_sel:DWORD dst_unused:UNUSED_PAD src0_sel:WORD_0 src1_sel:DWORD
	v_mul_u32_u24_sdwa v2, v2, s25 dst_sel:DWORD dst_unused:UNUSED_PAD src0_sel:WORD_1 src1_sel:DWORD
	v_pk_fma_f16 v8, v6, v10, v8
	v_pk_fma_f16 v2, v6, v2, v9
	v_mul_u32_u24_sdwa v6, v3, s25 dst_sel:DWORD dst_unused:UNUSED_PAD src0_sel:WORD_0 src1_sel:DWORD
	v_mul_u32_u24_sdwa v3, v3, s25 dst_sel:DWORD dst_unused:UNUSED_PAD src0_sel:WORD_1 src1_sel:DWORD
	v_pk_fma_f16 v6, v7, v6, v8
	v_pk_fma_f16 v7, v7, v3, v2
	ds_read2_b32 v[2:3], v60 offset0:192 offset1:224
	v_mul_u32_u24_sdwa v8, v4, s25 dst_sel:DWORD dst_unused:UNUSED_PAD src0_sel:WORD_0 src1_sel:DWORD
	v_mul_u32_u24_sdwa v4, v4, s25 dst_sel:DWORD dst_unused:UNUSED_PAD src0_sel:WORD_1 src1_sel:DWORD
	s_waitcnt lgkmcnt(0)
	v_pk_fma_f16 v6, v2, v8, v6
	v_pk_fma_f16 v2, v2, v4, v7
	v_mul_u32_u24_sdwa v4, v5, s25 dst_sel:DWORD dst_unused:UNUSED_PAD src0_sel:WORD_0 src1_sel:DWORD
	v_mul_u32_u24_sdwa v5, v5, s25 dst_sel:DWORD dst_unused:UNUSED_PAD src0_sel:WORD_1 src1_sel:DWORD
	v_pk_fma_f16 v8, v3, v4, v6
	v_pk_fma_f16 v9, v3, v5, v2
	ds_read2_b32 v[6:7], v61 offset1:32
	ds_read_b128 v[2:5], v53 offset:64
	s_waitcnt lgkmcnt(0)
	v_mul_u32_u24_sdwa v10, v2, s25 dst_sel:DWORD dst_unused:UNUSED_PAD src0_sel:WORD_0 src1_sel:DWORD
	v_mul_u32_u24_sdwa v2, v2, s25 dst_sel:DWORD dst_unused:UNUSED_PAD src0_sel:WORD_1 src1_sel:DWORD
	;; [unrolled: 42-line block ×15, first 2 shown]
	v_pk_fma_f16 v8, v6, v10, v8
	v_pk_fma_f16 v2, v6, v2, v9
	v_mul_u32_u24_sdwa v6, v3, s25 dst_sel:DWORD dst_unused:UNUSED_PAD src0_sel:WORD_0 src1_sel:DWORD
	v_mul_u32_u24_sdwa v3, v3, s25 dst_sel:DWORD dst_unused:UNUSED_PAD src0_sel:WORD_1 src1_sel:DWORD
	v_pk_fma_f16 v6, v7, v6, v8
	v_pk_fma_f16 v7, v7, v3, v2
	ds_read2_b32 v[2:3], v74 offset0:64 offset1:96
	v_mul_u32_u24_sdwa v8, v4, s25 dst_sel:DWORD dst_unused:UNUSED_PAD src0_sel:WORD_0 src1_sel:DWORD
	v_mul_u32_u24_sdwa v4, v4, s25 dst_sel:DWORD dst_unused:UNUSED_PAD src0_sel:WORD_1 src1_sel:DWORD
	s_waitcnt lgkmcnt(0)
	v_pk_fma_f16 v6, v2, v8, v6
	v_pk_fma_f16 v2, v2, v4, v7
	v_mul_u32_u24_sdwa v4, v5, s25 dst_sel:DWORD dst_unused:UNUSED_PAD src0_sel:WORD_0 src1_sel:DWORD
	v_mul_u32_u24_sdwa v5, v5, s25 dst_sel:DWORD dst_unused:UNUSED_PAD src0_sel:WORD_1 src1_sel:DWORD
	v_pk_fma_f16 v8, v3, v4, v6
	v_pk_fma_f16 v9, v3, v5, v2
	ds_read2_b32 v[6:7], v74 offset0:128 offset1:160
	ds_read_b128 v[2:5], v53 offset:496
	s_waitcnt lgkmcnt(0)
	v_mul_u32_u24_sdwa v10, v2, s25 dst_sel:DWORD dst_unused:UNUSED_PAD src0_sel:WORD_0 src1_sel:DWORD
	v_mul_u32_u24_sdwa v2, v2, s25 dst_sel:DWORD dst_unused:UNUSED_PAD src0_sel:WORD_1 src1_sel:DWORD
	v_pk_fma_f16 v8, v6, v10, v8
	v_pk_fma_f16 v2, v6, v2, v9
	v_mul_u32_u24_sdwa v6, v3, s25 dst_sel:DWORD dst_unused:UNUSED_PAD src0_sel:WORD_0 src1_sel:DWORD
	v_mul_u32_u24_sdwa v3, v3, s25 dst_sel:DWORD dst_unused:UNUSED_PAD src0_sel:WORD_1 src1_sel:DWORD
	v_pk_fma_f16 v6, v7, v6, v8
	v_pk_fma_f16 v7, v7, v3, v2
	ds_read2_b32 v[2:3], v74 offset0:192 offset1:224
	s_waitcnt lgkmcnt(0)
	s_barrier
	s_load_dword s6, s[4:5], 0x4
	v_mul_u32_u24_sdwa v8, v4, s25 dst_sel:DWORD dst_unused:UNUSED_PAD src0_sel:WORD_0 src1_sel:DWORD
	v_mul_u32_u24_sdwa v4, v4, s25 dst_sel:DWORD dst_unused:UNUSED_PAD src0_sel:WORD_1 src1_sel:DWORD
	v_pk_fma_f16 v6, v2, v8, v6
	v_pk_fma_f16 v2, v2, v4, v7
	s_waitcnt lgkmcnt(0)
	s_lshl_b32 s6, s6, 7
	v_mul_u32_u24_sdwa v4, v5, s25 dst_sel:DWORD dst_unused:UNUSED_PAD src0_sel:WORD_0 src1_sel:DWORD
	v_mul_u32_u24_sdwa v5, v5, s25 dst_sel:DWORD dst_unused:UNUSED_PAD src0_sel:WORD_1 src1_sel:DWORD
	s_add_i32 s2, s6, s2
	v_pk_fma_f16 v76, v3, v4, v6
	v_pk_fma_f16 v75, v3, v5, v2
	s_cmp_ge_i32 s2, s30
	s_cbranch_scc0 .LBB40_9
.LBB40_10:
	v_cmp_lt_i32_e32 vcc, v46, v41
	s_cmp_lg_u64 s[12:13], 0
	s_cselect_b64 s[4:5], -1, 0
	v_cndmask_b32_e32 v2, v31, v46, vcc
	v_lshlrev_b32_e32 v3, 2, v2
	ds_bpermute_b32 v2, v3, v26
	ds_bpermute_b32 v3, v3, v27
	v_cmp_lt_i32_e32 vcc, v45, v41
	s_cmp_eq_u32 s3, 0
	s_cselect_b64 s[6:7], -1, 0
	v_cndmask_b32_e32 v4, v31, v45, vcc
	v_lshlrev_b32_e32 v5, 2, v4
	s_waitcnt lgkmcnt(0)
	v_pk_add_f32 v[2:3], v[26:27], v[2:3]
	ds_bpermute_b32 v4, v5, v2
	ds_bpermute_b32 v5, v5, v3
	v_cmp_lt_i32_e32 vcc, v44, v41
	s_and_b64 s[4:5], s[6:7], s[4:5]
	v_lshlrev_b32_e32 v7, 1, v16
	v_cndmask_b32_e32 v6, v31, v44, vcc
	v_lshlrev_b32_e32 v6, 2, v6
	s_waitcnt lgkmcnt(0)
	v_pk_add_f32 v[2:3], v[2:3], v[4:5]
	ds_bpermute_b32 v4, v6, v2
	ds_bpermute_b32 v5, v6, v3
	v_cmp_lt_i32_e32 vcc, v43, v41
	s_waitcnt lgkmcnt(0)
	v_pk_add_f32 v[2:3], v[2:3], v[4:5]
	v_cndmask_b32_e32 v6, v31, v43, vcc
	v_lshlrev_b32_e32 v6, 2, v6
	ds_bpermute_b32 v4, v6, v2
	ds_bpermute_b32 v5, v6, v3
	v_cmp_lt_i32_e32 vcc, v42, v41
	s_waitcnt lgkmcnt(0)
	v_pk_add_f32 v[2:3], v[2:3], v[4:5]
	v_cndmask_b32_e32 v6, v31, v42, vcc
	v_lshlrev_b32_e32 v6, 2, v6
	ds_bpermute_b32 v4, v6, v2
	ds_bpermute_b32 v5, v6, v3
	s_and_b64 vcc, exec, s[4:5]
	s_waitcnt lgkmcnt(0)
	v_pk_add_f32 v[2:3], v[2:3], v[4:5]
	s_cbranch_vccz .LBB40_12
; %bb.11:
	s_ashr_i32 s29, s28, 31
	s_lshl_b64 s[4:5], s[28:29], 2
	s_add_u32 s4, s12, s4
	s_addc_u32 s5, s13, s5
	v_mov_b32_e32 v4, 0
	global_load_dwordx2 v[4:5], v4, s[4:5]
	v_max_f32_e32 v6, v0, v0
	v_max_f32_e32 v9, v1, v1
	s_mov_b32 s2, 0x3fb8aa3b
	s_mov_b32 s4, 0xc2ce8ed0
	;; [unrolled: 1-line block ×3, first 2 shown]
	v_mov_b32_e32 v10, 0x7f800000
	s_waitcnt vmcnt(0)
	v_max_f32_e32 v8, v4, v4
	v_max_f32_e32 v8, v6, v8
	;; [unrolled: 1-line block ×3, first 2 shown]
	v_sub_f32_e32 v0, v0, v8
	v_max_f32_e32 v9, v9, v11
	v_sub_f32_e32 v4, v4, v8
	v_mul_f32_e32 v6, 0x3fb8aa3b, v0
	v_sub_f32_e32 v1, v1, v9
	v_mul_f32_e32 v11, 0x3fb8aa3b, v4
	v_fma_f32 v14, v0, s2, -v6
	v_rndne_f32_e32 v15, v6
	v_sub_f32_e32 v5, v5, v9
	v_mul_f32_e32 v12, 0x3fb8aa3b, v1
	v_fma_f32 v18, v4, s2, -v11
	v_rndne_f32_e32 v19, v11
	v_fmac_f32_e32 v14, 0x32a5705f, v0
	v_sub_f32_e32 v6, v6, v15
	v_mul_f32_e32 v13, 0x3fb8aa3b, v5
	v_fma_f32 v20, v1, s2, -v12
	v_rndne_f32_e32 v21, v12
	v_fmac_f32_e32 v18, 0x32a5705f, v4
	v_sub_f32_e32 v11, v11, v19
	v_add_f32_e32 v6, v6, v14
	v_fma_f32 v22, v5, s2, -v13
	v_rndne_f32_e32 v23, v13
	v_cvt_i32_f32_e32 v15, v15
	v_fmac_f32_e32 v20, 0x32a5705f, v1
	v_sub_f32_e32 v12, v12, v21
	v_add_f32_e32 v11, v11, v18
	v_exp_f32_e32 v6, v6
	v_cvt_i32_f32_e32 v19, v19
	v_fmac_f32_e32 v22, 0x32a5705f, v5
	v_sub_f32_e32 v13, v13, v23
	v_add_f32_e32 v12, v12, v20
	v_exp_f32_e32 v11, v11
	v_cvt_i32_f32_e32 v21, v21
	v_add_f32_e32 v13, v13, v22
	v_exp_f32_e32 v12, v12
	v_cvt_i32_f32_e32 v23, v23
	v_exp_f32_e32 v13, v13
	v_ldexp_f32 v6, v6, v15
	v_cmp_ngt_f32_e32 vcc, s4, v0
	v_ldexp_f32 v11, v11, v19
	v_ldexp_f32 v12, v12, v21
	v_cndmask_b32_e32 v6, 0, v6, vcc
	v_cmp_ngt_f32_e32 vcc, s4, v4
	v_ldexp_f32 v13, v13, v23
	s_nop 0
	v_cndmask_b32_e32 v11, 0, v11, vcc
	v_cmp_ngt_f32_e32 vcc, s4, v1
	s_nop 1
	v_cndmask_b32_e32 v12, 0, v12, vcc
	v_cmp_ngt_f32_e32 vcc, s4, v5
	s_nop 1
	v_cndmask_b32_e32 v13, 0, v13, vcc
	v_cmp_nlt_f32_e32 vcc, s5, v0
	s_nop 1
	v_cndmask_b32_e32 v0, v10, v6, vcc
	v_cmp_nlt_f32_e32 vcc, s5, v4
	v_cvt_f16_f32_e32 v6, v0
	s_nop 0
	v_cndmask_b32_e32 v4, v10, v11, vcc
	v_cmp_nlt_f32_e32 vcc, s5, v1
	s_nop 1
	v_cndmask_b32_e32 v1, v10, v12, vcc
	v_cvt_f16_f32_e32 v11, v1
	v_cmp_nlt_f32_e32 vcc, s5, v5
	s_nop 1
	v_cndmask_b32_e32 v5, v10, v13, vcc
	v_pk_fma_f32 v[2:3], v[2:3], v[0:1], v[4:5]
	v_mul_u32_u24_e32 v0, 0x10001, v6
	v_mul_u32_u24_e32 v1, 0x10001, v11
	v_pk_mul_f16 v76, v76, v0
	v_pk_mul_f16 v75, v75, v1
	v_mov_b64_e32 v[0:1], v[8:9]
.LBB40_12:
	v_cmp_gt_i32_e32 vcc, s22, v17
	s_and_saveexec_b64 s[4:5], vcc
	s_cbranch_execz .LBB40_21
; %bb.13:
	s_load_dword s6, s[0:1], 0xd4
	v_mov_b32_e32 v6, 1.0
	s_waitcnt lgkmcnt(0)
	s_cmp_lg_u32 s6, 1
	s_cselect_b64 s[0:1], -1, 0
	s_cmp_eq_u32 s6, 1
	s_cselect_b64 s[4:5], -1, 0
	s_and_b64 vcc, exec, s[0:1]
	s_cbranch_vccnz .LBB40_15
; %bb.14:
	v_div_scale_f32 v4, s[8:9], v2, v2, 1.0
	v_rcp_f32_e32 v5, v4
	v_div_scale_f32 v6, vcc, 1.0, v2, 1.0
	v_fma_f32 v8, -v4, v5, 1.0
	v_fmac_f32_e32 v5, v8, v5
	v_mul_f32_e32 v8, v6, v5
	v_fma_f32 v9, -v4, v8, v6
	v_fmac_f32_e32 v8, v9, v5
	v_fma_f32 v4, -v4, v8, v6
	v_div_fmas_f32 v4, v4, v5, v8
	v_div_fixup_f32 v6, v4, v2, 1.0
.LBB40_15:
	s_mul_i32 s33, s33, s22
	v_add_u32_e32 v4, s33, v17
	v_mul_lo_u32 v4, v4, s23
	v_add_u32_e32 v4, s28, v4
	v_cvt_f32_f16_sdwa v9, v76 dst_sel:DWORD dst_unused:UNUSED_PAD src0_sel:WORD_1
	v_cvt_f32_f16_e32 v8, v76
	v_mul_lo_u32 v4, s6, v4
	v_add_u32_e32 v4, s3, v4
	v_cmp_eq_u32_e32 vcc, 0, v16
	v_lshl_add_u32 v10, v4, 6, v7
	v_mov_b32_e32 v11, 0
	s_and_b64 s[0:1], vcc, s[0:1]
	v_lshl_add_u64 v[10:11], v[10:11], 2, s[16:17]
	v_pk_mul_f32 v[8:9], v[6:7], v[8:9] op_sel_hi:[0,1]
	global_store_dwordx2 v[10:11], v[8:9], off
	s_and_saveexec_b64 s[2:3], s[0:1]
	s_cbranch_execz .LBB40_17
; %bb.16:
	v_ashrrev_i32_e32 v5, 31, v4
	v_lshl_add_u64 v[8:9], v[4:5], 3, s[18:19]
	v_mov_b32_e32 v10, v0
	v_mov_b32_e32 v11, v2
	global_store_dwordx2 v[8:9], v[10:11], off
.LBB40_17:
	s_or_b64 exec, exec, s[2:3]
	s_andn2_b64 vcc, exec, s[4:5]
	v_mov_b32_e32 v0, 1.0
	s_cbranch_vccnz .LBB40_19
; %bb.18:
	v_div_scale_f32 v0, s[2:3], v3, v3, 1.0
	v_rcp_f32_e32 v2, v0
	v_div_scale_f32 v5, vcc, 1.0, v3, 1.0
	v_fma_f32 v6, -v0, v2, 1.0
	v_fmac_f32_e32 v2, v6, v2
	v_mul_f32_e32 v6, v5, v2
	v_fma_f32 v8, -v0, v6, v5
	v_fmac_f32_e32 v6, v8, v2
	v_fma_f32 v0, -v0, v6, v5
	v_div_fmas_f32 v0, v0, v2, v6
	v_div_fixup_f32 v0, v0, v3, 1.0
.LBB40_19:
	v_cvt_f32_f16_sdwa v9, v75 dst_sel:DWORD dst_unused:UNUSED_PAD src0_sel:WORD_1
	v_cvt_f32_f16_e32 v8, v75
	v_add_u32_e32 v4, s6, v4
	v_lshl_add_u32 v6, v4, 6, v7
	v_mov_b32_e32 v7, 0
	v_lshl_add_u64 v[6:7], v[6:7], 2, s[16:17]
	v_pk_mul_f32 v[8:9], v[0:1], v[8:9] op_sel_hi:[0,1]
	global_store_dwordx2 v[6:7], v[8:9], off
	s_and_b64 exec, exec, s[0:1]
	s_cbranch_execz .LBB40_21
; %bb.20:
	v_ashrrev_i32_e32 v5, 31, v4
	v_lshl_add_u64 v[4:5], v[4:5], 3, s[18:19]
	v_mov_b32_e32 v2, v1
	global_store_dwordx2 v[4:5], v[2:3], off
.LBB40_21:
	s_endpgm
	.section	.rodata,"a",@progbits
	.p2align	6, 0x0
	.amdhsa_kernel _ZL15flash_attn_tileILi64ELi64ELi8ELi2ELb0EEvPKcS1_S1_S1_S1_PKiPfP15HIP_vector_typeIfLj2EEffffjfiS5_IjLj3EEiiiiiiiiiiiliiliiiiil
		.amdhsa_group_segment_fixed_size 24576
		.amdhsa_private_segment_fixed_size 0
		.amdhsa_kernarg_size 464
		.amdhsa_user_sgpr_count 2
		.amdhsa_user_sgpr_dispatch_ptr 0
		.amdhsa_user_sgpr_queue_ptr 0
		.amdhsa_user_sgpr_kernarg_segment_ptr 1
		.amdhsa_user_sgpr_dispatch_id 0
		.amdhsa_user_sgpr_kernarg_preload_length 0
		.amdhsa_user_sgpr_kernarg_preload_offset 0
		.amdhsa_user_sgpr_private_segment_size 0
		.amdhsa_uses_dynamic_stack 0
		.amdhsa_enable_private_segment 0
		.amdhsa_system_sgpr_workgroup_id_x 1
		.amdhsa_system_sgpr_workgroup_id_y 1
		.amdhsa_system_sgpr_workgroup_id_z 1
		.amdhsa_system_sgpr_workgroup_info 0
		.amdhsa_system_vgpr_workitem_id 1
		.amdhsa_next_free_vgpr 102
		.amdhsa_next_free_sgpr 91
		.amdhsa_accum_offset 104
		.amdhsa_reserve_vcc 1
		.amdhsa_float_round_mode_32 0
		.amdhsa_float_round_mode_16_64 0
		.amdhsa_float_denorm_mode_32 3
		.amdhsa_float_denorm_mode_16_64 3
		.amdhsa_dx10_clamp 1
		.amdhsa_ieee_mode 1
		.amdhsa_fp16_overflow 0
		.amdhsa_tg_split 0
		.amdhsa_exception_fp_ieee_invalid_op 0
		.amdhsa_exception_fp_denorm_src 0
		.amdhsa_exception_fp_ieee_div_zero 0
		.amdhsa_exception_fp_ieee_overflow 0
		.amdhsa_exception_fp_ieee_underflow 0
		.amdhsa_exception_fp_ieee_inexact 0
		.amdhsa_exception_int_div_zero 0
	.end_amdhsa_kernel
	.section	.text._ZL15flash_attn_tileILi64ELi64ELi8ELi2ELb0EEvPKcS1_S1_S1_S1_PKiPfP15HIP_vector_typeIfLj2EEffffjfiS5_IjLj3EEiiiiiiiiiiiliiliiiiil,"axG",@progbits,_ZL15flash_attn_tileILi64ELi64ELi8ELi2ELb0EEvPKcS1_S1_S1_S1_PKiPfP15HIP_vector_typeIfLj2EEffffjfiS5_IjLj3EEiiiiiiiiiiiliiliiiiil,comdat
.Lfunc_end40:
	.size	_ZL15flash_attn_tileILi64ELi64ELi8ELi2ELb0EEvPKcS1_S1_S1_S1_PKiPfP15HIP_vector_typeIfLj2EEffffjfiS5_IjLj3EEiiiiiiiiiiiliiliiiiil, .Lfunc_end40-_ZL15flash_attn_tileILi64ELi64ELi8ELi2ELb0EEvPKcS1_S1_S1_S1_PKiPfP15HIP_vector_typeIfLj2EEffffjfiS5_IjLj3EEiiiiiiiiiiiliiliiiiil
                                        ; -- End function
	.set _ZL15flash_attn_tileILi64ELi64ELi8ELi2ELb0EEvPKcS1_S1_S1_S1_PKiPfP15HIP_vector_typeIfLj2EEffffjfiS5_IjLj3EEiiiiiiiiiiiliiliiiiil.num_vgpr, 102
	.set _ZL15flash_attn_tileILi64ELi64ELi8ELi2ELb0EEvPKcS1_S1_S1_S1_PKiPfP15HIP_vector_typeIfLj2EEffffjfiS5_IjLj3EEiiiiiiiiiiiliiliiiiil.num_agpr, 0
	.set _ZL15flash_attn_tileILi64ELi64ELi8ELi2ELb0EEvPKcS1_S1_S1_S1_PKiPfP15HIP_vector_typeIfLj2EEffffjfiS5_IjLj3EEiiiiiiiiiiiliiliiiiil.numbered_sgpr, 39
	.set _ZL15flash_attn_tileILi64ELi64ELi8ELi2ELb0EEvPKcS1_S1_S1_S1_PKiPfP15HIP_vector_typeIfLj2EEffffjfiS5_IjLj3EEiiiiiiiiiiiliiliiiiil.num_named_barrier, 0
	.set _ZL15flash_attn_tileILi64ELi64ELi8ELi2ELb0EEvPKcS1_S1_S1_S1_PKiPfP15HIP_vector_typeIfLj2EEffffjfiS5_IjLj3EEiiiiiiiiiiiliiliiiiil.private_seg_size, 0
	.set _ZL15flash_attn_tileILi64ELi64ELi8ELi2ELb0EEvPKcS1_S1_S1_S1_PKiPfP15HIP_vector_typeIfLj2EEffffjfiS5_IjLj3EEiiiiiiiiiiiliiliiiiil.uses_vcc, 1
	.set _ZL15flash_attn_tileILi64ELi64ELi8ELi2ELb0EEvPKcS1_S1_S1_S1_PKiPfP15HIP_vector_typeIfLj2EEffffjfiS5_IjLj3EEiiiiiiiiiiiliiliiiiil.uses_flat_scratch, 0
	.set _ZL15flash_attn_tileILi64ELi64ELi8ELi2ELb0EEvPKcS1_S1_S1_S1_PKiPfP15HIP_vector_typeIfLj2EEffffjfiS5_IjLj3EEiiiiiiiiiiiliiliiiiil.has_dyn_sized_stack, 0
	.set _ZL15flash_attn_tileILi64ELi64ELi8ELi2ELb0EEvPKcS1_S1_S1_S1_PKiPfP15HIP_vector_typeIfLj2EEffffjfiS5_IjLj3EEiiiiiiiiiiiliiliiiiil.has_recursion, 0
	.set _ZL15flash_attn_tileILi64ELi64ELi8ELi2ELb0EEvPKcS1_S1_S1_S1_PKiPfP15HIP_vector_typeIfLj2EEffffjfiS5_IjLj3EEiiiiiiiiiiiliiliiiiil.has_indirect_call, 0
	.section	.AMDGPU.csdata,"",@progbits
; Kernel info:
; codeLenInByte = 14832
; TotalNumSgprs: 45
; NumVgprs: 102
; NumAgprs: 0
; TotalNumVgprs: 102
; ScratchSize: 0
; MemoryBound: 0
; FloatMode: 240
; IeeeMode: 1
; LDSByteSize: 24576 bytes/workgroup (compile time only)
; SGPRBlocks: 12
; VGPRBlocks: 12
; NumSGPRsForWavesPerEU: 97
; NumVGPRsForWavesPerEU: 102
; AccumOffset: 104
; Occupancy: 4
; WaveLimiterHint : 1
; COMPUTE_PGM_RSRC2:SCRATCH_EN: 0
; COMPUTE_PGM_RSRC2:USER_SGPR: 2
; COMPUTE_PGM_RSRC2:TRAP_HANDLER: 0
; COMPUTE_PGM_RSRC2:TGID_X_EN: 1
; COMPUTE_PGM_RSRC2:TGID_Y_EN: 1
; COMPUTE_PGM_RSRC2:TGID_Z_EN: 1
; COMPUTE_PGM_RSRC2:TIDIG_COMP_CNT: 1
; COMPUTE_PGM_RSRC3_GFX90A:ACCUM_OFFSET: 25
; COMPUTE_PGM_RSRC3_GFX90A:TG_SPLIT: 0
	.section	.text._ZL33flash_attn_stream_k_fixup_uniformILi64ELi8ELi2EEvPfPK15HIP_vector_typeIfLj2EEiiiiiiS1_IjLj3EES5_S5_,"axG",@progbits,_ZL33flash_attn_stream_k_fixup_uniformILi64ELi8ELi2EEvPfPK15HIP_vector_typeIfLj2EEiiiiiiS1_IjLj3EES5_S5_,comdat
	.globl	_ZL33flash_attn_stream_k_fixup_uniformILi64ELi8ELi2EEvPfPK15HIP_vector_typeIfLj2EEiiiiiiS1_IjLj3EES5_S5_ ; -- Begin function _ZL33flash_attn_stream_k_fixup_uniformILi64ELi8ELi2EEvPfPK15HIP_vector_typeIfLj2EEiiiiiiS1_IjLj3EES5_S5_
	.p2align	8
	.type	_ZL33flash_attn_stream_k_fixup_uniformILi64ELi8ELi2EEvPfPK15HIP_vector_typeIfLj2EEiiiiiiS1_IjLj3EES5_S5_,@function
_ZL33flash_attn_stream_k_fixup_uniformILi64ELi8ELi2EEvPfPK15HIP_vector_typeIfLj2EEiiiiiiS1_IjLj3EES5_S5_: ; @_ZL33flash_attn_stream_k_fixup_uniformILi64ELi8ELi2EEvPfPK15HIP_vector_typeIfLj2EEiiiiiiS1_IjLj3EES5_S5_
; %bb.0:
	s_load_dwordx8 s[8:15], s[0:1], 0x1c
	s_load_dwordx2 s[6:7], s[0:1], 0x10
	s_load_dwordx4 s[20:23], s[0:1], 0x3c
	s_waitcnt lgkmcnt(0)
	s_mul_hi_u32 s5, s11, s2
	s_add_i32 s5, s2, s5
	s_lshr_b32 s5, s5, s12
	s_mul_i32 s11, s5, s13
	s_sub_i32 s11, s2, s11
	s_mul_hi_u32 s12, s11, s14
	s_add_i32 s12, s11, s12
	s_lshr_b32 s16, s12, s15
	s_mul_i32 s12, s16, s20
	s_sub_i32 s11, s11, s12
	s_mul_hi_u32 s12, s11, s21
	s_add_i32 s12, s11, s12
	s_lshr_b32 s12, s12, s22
	s_mul_i32 s13, s12, s23
	s_sub_i32 s17, s11, s13
	s_lshl_b32 s11, s12, 1
	s_lshl_b32 s12, s17, 3
	s_add_i32 s12, s12, s3
	s_cmp_lt_i32 s12, s6
	s_cselect_b64 s[12:13], -1, 0
	s_add_i32 s14, s11, s4
	s_cmp_lt_i32 s14, s9
	s_cselect_b64 s[14:15], -1, 0
	s_and_b64 s[12:13], s[12:13], s[14:15]
	s_andn2_b64 vcc, exec, s[12:13]
	s_cbranch_vccnz .LBB41_6
; %bb.1:
	s_load_dwordx4 s[12:15], s[0:1], 0x0
	s_mul_i32 s0, s5, s6
	s_add_i32 s0, s0, s3
	s_mul_i32 s0, s0, s7
	s_mul_i32 s16, s16, s9
	s_add_i32 s0, s0, s4
	s_add_i32 s0, s0, s16
	s_mul_i32 s1, s7, s17
	s_add_i32 s0, s0, s11
	s_lshl_b32 s1, s1, 9
	s_lshl_b32 s0, s0, 6
	s_add_i32 s1, s1, s0
	v_or_b32_e32 v4, s1, v0
	s_waitcnt lgkmcnt(0)
	v_mov_b32_e32 v2, s12
	v_mov_b32_e32 v3, s13
	v_ashrrev_i32_e32 v5, 31, v4
	v_lshl_add_u64 v[2:3], v[4:5], 2, v[2:3]
	global_load_dword v5, v[2:3], off
	s_mul_i32 s5, s10, s2
	s_lshl_b32 s11, s3, 1
	s_add_i32 s9, s5, s10
	s_add_i32 s0, s11, s4
	s_lshl_b32 s1, s9, 4
	s_add_i32 s0, s0, s1
	s_add_i32 s0, s0, -16
	s_ashr_i32 s1, s0, 31
	s_lshl_b64 s[0:1], s[0:1], 3
	s_add_u32 s0, s14, s0
	s_addc_u32 s1, s15, s1
	s_load_dword s12, s[0:1], 0x4
	s_add_i32 s6, s9, -2
	s_cmp_lt_i32 s6, s5
	s_cbranch_scc1 .LBB41_4
; %bb.2:
	s_lshl_b32 s6, s8, 6
	s_ashr_i32 s7, s6, 31
	s_lshl_b64 s[6:7], s[6:7], 2
	s_add_u32 s6, s14, s6
	s_addc_u32 s7, s15, s7
	s_add_i32 s2, s2, 1
	s_load_dword s0, s[0:1], 0x0
	s_mul_i32 s1, s10, s2
	s_lshl_b32 s3, s3, 7
	s_lshl_b32 s10, s4, 6
	;; [unrolled: 1-line block ×3, first 2 shown]
	s_add_i32 s3, s10, s3
	s_lshl_b32 s1, s1, 4
	s_add_i32 s3, s3, s2
	s_add_i32 s1, s4, s1
	s_lshl_b32 s2, s8, 4
	s_add_i32 s1, s1, s2
	v_or_b32_e32 v0, s3, v0
	s_add_i32 s1, s1, s11
	s_add_i32 s9, s9, -1
	v_add_u32_e32 v0, 0xfffff800, v0
	s_sub_i32 s2, s1, 32
	s_waitcnt lgkmcnt(0)
	v_mov_b32_e32 v7, s0
	v_mov_b32_e32 v4, s12
	s_mov_b32 s4, 0x3fb8aa3b
	s_mov_b32 s8, 0xc2ce8ed0
	;; [unrolled: 1-line block ×3, first 2 shown]
	v_mov_b32_e32 v6, 0x7f800000
	s_mov_b32 s11, 0xc1a00000
.LBB41_3:                               ; =>This Inner Loop Header: Depth=1
	v_ashrrev_i32_e32 v1, 31, v0
	v_lshl_add_u64 v[8:9], v[0:1], 2, s[6:7]
	global_load_dword v9, v[8:9], off
	s_ashr_i32 s3, s2, 31
	s_lshl_b64 s[0:1], s[2:3], 3
	s_add_u32 s0, s14, s0
	s_addc_u32 s1, s15, s1
	s_load_dwordx2 s[0:1], s[0:1], 0x0
	v_max_f32_e32 v1, v7, v7
	s_add_i32 s9, s9, -1
	s_add_i32 s2, s2, -16
	v_add_u32_e32 v0, 0xfffffc00, v0
	s_waitcnt lgkmcnt(0)
	v_max_f32_e64 v10, s0, s0
	v_max_f32_e32 v1, v1, v10
	v_sub_f32_e32 v11, s0, v1
	v_sub_f32_e32 v10, v7, v1
	v_mul_f32_e32 v12, 0x3fb8aa3b, v11
	v_mov_b32_e32 v7, v1
	v_mul_f32_e32 v1, 0x3fb8aa3b, v10
	v_fma_f32 v15, v11, s4, -v12
	v_rndne_f32_e32 v16, v12
	v_fma_f32 v13, v10, s4, -v1
	v_rndne_f32_e32 v14, v1
	v_fmac_f32_e32 v15, 0x32a5705f, v11
	v_sub_f32_e32 v12, v12, v16
	v_fmac_f32_e32 v13, 0x32a5705f, v10
	v_sub_f32_e32 v1, v1, v14
	v_add_f32_e32 v12, v12, v15
	v_cvt_i32_f32_e32 v16, v16
	v_add_f32_e32 v1, v1, v13
	v_exp_f32_e32 v12, v12
	v_cvt_i32_f32_e32 v14, v14
	v_exp_f32_e32 v1, v1
	v_cmp_ngt_f32_e32 vcc, s8, v11
	v_ldexp_f32 v12, v12, v16
	v_mov_b32_e32 v8, s1
	v_ldexp_f32 v1, v1, v14
	v_cmp_ngt_f32_e64 s[0:1], s8, v10
	v_cndmask_b32_e32 v12, 0, v12, vcc
	v_cmp_nlt_f32_e32 vcc, s10, v11
	v_cndmask_b32_e64 v1, 0, v1, s[0:1]
	v_cmp_nlt_f32_e64 s[0:1], s10, v10
	v_cndmask_b32_e32 v12, v6, v12, vcc
	v_cmp_le_f32_e32 vcc, s11, v11
	v_cndmask_b32_e64 v1, v6, v1, s[0:1]
	v_cmp_le_f32_e64 s[0:1], s11, v10
	v_cndmask_b32_e32 v12, 0, v12, vcc
	s_cmp_le_i32 s9, s5
	v_cndmask_b32_e64 v10, 0, v1, s[0:1]
	s_waitcnt vmcnt(0)
	v_pk_mul_f32 v[8:9], v[8:9], v[12:13] op_sel_hi:[1,0]
	s_nop 0
	v_pk_fma_f32 v[4:5], v[4:5], v[10:11], v[8:9] op_sel_hi:[1,0,1]
	s_cbranch_scc0 .LBB41_3
	s_branch .LBB41_5
.LBB41_4:
	s_waitcnt lgkmcnt(0)
	v_mov_b32_e32 v4, s12
.LBB41_5:
	s_waitcnt vmcnt(0)
	v_div_scale_f32 v0, s[0:1], v4, v4, v5
	v_rcp_f32_e32 v1, v0
	v_div_scale_f32 v6, vcc, v5, v4, v5
	v_fma_f32 v7, -v0, v1, 1.0
	v_fmac_f32_e32 v1, v7, v1
	v_mul_f32_e32 v7, v6, v1
	v_fma_f32 v8, -v0, v7, v6
	v_fmac_f32_e32 v7, v8, v1
	v_fma_f32 v0, -v0, v7, v6
	v_div_fmas_f32 v0, v0, v1, v7
	v_div_fixup_f32 v0, v0, v4, v5
	global_store_dword v[2:3], v0, off
.LBB41_6:
	s_endpgm
	.section	.rodata,"a",@progbits
	.p2align	6, 0x0
	.amdhsa_kernel _ZL33flash_attn_stream_k_fixup_uniformILi64ELi8ELi2EEvPfPK15HIP_vector_typeIfLj2EEiiiiiiS1_IjLj3EES5_S5_
		.amdhsa_group_segment_fixed_size 0
		.amdhsa_private_segment_fixed_size 0
		.amdhsa_kernarg_size 76
		.amdhsa_user_sgpr_count 2
		.amdhsa_user_sgpr_dispatch_ptr 0
		.amdhsa_user_sgpr_queue_ptr 0
		.amdhsa_user_sgpr_kernarg_segment_ptr 1
		.amdhsa_user_sgpr_dispatch_id 0
		.amdhsa_user_sgpr_kernarg_preload_length 0
		.amdhsa_user_sgpr_kernarg_preload_offset 0
		.amdhsa_user_sgpr_private_segment_size 0
		.amdhsa_uses_dynamic_stack 0
		.amdhsa_enable_private_segment 0
		.amdhsa_system_sgpr_workgroup_id_x 1
		.amdhsa_system_sgpr_workgroup_id_y 1
		.amdhsa_system_sgpr_workgroup_id_z 1
		.amdhsa_system_sgpr_workgroup_info 0
		.amdhsa_system_vgpr_workitem_id 0
		.amdhsa_next_free_vgpr 17
		.amdhsa_next_free_sgpr 24
		.amdhsa_accum_offset 20
		.amdhsa_reserve_vcc 1
		.amdhsa_float_round_mode_32 0
		.amdhsa_float_round_mode_16_64 0
		.amdhsa_float_denorm_mode_32 3
		.amdhsa_float_denorm_mode_16_64 3
		.amdhsa_dx10_clamp 1
		.amdhsa_ieee_mode 1
		.amdhsa_fp16_overflow 0
		.amdhsa_tg_split 0
		.amdhsa_exception_fp_ieee_invalid_op 0
		.amdhsa_exception_fp_denorm_src 0
		.amdhsa_exception_fp_ieee_div_zero 0
		.amdhsa_exception_fp_ieee_overflow 0
		.amdhsa_exception_fp_ieee_underflow 0
		.amdhsa_exception_fp_ieee_inexact 0
		.amdhsa_exception_int_div_zero 0
	.end_amdhsa_kernel
	.section	.text._ZL33flash_attn_stream_k_fixup_uniformILi64ELi8ELi2EEvPfPK15HIP_vector_typeIfLj2EEiiiiiiS1_IjLj3EES5_S5_,"axG",@progbits,_ZL33flash_attn_stream_k_fixup_uniformILi64ELi8ELi2EEvPfPK15HIP_vector_typeIfLj2EEiiiiiiS1_IjLj3EES5_S5_,comdat
.Lfunc_end41:
	.size	_ZL33flash_attn_stream_k_fixup_uniformILi64ELi8ELi2EEvPfPK15HIP_vector_typeIfLj2EEiiiiiiS1_IjLj3EES5_S5_, .Lfunc_end41-_ZL33flash_attn_stream_k_fixup_uniformILi64ELi8ELi2EEvPfPK15HIP_vector_typeIfLj2EEiiiiiiS1_IjLj3EES5_S5_
                                        ; -- End function
	.set _ZL33flash_attn_stream_k_fixup_uniformILi64ELi8ELi2EEvPfPK15HIP_vector_typeIfLj2EEiiiiiiS1_IjLj3EES5_S5_.num_vgpr, 17
	.set _ZL33flash_attn_stream_k_fixup_uniformILi64ELi8ELi2EEvPfPK15HIP_vector_typeIfLj2EEiiiiiiS1_IjLj3EES5_S5_.num_agpr, 0
	.set _ZL33flash_attn_stream_k_fixup_uniformILi64ELi8ELi2EEvPfPK15HIP_vector_typeIfLj2EEiiiiiiS1_IjLj3EES5_S5_.numbered_sgpr, 24
	.set _ZL33flash_attn_stream_k_fixup_uniformILi64ELi8ELi2EEvPfPK15HIP_vector_typeIfLj2EEiiiiiiS1_IjLj3EES5_S5_.num_named_barrier, 0
	.set _ZL33flash_attn_stream_k_fixup_uniformILi64ELi8ELi2EEvPfPK15HIP_vector_typeIfLj2EEiiiiiiS1_IjLj3EES5_S5_.private_seg_size, 0
	.set _ZL33flash_attn_stream_k_fixup_uniformILi64ELi8ELi2EEvPfPK15HIP_vector_typeIfLj2EEiiiiiiS1_IjLj3EES5_S5_.uses_vcc, 1
	.set _ZL33flash_attn_stream_k_fixup_uniformILi64ELi8ELi2EEvPfPK15HIP_vector_typeIfLj2EEiiiiiiS1_IjLj3EES5_S5_.uses_flat_scratch, 0
	.set _ZL33flash_attn_stream_k_fixup_uniformILi64ELi8ELi2EEvPfPK15HIP_vector_typeIfLj2EEiiiiiiS1_IjLj3EES5_S5_.has_dyn_sized_stack, 0
	.set _ZL33flash_attn_stream_k_fixup_uniformILi64ELi8ELi2EEvPfPK15HIP_vector_typeIfLj2EEiiiiiiS1_IjLj3EES5_S5_.has_recursion, 0
	.set _ZL33flash_attn_stream_k_fixup_uniformILi64ELi8ELi2EEvPfPK15HIP_vector_typeIfLj2EEiiiiiiS1_IjLj3EES5_S5_.has_indirect_call, 0
	.section	.AMDGPU.csdata,"",@progbits
; Kernel info:
; codeLenInByte = 836
; TotalNumSgprs: 30
; NumVgprs: 17
; NumAgprs: 0
; TotalNumVgprs: 17
; ScratchSize: 0
; MemoryBound: 0
; FloatMode: 240
; IeeeMode: 1
; LDSByteSize: 0 bytes/workgroup (compile time only)
; SGPRBlocks: 3
; VGPRBlocks: 2
; NumSGPRsForWavesPerEU: 30
; NumVGPRsForWavesPerEU: 17
; AccumOffset: 20
; Occupancy: 8
; WaveLimiterHint : 0
; COMPUTE_PGM_RSRC2:SCRATCH_EN: 0
; COMPUTE_PGM_RSRC2:USER_SGPR: 2
; COMPUTE_PGM_RSRC2:TRAP_HANDLER: 0
; COMPUTE_PGM_RSRC2:TGID_X_EN: 1
; COMPUTE_PGM_RSRC2:TGID_Y_EN: 1
; COMPUTE_PGM_RSRC2:TGID_Z_EN: 1
; COMPUTE_PGM_RSRC2:TIDIG_COMP_CNT: 0
; COMPUTE_PGM_RSRC3_GFX90A:ACCUM_OFFSET: 4
; COMPUTE_PGM_RSRC3_GFX90A:TG_SPLIT: 0
	.section	.text._ZL33flash_attn_stream_k_fixup_generalILi64ELi8ELi2EEvPfPK15HIP_vector_typeIfLj2EEiiiiS1_IjLj3EES5_S5_S5_,"axG",@progbits,_ZL33flash_attn_stream_k_fixup_generalILi64ELi8ELi2EEvPfPK15HIP_vector_typeIfLj2EEiiiiS1_IjLj3EES5_S5_S5_,comdat
	.globl	_ZL33flash_attn_stream_k_fixup_generalILi64ELi8ELi2EEvPfPK15HIP_vector_typeIfLj2EEiiiiS1_IjLj3EES5_S5_S5_ ; -- Begin function _ZL33flash_attn_stream_k_fixup_generalILi64ELi8ELi2EEvPfPK15HIP_vector_typeIfLj2EEiiiiS1_IjLj3EES5_S5_S5_
	.p2align	8
	.type	_ZL33flash_attn_stream_k_fixup_generalILi64ELi8ELi2EEvPfPK15HIP_vector_typeIfLj2EEiiiiS1_IjLj3EES5_S5_S5_,@function
_ZL33flash_attn_stream_k_fixup_generalILi64ELi8ELi2EEvPfPK15HIP_vector_typeIfLj2EEiiiiS1_IjLj3EES5_S5_S5_: ; @_ZL33flash_attn_stream_k_fixup_generalILi64ELi8ELi2EEvPfPK15HIP_vector_typeIfLj2EEiiiiS1_IjLj3EES5_S5_S5_
; %bb.0:
	s_load_dwordx4 s[8:11], s[0:1], 0x10
	s_load_dword s22, s[0:1], 0x50
	s_mov_b32 s12, 0
	s_waitcnt lgkmcnt(0)
	s_mul_hi_i32 s13, s11, s2
	s_cmp_lg_u64 s[12:13], 0
	s_mul_i32 s5, s11, s2
	s_cbranch_scc0 .LBB42_20
; %bb.1:
	s_add_u32 s6, s22, 0
	s_addc_u32 s7, 0, 0
	s_xor_b64 s[6:7], s[6:7], 0
	v_cvt_f32_u32_e32 v1, s6
	v_cvt_f32_u32_e32 v2, s7
	s_sub_u32 s12, 0, s6
	s_subb_u32 s18, 0, s7
	v_fmamk_f32 v1, v2, 0x4f800000, v1
	v_rcp_f32_e32 v1, v1
	s_nop 0
	v_mul_f32_e32 v1, 0x5f7ffffc, v1
	v_mul_f32_e32 v2, 0x2f800000, v1
	v_trunc_f32_e32 v2, v2
	v_fmamk_f32 v1, v2, 0xcf800000, v1
	v_cvt_u32_f32_e32 v2, v2
	v_cvt_u32_f32_e32 v1, v1
	v_readfirstlane_b32 s19, v2
	v_readfirstlane_b32 s14, v1
	s_mul_i32 s15, s12, s19
	s_mul_hi_u32 s21, s12, s14
	s_mul_i32 s20, s18, s14
	s_add_i32 s15, s21, s15
	s_add_i32 s15, s15, s20
	s_mul_i32 s23, s12, s14
	s_mul_i32 s21, s14, s15
	s_mul_hi_u32 s24, s14, s23
	s_mul_hi_u32 s20, s14, s15
	s_add_u32 s21, s24, s21
	s_addc_u32 s20, 0, s20
	s_mul_hi_u32 s25, s19, s23
	s_mul_i32 s23, s19, s23
	s_add_u32 s21, s21, s23
	s_mul_hi_u32 s24, s19, s15
	s_addc_u32 s20, s20, s25
	s_addc_u32 s21, s24, 0
	s_mul_i32 s15, s19, s15
	s_add_u32 s15, s20, s15
	s_addc_u32 s20, 0, s21
	s_add_u32 s21, s14, s15
	s_cselect_b64 s[14:15], -1, 0
	s_cmp_lg_u64 s[14:15], 0
	s_addc_u32 s19, s19, s20
	s_mul_i32 s14, s12, s19
	s_mul_hi_u32 s15, s12, s21
	s_add_i32 s14, s15, s14
	s_mul_i32 s18, s18, s21
	s_add_i32 s14, s14, s18
	s_mul_i32 s12, s12, s21
	s_mul_hi_u32 s18, s19, s12
	s_mul_i32 s20, s19, s12
	s_mul_i32 s24, s21, s14
	s_mul_hi_u32 s12, s21, s12
	s_mul_hi_u32 s23, s21, s14
	s_add_u32 s12, s12, s24
	s_addc_u32 s23, 0, s23
	s_add_u32 s12, s12, s20
	s_mul_hi_u32 s15, s19, s14
	s_addc_u32 s12, s23, s18
	s_addc_u32 s15, s15, 0
	s_mul_i32 s14, s19, s14
	s_add_u32 s12, s12, s14
	s_addc_u32 s18, 0, s15
	s_add_u32 s20, s21, s12
	s_cselect_b64 s[14:15], -1, 0
	s_cmp_lg_u64 s[14:15], 0
	s_addc_u32 s18, s19, s18
	s_ashr_i32 s14, s13, 31
	s_add_u32 s12, s5, s14
	s_mov_b32 s15, s14
	s_addc_u32 s13, s13, s14
	s_xor_b64 s[12:13], s[12:13], s[14:15]
	s_mul_i32 s21, s12, s18
	s_mul_hi_u32 s23, s12, s20
	s_mul_hi_u32 s19, s12, s18
	s_add_u32 s21, s23, s21
	s_addc_u32 s19, 0, s19
	s_mul_hi_u32 s24, s13, s20
	s_mul_i32 s20, s13, s20
	s_add_u32 s20, s21, s20
	s_mul_hi_u32 s23, s13, s18
	s_addc_u32 s19, s19, s24
	s_addc_u32 s20, s23, 0
	s_mul_i32 s18, s13, s18
	s_add_u32 s23, s19, s18
	s_addc_u32 s24, 0, s20
	s_mul_i32 s18, s6, s24
	s_mul_hi_u32 s19, s6, s23
	s_add_i32 s18, s19, s18
	s_mul_i32 s19, s7, s23
	s_add_i32 s25, s18, s19
	s_sub_i32 s20, s13, s25
	s_mul_i32 s18, s6, s23
	s_sub_u32 s12, s12, s18
	s_cselect_b64 s[18:19], -1, 0
	s_cmp_lg_u64 s[18:19], 0
	s_subb_u32 s26, s20, s7
	s_sub_u32 s27, s12, s6
	s_cselect_b64 s[20:21], -1, 0
	s_cmp_lg_u64 s[20:21], 0
	s_subb_u32 s20, s26, 0
	s_cmp_ge_u32 s20, s7
	s_cselect_b32 s21, -1, 0
	s_cmp_ge_u32 s27, s6
	s_cselect_b32 s26, -1, 0
	s_cmp_eq_u32 s20, s7
	s_cselect_b32 s20, s26, s21
	s_add_u32 s21, s23, 1
	s_addc_u32 s26, s24, 0
	s_add_u32 s27, s23, 2
	s_addc_u32 s28, s24, 0
	s_cmp_lg_u32 s20, 0
	s_cselect_b32 s20, s27, s21
	s_cselect_b32 s21, s28, s26
	s_cmp_lg_u64 s[18:19], 0
	s_subb_u32 s13, s13, s25
	s_cmp_ge_u32 s13, s7
	s_cselect_b32 s18, -1, 0
	s_cmp_ge_u32 s12, s6
	s_cselect_b32 s6, -1, 0
	s_cmp_eq_u32 s13, s7
	s_cselect_b32 s6, s6, s18
	s_cmp_lg_u32 s6, 0
	s_cselect_b32 s7, s21, s24
	s_cselect_b32 s6, s20, s23
	s_xor_b64 s[12:13], s[14:15], 0
	s_xor_b64 s[6:7], s[6:7], s[12:13]
	s_sub_u32 s6, s6, s12
	s_load_dwordx4 s[12:15], s[0:1], 0x44
	s_cbranch_execnz .LBB42_3
.LBB42_2:
	v_cvt_f32_u32_e32 v1, s22
	s_sub_i32 s6, 0, s22
	v_rcp_iflag_f32_e32 v1, v1
	s_nop 0
	v_mul_f32_e32 v1, 0x4f7ffffe, v1
	v_cvt_u32_f32_e32 v1, v1
	s_nop 0
	v_readfirstlane_b32 s7, v1
	s_mul_i32 s6, s6, s7
	s_mul_hi_u32 s6, s7, s6
	s_add_i32 s7, s7, s6
	s_mul_hi_u32 s6, s5, s7
	s_waitcnt lgkmcnt(0)
	s_mul_i32 s15, s6, s22
	s_sub_i32 s5, s5, s15
	s_add_i32 s7, s6, 1
	s_sub_i32 s15, s5, s22
	s_cmp_ge_u32 s5, s22
	s_cselect_b32 s6, s7, s6
	s_cselect_b32 s5, s15, s5
	s_add_i32 s7, s6, 1
	s_cmp_ge_u32 s5, s22
	s_cselect_b32 s6, s7, s6
.LBB42_3:
	s_add_i32 s5, s2, 1
	s_mul_hi_i32 s21, s11, s5
	s_mov_b32 s20, 0
	s_cmp_lg_u64 s[20:21], 0
	s_mul_i32 s5, s11, s5
	s_cbranch_scc0 .LBB42_21
; %bb.4:
	s_add_u32 s16, s22, 0
	s_addc_u32 s17, 0, 0
	s_xor_b64 s[18:19], s[16:17], 0
	v_cvt_f32_u32_e32 v1, s18
	v_cvt_f32_u32_e32 v2, s19
	s_sub_u32 s7, 0, s18
	s_waitcnt lgkmcnt(0)
	s_subb_u32 s15, 0, s19
	v_fmamk_f32 v1, v2, 0x4f800000, v1
	v_rcp_f32_e32 v1, v1
	s_nop 0
	v_mul_f32_e32 v1, 0x5f7ffffc, v1
	v_mul_f32_e32 v2, 0x2f800000, v1
	v_trunc_f32_e32 v2, v2
	v_fmamk_f32 v1, v2, 0xcf800000, v1
	v_cvt_u32_f32_e32 v2, v2
	v_cvt_u32_f32_e32 v1, v1
	v_readfirstlane_b32 s20, v2
	v_readfirstlane_b32 s23, v1
	s_mul_i32 s24, s7, s20
	s_mul_hi_u32 s26, s7, s23
	s_mul_i32 s25, s15, s23
	s_add_i32 s24, s26, s24
	s_add_i32 s24, s24, s25
	s_mul_i32 s27, s7, s23
	s_mul_i32 s26, s23, s24
	s_mul_hi_u32 s28, s23, s27
	s_mul_hi_u32 s25, s23, s24
	s_add_u32 s26, s28, s26
	s_addc_u32 s25, 0, s25
	s_mul_hi_u32 s29, s20, s27
	s_mul_i32 s27, s20, s27
	s_add_u32 s26, s26, s27
	s_mul_hi_u32 s28, s20, s24
	s_addc_u32 s25, s25, s29
	s_addc_u32 s26, s28, 0
	s_mul_i32 s24, s20, s24
	s_add_u32 s24, s25, s24
	s_addc_u32 s26, 0, s26
	s_add_u32 s23, s23, s24
	s_cselect_b64 s[24:25], -1, 0
	s_cmp_lg_u64 s[24:25], 0
	s_addc_u32 s20, s20, s26
	s_mul_i32 s24, s7, s20
	s_mul_hi_u32 s25, s7, s23
	s_add_i32 s24, s25, s24
	s_mul_i32 s15, s15, s23
	s_add_i32 s24, s24, s15
	s_mul_i32 s7, s7, s23
	s_mul_hi_u32 s25, s20, s7
	s_mul_i32 s26, s20, s7
	s_mul_i32 s28, s23, s24
	s_mul_hi_u32 s7, s23, s7
	s_mul_hi_u32 s27, s23, s24
	s_add_u32 s7, s7, s28
	s_addc_u32 s27, 0, s27
	s_add_u32 s7, s7, s26
	s_mul_hi_u32 s15, s20, s24
	s_addc_u32 s7, s27, s25
	s_addc_u32 s15, s15, 0
	s_mul_i32 s24, s20, s24
	s_add_u32 s7, s7, s24
	s_addc_u32 s15, 0, s15
	s_add_u32 s7, s23, s7
	s_cselect_b64 s[24:25], -1, 0
	s_cmp_lg_u64 s[24:25], 0
	s_addc_u32 s15, s20, s15
	s_ashr_i32 s24, s21, 31
	s_add_u32 s20, s5, s24
	s_mov_b32 s25, s24
	s_addc_u32 s21, s21, s24
	s_xor_b64 s[20:21], s[20:21], s[24:25]
	s_mul_i32 s26, s20, s15
	s_mul_hi_u32 s27, s20, s7
	s_mul_hi_u32 s23, s20, s15
	s_add_u32 s26, s27, s26
	s_addc_u32 s23, 0, s23
	s_mul_hi_u32 s28, s21, s7
	s_mul_i32 s7, s21, s7
	s_add_u32 s7, s26, s7
	s_mul_hi_u32 s27, s21, s15
	s_addc_u32 s7, s23, s28
	s_addc_u32 s23, s27, 0
	s_mul_i32 s15, s21, s15
	s_add_u32 s7, s7, s15
	s_addc_u32 s15, 0, s23
	s_mul_i32 s23, s18, s15
	s_mul_hi_u32 s26, s18, s7
	s_add_i32 s23, s26, s23
	s_mul_i32 s26, s19, s7
	s_add_i32 s23, s23, s26
	s_sub_i32 s28, s21, s23
	s_mul_i32 s26, s18, s7
	s_sub_u32 s20, s20, s26
	s_cselect_b64 s[26:27], -1, 0
	s_cmp_lg_u64 s[26:27], 0
	s_subb_u32 s30, s28, s19
	s_sub_u32 s31, s20, s18
	s_cselect_b64 s[28:29], -1, 0
	s_cmp_lg_u64 s[28:29], 0
	s_subb_u32 s28, s30, 0
	s_cmp_ge_u32 s28, s19
	s_cselect_b32 s29, -1, 0
	s_cmp_ge_u32 s31, s18
	s_cselect_b32 s30, -1, 0
	s_cmp_eq_u32 s28, s19
	s_cselect_b32 s28, s30, s29
	s_add_u32 s29, s7, 1
	s_addc_u32 s30, s15, 0
	s_add_u32 s31, s7, 2
	s_addc_u32 s33, s15, 0
	s_cmp_lg_u32 s28, 0
	s_cselect_b32 s28, s31, s29
	s_cselect_b32 s29, s33, s30
	s_cmp_lg_u64 s[26:27], 0
	s_subb_u32 s21, s21, s23
	s_cmp_ge_u32 s21, s19
	s_cselect_b32 s23, -1, 0
	s_cmp_ge_u32 s20, s18
	s_cselect_b32 s18, -1, 0
	s_cmp_eq_u32 s21, s19
	s_cselect_b32 s18, s18, s23
	s_cmp_lg_u32 s18, 0
	s_cselect_b32 s19, s29, s15
	s_cselect_b32 s18, s28, s7
	s_xor_b64 s[20:21], s[24:25], 0
	s_xor_b64 s[18:19], s[18:19], s[20:21]
	s_sub_u32 s18, s18, s20
	s_cbranch_execnz .LBB42_6
.LBB42_5:
	v_cvt_f32_u32_e32 v1, s22
	s_sub_i32 s7, 0, s22
	v_rcp_iflag_f32_e32 v1, v1
	s_nop 0
	v_mul_f32_e32 v1, 0x4f7ffffe, v1
	v_cvt_u32_f32_e32 v1, v1
	s_waitcnt lgkmcnt(0)
	v_readfirstlane_b32 s15, v1
	s_mul_i32 s7, s7, s15
	s_mul_hi_u32 s7, s15, s7
	s_add_i32 s15, s15, s7
	s_mul_hi_u32 s7, s5, s15
	s_mul_i32 s16, s7, s22
	s_sub_i32 s5, s5, s16
	s_add_i32 s15, s7, 1
	s_sub_i32 s16, s5, s22
	s_cmp_ge_u32 s5, s22
	s_cselect_b32 s7, s15, s7
	s_cselect_b32 s5, s16, s5
	s_add_i32 s15, s7, 1
	s_cmp_ge_u32 s5, s22
	s_cselect_b32 s18, s15, s7
.LBB42_6:
	s_cmp_eq_u32 s6, s18
	s_waitcnt lgkmcnt(0)
	s_mul_hi_u32 s5, s6, s12
	s_cselect_b64 s[16:17], -1, 0
	s_add_i32 s5, s5, s6
	s_lshr_b32 s7, s5, s13
	s_mul_i32 s5, s7, s14
	s_cmp_eq_u32 s5, s6
	s_mul_hi_u32 s5, s18, s12
	s_cselect_b64 s[20:21], -1, 0
	s_add_i32 s5, s5, s18
	s_lshr_b32 s5, s5, s13
	s_cmp_eq_u32 s7, s5
	s_mul_i32 s5, s5, s14
	s_cselect_b64 s[24:25], -1, 0
	s_cmp_lg_u32 s5, s18
	s_cselect_b64 s[18:19], -1, 0
	s_and_b64 s[18:19], s[24:25], s[18:19]
	s_or_b64 s[16:17], s[16:17], s[20:21]
	s_or_b64 s[16:17], s[16:17], s[18:19]
	s_and_b64 vcc, exec, s[16:17]
	s_cbranch_vccnz .LBB42_23
; %bb.7:
	s_load_dwordx8 s[24:31], s[0:1], 0x20
	s_load_dword s15, s[0:1], 0x40
	s_waitcnt lgkmcnt(0)
	s_mul_hi_u32 s5, s6, s24
	s_add_i32 s5, s5, s6
	s_lshr_b32 s5, s5, s25
	s_mul_i32 s16, s5, s26
	s_sub_i32 s16, s6, s16
	s_mul_hi_u32 s17, s16, s27
	s_add_i32 s17, s16, s17
	s_lshr_b32 s20, s17, s28
	s_mul_i32 s17, s20, s29
	s_sub_i32 s16, s16, s17
	;; [unrolled: 5-line block ×3, first 2 shown]
	s_mul_hi_u32 s16, s15, s12
	s_add_i32 s15, s15, s16
	s_lshr_b32 s23, s15, s13
	s_lshl_b32 s15, s23, 3
	s_lshl_b32 s21, s17, 1
	s_add_i32 s15, s15, s3
	s_cmp_lt_i32 s15, s8
	s_cselect_b64 s[16:17], -1, 0
	s_add_i32 s15, s21, s4
	s_cmp_lt_i32 s15, s10
	s_cselect_b64 s[18:19], -1, 0
	s_and_b64 s[16:17], s[16:17], s[18:19]
	s_andn2_b64 vcc, exec, s[16:17]
	s_cbranch_vccnz .LBB42_23
; %bb.8:
	s_load_dwordx4 s[16:19], s[0:1], 0x0
	s_mov_b32 s0, 0
	s_lshl_b32 s15, s3, 1
	s_lshl_b32 s24, s22, 6
	s_mov_b32 s25, s0
	s_add_i32 s15, s15, s4
	s_waitcnt lgkmcnt(0)
	v_mov_b32_e32 v2, s16
	v_mov_b32_e32 v3, s17
	s_lshl_b64 s[16:17], s[24:25], 2
	s_add_u32 s16, s18, s16
	s_mul_i32 s1, s5, s8
	s_addc_u32 s17, s19, s17
	s_add_i32 s1, s1, s3
	s_mul_i32 s1, s1, s9
	s_mul_i32 s20, s20, s10
	s_add_i32 s1, s1, s4
	s_add_i32 s1, s1, s20
	s_mul_i32 s5, s9, s23
	s_add_i32 s1, s1, s21
	s_lshl_b32 s5, s5, 9
	s_lshl_b32 s1, s1, 6
	s_add_i32 s5, s5, s1
	v_or_b32_e32 v4, s5, v0
	v_ashrrev_i32_e32 v5, 31, v4
	v_lshl_add_u64 v[2:3], v[4:5], 2, v[2:3]
	global_load_dword v1, v[2:3], off
	v_cvt_f32_u32_e32 v4, s22
	s_lshl_b32 s1, s2, 4
	s_add_i32 s4, s15, s1
	s_ashr_i32 s5, s4, 31
	s_lshl_b64 s[4:5], s[4:5], 3
	v_rcp_iflag_f32_e32 v4, v4
	s_add_u32 s4, s18, s4
	s_addc_u32 s5, s19, s5
	s_load_dwordx2 s[4:5], s[4:5], 0x0
	v_mul_f32_e32 v4, 0x4f7ffffe, v4
	v_cvt_u32_f32_e32 v7, v4
	s_add_i32 s24, s2, -1
	v_lshl_or_b32 v6, s15, 6, v0
	s_waitcnt lgkmcnt(0)
	v_mov_b32_e32 v0, s5
	v_mov_b32_e32 v9, s4
	s_mov_b32 s10, 0x3fb8aa3b
	s_mov_b32 s20, 0xc2ce8ed0
	s_mov_b32 s21, 0x42b17218
	s_mov_b32 s23, 0xc1a00000
	v_mov_b32_e32 v8, 0x7f800000
	s_mul_hi_i32 s1, s24, s11
	s_cmp_lg_u64 s[0:1], 0
	s_mul_i32 s8, s24, s11
	s_cbranch_scc0 .LBB42_19
.LBB42_9:
	s_add_u32 s2, s22, 0
	s_addc_u32 s3, 0, 0
	s_xor_b64 s[2:3], s[2:3], 0
	v_cvt_f32_u32_e32 v4, s2
	v_cvt_f32_u32_e32 v5, s3
	s_sub_u32 s9, 0, s2
	s_subb_u32 s25, 0, s3
	v_fmac_f32_e32 v4, 0x4f800000, v5
	v_rcp_f32_e32 v4, v4
	s_nop 0
	v_mul_f32_e32 v4, 0x5f7ffffc, v4
	v_mul_f32_e32 v5, 0x2f800000, v4
	v_trunc_f32_e32 v5, v5
	v_fmac_f32_e32 v4, 0xcf800000, v5
	v_cvt_u32_f32_e32 v5, v5
	v_cvt_u32_f32_e32 v4, v4
	v_readfirstlane_b32 s26, v5
	v_readfirstlane_b32 s4, v4
	s_mul_i32 s5, s9, s26
	s_mul_hi_u32 s28, s9, s4
	s_mul_i32 s27, s25, s4
	s_add_i32 s5, s28, s5
	s_mul_i32 s29, s9, s4
	s_add_i32 s5, s5, s27
	s_mul_i32 s28, s4, s5
	s_mul_hi_u32 s30, s4, s29
	s_mul_hi_u32 s27, s4, s5
	s_add_u32 s28, s30, s28
	s_addc_u32 s27, 0, s27
	s_mul_hi_u32 s31, s26, s29
	s_mul_i32 s29, s26, s29
	s_add_u32 s28, s28, s29
	s_mul_hi_u32 s30, s26, s5
	s_addc_u32 s27, s27, s31
	s_addc_u32 s28, s30, 0
	s_mul_i32 s5, s26, s5
	s_add_u32 s5, s27, s5
	s_addc_u32 s27, 0, s28
	s_add_u32 s28, s4, s5
	s_cselect_b64 s[4:5], -1, 0
	s_cmp_lg_u64 s[4:5], 0
	s_addc_u32 s26, s26, s27
	s_mul_i32 s4, s9, s26
	s_mul_hi_u32 s5, s9, s28
	s_add_i32 s4, s5, s4
	s_mul_i32 s25, s25, s28
	s_add_i32 s4, s4, s25
	s_mul_i32 s9, s9, s28
	s_mul_hi_u32 s25, s26, s9
	s_mul_i32 s27, s26, s9
	s_mul_i32 s30, s28, s4
	s_mul_hi_u32 s9, s28, s9
	s_mul_hi_u32 s29, s28, s4
	s_add_u32 s9, s9, s30
	s_addc_u32 s29, 0, s29
	s_add_u32 s9, s9, s27
	s_mul_hi_u32 s5, s26, s4
	s_addc_u32 s9, s29, s25
	s_addc_u32 s5, s5, 0
	s_mul_i32 s4, s26, s4
	s_add_u32 s4, s9, s4
	s_addc_u32 s9, 0, s5
	s_add_u32 s25, s28, s4
	s_cselect_b64 s[4:5], -1, 0
	s_cmp_lg_u64 s[4:5], 0
	s_addc_u32 s9, s26, s9
	s_ashr_i32 s4, s1, 31
	s_add_u32 s26, s8, s4
	s_mov_b32 s5, s4
	s_addc_u32 s27, s1, s4
	s_xor_b64 s[26:27], s[26:27], s[4:5]
	s_mul_i32 s28, s26, s9
	s_mul_hi_u32 s29, s26, s25
	s_mul_hi_u32 s1, s26, s9
	s_add_u32 s28, s29, s28
	s_addc_u32 s1, 0, s1
	s_mul_hi_u32 s30, s27, s25
	s_mul_i32 s25, s27, s25
	s_add_u32 s25, s28, s25
	s_mul_hi_u32 s29, s27, s9
	s_addc_u32 s1, s1, s30
	s_addc_u32 s25, s29, 0
	s_mul_i32 s9, s27, s9
	s_add_u32 s1, s1, s9
	s_addc_u32 s9, 0, s25
	s_mul_i32 s25, s2, s9
	s_mul_hi_u32 s28, s2, s1
	s_add_i32 s25, s28, s25
	s_mul_i32 s28, s3, s1
	s_add_i32 s25, s25, s28
	s_sub_i32 s30, s27, s25
	s_mul_i32 s28, s2, s1
	s_sub_u32 s26, s26, s28
	s_cselect_b64 s[28:29], -1, 0
	s_cmp_lg_u64 s[28:29], 0
	s_subb_u32 s33, s30, s3
	s_sub_u32 s34, s26, s2
	s_cselect_b64 s[30:31], -1, 0
	s_cmp_lg_u64 s[30:31], 0
	s_subb_u32 s30, s33, 0
	s_cmp_ge_u32 s30, s3
	s_cselect_b32 s31, -1, 0
	s_cmp_ge_u32 s34, s2
	s_cselect_b32 s33, -1, 0
	s_cmp_eq_u32 s30, s3
	s_cselect_b32 s30, s33, s31
	s_add_u32 s31, s1, 1
	s_addc_u32 s33, s9, 0
	s_add_u32 s34, s1, 2
	s_addc_u32 s35, s9, 0
	s_cmp_lg_u32 s30, 0
	s_cselect_b32 s30, s34, s31
	s_cselect_b32 s31, s35, s33
	s_cmp_lg_u64 s[28:29], 0
	s_subb_u32 s25, s27, s25
	s_cmp_ge_u32 s25, s3
	s_cselect_b32 s27, -1, 0
	s_cmp_ge_u32 s26, s2
	s_cselect_b32 s2, -1, 0
	s_cmp_eq_u32 s25, s3
	s_cselect_b32 s2, s2, s27
	s_cmp_lg_u32 s2, 0
	s_cselect_b32 s3, s31, s9
	s_cselect_b32 s2, s30, s1
	s_xor_b64 s[4:5], s[4:5], 0
	s_xor_b64 s[2:3], s[2:3], s[4:5]
	s_sub_u32 s4, s2, s4
	s_cbranch_execnz .LBB42_11
.LBB42_10:
	s_sub_i32 s1, 0, s22
	v_readfirstlane_b32 s2, v7
	s_mul_i32 s1, s1, s2
	s_mul_hi_u32 s1, s2, s1
	s_add_i32 s2, s2, s1
	s_mul_hi_u32 s1, s8, s2
	s_mul_i32 s3, s1, s22
	s_sub_i32 s3, s8, s3
	s_add_i32 s2, s1, 1
	s_sub_i32 s4, s3, s22
	s_cmp_ge_u32 s3, s22
	s_cselect_b32 s1, s2, s1
	s_cselect_b32 s3, s4, s3
	s_add_i32 s2, s1, 1
	s_cmp_ge_u32 s3, s22
	s_cselect_b32 s4, s2, s1
.LBB42_11:
	s_cmp_lg_u32 s6, s4
	s_cbranch_scc0 .LBB42_15
; %bb.12:
	s_add_i32 s1, s24, s22
	s_lshl_b32 s1, s1, 4
	s_add_i32 s2, s1, s15
	s_mov_b32 s3, s0
	s_lshl_b64 s[2:3], s[2:3], 3
	s_add_u32 s8, s18, s2
	s_mul_hi_u32 s1, s4, s12
	s_addc_u32 s9, s19, s3
	s_add_i32 s1, s1, s4
	s_lshr_b32 s1, s1, s13
	s_mul_i32 s2, s1, s14
	s_cmp_eq_u32 s2, s4
	s_cselect_b64 s[2:3], -1, 0
	s_cmp_lt_u32 s1, s7
	s_cselect_b64 s[26:27], -1, 0
	s_or_b64 s[26:27], s[26:27], s[2:3]
	s_mov_b64 s[2:3], -1
	s_and_b64 vcc, exec, s[26:27]
	s_mov_b32 s1, s24
	s_mov_b32 s25, s6
	s_cbranch_vccnz .LBB42_14
; %bb.13:
	s_add_i32 s1, s24, -1
	s_mov_b64 s[2:3], 0
	s_mov_b32 s25, s4
.LBB42_14:
	v_lshl_add_u32 v4, s24, 10, v6
	v_ashrrev_i32_e32 v5, 31, v4
	v_lshl_add_u64 v[4:5], v[4:5], 2, s[16:17]
	global_load_dword v5, v[4:5], off
	s_load_dwordx2 s[4:5], s[8:9], 0x0
	v_max_f32_e32 v4, v9, v9
	s_waitcnt lgkmcnt(0)
	v_max_f32_e64 v10, s4, s4
	v_max_f32_e32 v10, v4, v10
	v_sub_f32_e32 v11, v9, v10
	v_sub_f32_e32 v13, s4, v10
	v_mul_f32_e32 v4, 0x3fb8aa3b, v11
	v_mul_f32_e32 v12, 0x3fb8aa3b, v13
	v_fma_f32 v14, v11, s10, -v4
	v_rndne_f32_e32 v15, v4
	v_fma_f32 v16, v13, s10, -v12
	v_rndne_f32_e32 v17, v12
	v_fmac_f32_e32 v14, 0x32a5705f, v11
	v_sub_f32_e32 v4, v4, v15
	v_fmac_f32_e32 v16, 0x32a5705f, v13
	v_sub_f32_e32 v12, v12, v17
	v_add_f32_e32 v4, v4, v14
	v_cvt_i32_f32_e32 v15, v15
	v_add_f32_e32 v12, v12, v16
	v_exp_f32_e32 v14, v4
	v_cvt_i32_f32_e32 v17, v17
	v_exp_f32_e32 v12, v12
	v_cmp_ngt_f32_e32 vcc, s20, v11
	v_ldexp_f32 v14, v14, v15
	v_mov_b32_e32 v4, s5
	v_ldexp_f32 v12, v12, v17
	v_cndmask_b32_e32 v14, 0, v14, vcc
	v_cmp_ngt_f32_e32 vcc, s20, v13
	s_nop 1
	v_cndmask_b32_e32 v12, 0, v12, vcc
	v_cmp_nlt_f32_e32 vcc, s21, v11
	s_nop 1
	v_cndmask_b32_e32 v14, v8, v14, vcc
	v_cmp_nlt_f32_e32 vcc, s21, v13
	s_nop 1
	v_cndmask_b32_e32 v15, v8, v12, vcc
	v_cmp_le_f32_e32 vcc, s23, v11
	s_nop 1
	v_cndmask_b32_e32 v12, 0, v14, vcc
	v_cmp_le_f32_e32 vcc, s23, v13
	s_nop 1
	v_cndmask_b32_e32 v14, 0, v15, vcc
	s_waitcnt vmcnt(0)
	v_pk_mul_f32 v[4:5], v[4:5], v[14:15] op_sel_hi:[1,0]
	s_nop 0
	v_pk_fma_f32 v[4:5], v[0:1], v[12:13], v[4:5] op_sel_hi:[1,0,1]
	s_cbranch_execz .LBB42_16
	s_branch .LBB42_17
.LBB42_15:
                                        ; implicit-def: $vgpr4_vgpr5
                                        ; implicit-def: $sgpr2_sgpr3
                                        ; implicit-def: $vgpr10
                                        ; implicit-def: $sgpr1
                                        ; implicit-def: $sgpr25
.LBB42_16:
	s_add_i32 s1, s24, -1
	s_mov_b64 s[2:3], 0
	s_mov_b32 s25, s6
	v_mov_b32_e32 v10, v9
	s_waitcnt vmcnt(0)
	v_mov_b64_e32 v[4:5], v[0:1]
.LBB42_17:
	s_andn2_b64 vcc, exec, s[2:3]
	s_cbranch_vccz .LBB42_22
; %bb.18:
	s_mov_b32 s6, s25
	s_mov_b32 s24, s1
	v_mov_b32_e32 v9, v10
	s_waitcnt vmcnt(0)
	v_mov_b64_e32 v[0:1], v[4:5]
	s_mul_hi_i32 s1, s24, s11
	s_cmp_lg_u64 s[0:1], 0
	s_mul_i32 s8, s24, s11
	s_cbranch_scc1 .LBB42_9
.LBB42_19:
                                        ; implicit-def: $sgpr4_sgpr5
	s_branch .LBB42_10
.LBB42_20:
                                        ; implicit-def: $sgpr6_sgpr7
	s_load_dwordx4 s[12:15], s[0:1], 0x44
	s_branch .LBB42_2
.LBB42_21:
                                        ; implicit-def: $sgpr18_sgpr19
	s_branch .LBB42_5
.LBB42_22:
	v_div_scale_f32 v0, s[0:1], v4, v4, v5
	s_waitcnt vmcnt(0)
	v_rcp_f32_e32 v1, v0
	v_div_scale_f32 v6, vcc, v5, v4, v5
	v_fma_f32 v7, -v0, v1, 1.0
	v_fmac_f32_e32 v1, v7, v1
	v_mul_f32_e32 v7, v6, v1
	v_fma_f32 v8, -v0, v7, v6
	v_fmac_f32_e32 v7, v8, v1
	v_fma_f32 v0, -v0, v7, v6
	v_div_fmas_f32 v0, v0, v1, v7
	v_div_fixup_f32 v0, v0, v4, v5
	global_store_dword v[2:3], v0, off
.LBB42_23:
	s_endpgm
	.section	.rodata,"a",@progbits
	.p2align	6, 0x0
	.amdhsa_kernel _ZL33flash_attn_stream_k_fixup_generalILi64ELi8ELi2EEvPfPK15HIP_vector_typeIfLj2EEiiiiS1_IjLj3EES5_S5_S5_
		.amdhsa_group_segment_fixed_size 0
		.amdhsa_private_segment_fixed_size 0
		.amdhsa_kernarg_size 336
		.amdhsa_user_sgpr_count 2
		.amdhsa_user_sgpr_dispatch_ptr 0
		.amdhsa_user_sgpr_queue_ptr 0
		.amdhsa_user_sgpr_kernarg_segment_ptr 1
		.amdhsa_user_sgpr_dispatch_id 0
		.amdhsa_user_sgpr_kernarg_preload_length 0
		.amdhsa_user_sgpr_kernarg_preload_offset 0
		.amdhsa_user_sgpr_private_segment_size 0
		.amdhsa_uses_dynamic_stack 0
		.amdhsa_enable_private_segment 0
		.amdhsa_system_sgpr_workgroup_id_x 1
		.amdhsa_system_sgpr_workgroup_id_y 1
		.amdhsa_system_sgpr_workgroup_id_z 1
		.amdhsa_system_sgpr_workgroup_info 0
		.amdhsa_system_vgpr_workitem_id 0
		.amdhsa_next_free_vgpr 18
		.amdhsa_next_free_sgpr 36
		.amdhsa_accum_offset 20
		.amdhsa_reserve_vcc 1
		.amdhsa_float_round_mode_32 0
		.amdhsa_float_round_mode_16_64 0
		.amdhsa_float_denorm_mode_32 3
		.amdhsa_float_denorm_mode_16_64 3
		.amdhsa_dx10_clamp 1
		.amdhsa_ieee_mode 1
		.amdhsa_fp16_overflow 0
		.amdhsa_tg_split 0
		.amdhsa_exception_fp_ieee_invalid_op 0
		.amdhsa_exception_fp_denorm_src 0
		.amdhsa_exception_fp_ieee_div_zero 0
		.amdhsa_exception_fp_ieee_overflow 0
		.amdhsa_exception_fp_ieee_underflow 0
		.amdhsa_exception_fp_ieee_inexact 0
		.amdhsa_exception_int_div_zero 0
	.end_amdhsa_kernel
	.section	.text._ZL33flash_attn_stream_k_fixup_generalILi64ELi8ELi2EEvPfPK15HIP_vector_typeIfLj2EEiiiiS1_IjLj3EES5_S5_S5_,"axG",@progbits,_ZL33flash_attn_stream_k_fixup_generalILi64ELi8ELi2EEvPfPK15HIP_vector_typeIfLj2EEiiiiS1_IjLj3EES5_S5_S5_,comdat
.Lfunc_end42:
	.size	_ZL33flash_attn_stream_k_fixup_generalILi64ELi8ELi2EEvPfPK15HIP_vector_typeIfLj2EEiiiiS1_IjLj3EES5_S5_S5_, .Lfunc_end42-_ZL33flash_attn_stream_k_fixup_generalILi64ELi8ELi2EEvPfPK15HIP_vector_typeIfLj2EEiiiiS1_IjLj3EES5_S5_S5_
                                        ; -- End function
	.set _ZL33flash_attn_stream_k_fixup_generalILi64ELi8ELi2EEvPfPK15HIP_vector_typeIfLj2EEiiiiS1_IjLj3EES5_S5_S5_.num_vgpr, 18
	.set _ZL33flash_attn_stream_k_fixup_generalILi64ELi8ELi2EEvPfPK15HIP_vector_typeIfLj2EEiiiiS1_IjLj3EES5_S5_S5_.num_agpr, 0
	.set _ZL33flash_attn_stream_k_fixup_generalILi64ELi8ELi2EEvPfPK15HIP_vector_typeIfLj2EEiiiiS1_IjLj3EES5_S5_S5_.numbered_sgpr, 36
	.set _ZL33flash_attn_stream_k_fixup_generalILi64ELi8ELi2EEvPfPK15HIP_vector_typeIfLj2EEiiiiS1_IjLj3EES5_S5_S5_.num_named_barrier, 0
	.set _ZL33flash_attn_stream_k_fixup_generalILi64ELi8ELi2EEvPfPK15HIP_vector_typeIfLj2EEiiiiS1_IjLj3EES5_S5_S5_.private_seg_size, 0
	.set _ZL33flash_attn_stream_k_fixup_generalILi64ELi8ELi2EEvPfPK15HIP_vector_typeIfLj2EEiiiiS1_IjLj3EES5_S5_S5_.uses_vcc, 1
	.set _ZL33flash_attn_stream_k_fixup_generalILi64ELi8ELi2EEvPfPK15HIP_vector_typeIfLj2EEiiiiS1_IjLj3EES5_S5_S5_.uses_flat_scratch, 0
	.set _ZL33flash_attn_stream_k_fixup_generalILi64ELi8ELi2EEvPfPK15HIP_vector_typeIfLj2EEiiiiS1_IjLj3EES5_S5_S5_.has_dyn_sized_stack, 0
	.set _ZL33flash_attn_stream_k_fixup_generalILi64ELi8ELi2EEvPfPK15HIP_vector_typeIfLj2EEiiiiS1_IjLj3EES5_S5_S5_.has_recursion, 0
	.set _ZL33flash_attn_stream_k_fixup_generalILi64ELi8ELi2EEvPfPK15HIP_vector_typeIfLj2EEiiiiS1_IjLj3EES5_S5_S5_.has_indirect_call, 0
	.section	.AMDGPU.csdata,"",@progbits
; Kernel info:
; codeLenInByte = 2940
; TotalNumSgprs: 42
; NumVgprs: 18
; NumAgprs: 0
; TotalNumVgprs: 18
; ScratchSize: 0
; MemoryBound: 0
; FloatMode: 240
; IeeeMode: 1
; LDSByteSize: 0 bytes/workgroup (compile time only)
; SGPRBlocks: 5
; VGPRBlocks: 2
; NumSGPRsForWavesPerEU: 42
; NumVGPRsForWavesPerEU: 18
; AccumOffset: 20
; Occupancy: 8
; WaveLimiterHint : 0
; COMPUTE_PGM_RSRC2:SCRATCH_EN: 0
; COMPUTE_PGM_RSRC2:USER_SGPR: 2
; COMPUTE_PGM_RSRC2:TRAP_HANDLER: 0
; COMPUTE_PGM_RSRC2:TGID_X_EN: 1
; COMPUTE_PGM_RSRC2:TGID_Y_EN: 1
; COMPUTE_PGM_RSRC2:TGID_Z_EN: 1
; COMPUTE_PGM_RSRC2:TIDIG_COMP_CNT: 0
; COMPUTE_PGM_RSRC3_GFX90A:ACCUM_OFFSET: 4
; COMPUTE_PGM_RSRC3_GFX90A:TG_SPLIT: 0
	.section	.text._ZL15flash_attn_tileILi64ELi64ELi4ELi2ELb0EEvPKcS1_S1_S1_S1_PKiPfP15HIP_vector_typeIfLj2EEffffjfiS5_IjLj3EEiiiiiiiiiiiliiliiiiil,"axG",@progbits,_ZL15flash_attn_tileILi64ELi64ELi4ELi2ELb0EEvPKcS1_S1_S1_S1_PKiPfP15HIP_vector_typeIfLj2EEffffjfiS5_IjLj3EEiiiiiiiiiiiliiliiiiil,comdat
	.globl	_ZL15flash_attn_tileILi64ELi64ELi4ELi2ELb0EEvPKcS1_S1_S1_S1_PKiPfP15HIP_vector_typeIfLj2EEffffjfiS5_IjLj3EEiiiiiiiiiiiliiliiiiil ; -- Begin function _ZL15flash_attn_tileILi64ELi64ELi4ELi2ELb0EEvPKcS1_S1_S1_S1_PKiPfP15HIP_vector_typeIfLj2EEffffjfiS5_IjLj3EEiiiiiiiiiiiliiliiiiil
	.p2align	8
	.type	_ZL15flash_attn_tileILi64ELi64ELi4ELi2ELb0EEvPKcS1_S1_S1_S1_PKiPfP15HIP_vector_typeIfLj2EEffffjfiS5_IjLj3EEiiiiiiiiiiiliiliiiiil,@function
_ZL15flash_attn_tileILi64ELi64ELi4ELi2ELb0EEvPKcS1_S1_S1_S1_PKiPfP15HIP_vector_typeIfLj2EEffffjfiS5_IjLj3EEiiiiiiiiiiiliiliiiiil: ; @_ZL15flash_attn_tileILi64ELi64ELi4ELi2ELb0EEvPKcS1_S1_S1_S1_PKiPfP15HIP_vector_typeIfLj2EEffffjfiS5_IjLj3EEiiiiiiiiiiiliiliiiiil
; %bb.0:
	s_load_dwordx4 s[20:23], s[0:1], 0x5c
	s_load_dwordx2 s[30:31], s[0:1], 0x80
	s_load_dwordx2 s[36:37], s[0:1], 0xb8
	s_mov_b64 s[34:35], 0
	s_waitcnt lgkmcnt(0)
	s_lshr_b32 s5, s23, 31
	s_add_i32 s5, s23, s5
	s_ashr_i32 s5, s5, 1
	v_cvt_f32_u32_e32 v1, s5
	s_sub_i32 s6, 0, s5
	v_rcp_iflag_f32_e32 v1, v1
	s_nop 0
	v_mul_f32_e32 v1, 0x4f7ffffe, v1
	v_cvt_u32_f32_e32 v1, v1
	s_nop 0
	v_readfirstlane_b32 s7, v1
	s_mul_i32 s6, s6, s7
	s_mul_hi_u32 s6, s7, s6
	s_add_i32 s7, s7, s6
	s_mul_hi_u32 s6, s4, s7
	s_mul_i32 s7, s6, s5
	s_sub_i32 s7, s4, s7
	s_add_i32 s8, s6, 1
	s_sub_i32 s9, s7, s5
	s_cmp_ge_u32 s7, s5
	s_cselect_b32 s6, s8, s6
	s_cselect_b32 s7, s9, s7
	s_add_i32 s8, s6, 1
	s_cmp_ge_u32 s7, s5
	s_cselect_b32 s33, s8, s6
	s_abs_i32 s5, s31
	v_cvt_f32_u32_e32 v1, s5
	s_lshl_b32 s4, s4, 1
	s_mul_i32 s8, s33, s23
	s_sub_i32 s9, 0, s5
	v_rcp_iflag_f32_e32 v1, v1
	s_sub_i32 s28, s4, s8
	s_abs_i32 s7, s23
	s_xor_b32 s6, s23, s31
	v_mul_f32_e32 v1, 0x4f7ffffe, v1
	v_cvt_u32_f32_e32 v1, v1
	s_ashr_i32 s6, s6, 31
	v_readfirstlane_b32 s4, v1
	s_mul_i32 s9, s9, s4
	s_mul_hi_u32 s8, s4, s9
	s_add_i32 s4, s4, s8
	s_mul_hi_u32 s4, s7, s4
	s_mul_i32 s8, s4, s5
	s_sub_i32 s7, s7, s8
	s_add_i32 s9, s4, 1
	s_sub_i32 s8, s7, s5
	s_cmp_ge_u32 s7, s5
	s_cselect_b32 s4, s9, s4
	s_cselect_b32 s7, s8, s7
	s_add_i32 s8, s4, 1
	s_cmp_ge_u32 s7, s5
	s_cselect_b32 s4, s8, s4
	s_xor_b32 s4, s4, s6
	s_sub_i32 s31, s4, s6
	s_abs_i32 s29, s31
	v_cvt_f32_u32_e32 v1, s29
	s_load_dwordx16 s[4:19], s[0:1], 0x0
	v_rcp_iflag_f32_e32 v1, v1
	s_waitcnt lgkmcnt(0)
	s_cmp_eq_u64 s[10:11], 0
	v_mul_f32_e32 v1, 0x4f7ffffe, v1
	v_cvt_u32_f32_e32 v1, v1
	s_nop 0
	v_readfirstlane_b32 s38, v1
	s_cbranch_scc1 .LBB43_2
; %bb.1:
	s_abs_i32 s26, s36
	v_cvt_f32_u32_e32 v1, s26
	s_sub_i32 s35, 0, s26
	s_abs_i32 s34, s33
	s_ashr_i32 s27, s33, 31
	v_rcp_iflag_f32_e32 v1, v1
	s_load_dwordx2 s[24:25], s[0:1], 0xc8
	v_mul_f32_e32 v1, 0x4f7ffffe, v1
	v_cvt_u32_f32_e32 v1, v1
	s_nop 0
	v_readfirstlane_b32 s36, v1
	s_mul_i32 s35, s35, s36
	s_mul_hi_u32 s35, s36, s35
	s_add_i32 s36, s36, s35
	s_mul_hi_u32 s35, s34, s36
	s_mul_i32 s35, s35, s26
	s_sub_i32 s34, s34, s35
	s_sub_i32 s35, s34, s26
	s_cmp_ge_u32 s34, s26
	s_cselect_b32 s34, s35, s34
	s_sub_i32 s35, s34, s26
	s_cmp_ge_u32 s34, s26
	s_cselect_b32 s26, s35, s34
	s_xor_b32 s26, s26, s27
	s_sub_i32 s26, s26, s27
	s_ashr_i32 s27, s26, 31
	s_waitcnt lgkmcnt(0)
	s_mul_hi_u32 s34, s24, s26
	s_mul_i32 s27, s24, s27
	s_mul_i32 s25, s25, s26
	s_add_i32 s27, s34, s27
	s_add_i32 s27, s27, s25
	s_mul_i32 s24, s24, s26
	s_add_u32 s34, s10, s24
	s_addc_u32 s35, s11, s27
.LBB43_2:
	s_load_dwordx4 s[24:27], s[0:1], 0x70
	v_bfe_u32 v1, v0, 10, 10
	v_lshl_add_u32 v9, s2, 2, v1
	v_mul_hi_u32 v2, s20, v9
	v_add_u32_e32 v2, v9, v2
	s_waitcnt lgkmcnt(0)
	s_mul_i32 s10, s33, s26
	s_ashr_i32 s26, s10, 31
	s_mul_i32 s11, s28, s25
	s_add_u32 s4, s4, s10
	s_addc_u32 s5, s5, s26
	s_ashr_i32 s10, s11, 31
	s_add_u32 s4, s4, s11
	v_lshrrev_b32_e32 v2, s21, v2
	s_addc_u32 s5, s5, s10
	v_mul_lo_u32 v2, v2, s22
	s_ashr_i32 s21, s24, 31
	s_mov_b32 s20, s24
	v_sub_u32_e32 v2, v9, v2
	s_lshr_b64 s[26:27], s[20:21], 2
	v_mad_u64_u32 v[4:5], s[26:27], s26, v2, 0
	v_mov_b32_e32 v6, v5
	s_lshr_b32 s10, s21, 2
	v_mad_u64_u32 v[6:7], s[20:21], s10, v2, v[6:7]
	v_mov_b32_e32 v5, v6
	v_and_b32_e32 v8, 0x3ff, v0
	v_lshl_add_u64 v[4:5], v[4:5], 2, s[4:5]
	v_lshlrev_b32_e32 v6, 3, v8
	v_mov_b32_e32 v7, 0
	s_ashr_i32 s11, s25, 31
	v_lshl_add_u64 v[4:5], v[4:5], 0, v[6:7]
	s_and_b32 s10, s25, -4
	global_load_dwordx2 v[6:7], v[4:5], off
	v_lshl_add_u64 v[4:5], v[4:5], 0, s[10:11]
	global_load_dwordx2 v[4:5], v[4:5], off
	s_load_dword s4, s[0:1], 0x40
	v_mov_b32_e32 v0, 0x1200
	v_lshl_add_u32 v27, v1, 8, v0
	v_lshl_add_u32 v0, v8, 2, v27
	s_cmp_eq_u64 s[14:15], 0
	s_waitcnt vmcnt(1) lgkmcnt(0)
	v_fma_mixlo_f16 v3, s4, v6, 0
	v_fma_mixlo_f16 v6, s4, v7, 0
	s_waitcnt vmcnt(0)
	v_fma_mixlo_f16 v5, s4, v5, 0
	v_lshlrev_b32_e32 v6, 16, v6
	v_fma_mixlo_f16 v4, s4, v4, 0
	v_lshlrev_b32_e32 v5, 16, v5
	v_or_b32_sdwa v3, v6, v3 dst_sel:DWORD dst_unused:UNUSED_PAD src0_sel:DWORD src1_sel:WORD_0
	v_or_b32_sdwa v4, v5, v4 dst_sel:DWORD dst_unused:UNUSED_PAD src0_sel:DWORD src1_sel:WORD_0
	ds_write2_b32 v0, v3, v4 offset1:32
	s_waitcnt lgkmcnt(0)
	s_barrier
	s_cbranch_scc1 .LBB43_4
; %bb.3:
	s_load_dword s4, s[0:1], 0xd0
	s_mov_b32 s5, 0
	s_waitcnt lgkmcnt(0)
	s_mul_i32 s4, s4, s33
	s_add_i32 s4, s4, s2
	s_lshl_b64 s[4:5], s[4:5], 2
	s_add_u32 s4, s14, s4
	s_addc_u32 s5, s15, s5
	s_load_dword s30, s[4:5], 0x0
.LBB43_4:
	s_lshl_b32 s2, s3, 5
	s_waitcnt lgkmcnt(0)
	s_cmp_lt_i32 s2, s30
	v_mbcnt_lo_u32_b32 v0, -1, 0
	s_cbranch_scc1 .LBB43_7
; %bb.5:
	v_mbcnt_hi_u32_b32 v28, -1, v0
	v_and_b32_e32 v3, 0x60, v28
	v_add_u32_e32 v29, 32, v3
	v_xor_b32_e32 v34, 16, v28
	v_xor_b32_e32 v33, 8, v28
	v_xor_b32_e32 v32, 4, v28
	v_xor_b32_e32 v31, 2, v28
	v_xor_b32_e32 v30, 1, v28
	s_cbranch_execz .LBB43_8
; %bb.6:
	v_mov_b32_e32 v11, 0
	v_mov_b32_e32 v25, 0xfeffffff
	;; [unrolled: 1-line block ×6, first 2 shown]
	s_branch .LBB43_10
.LBB43_7:
                                        ; implicit-def: $vgpr28
                                        ; implicit-def: $vgpr29
                                        ; implicit-def: $vgpr34
                                        ; implicit-def: $vgpr33
                                        ; implicit-def: $vgpr32
                                        ; implicit-def: $vgpr31
                                        ; implicit-def: $vgpr30
.LBB43_8:
	s_sub_i32 s4, 0, s29
	s_mul_i32 s4, s4, s38
	s_mul_hi_u32 s4, s38, s4
	s_add_i32 s38, s38, s4
	s_load_dwordx2 s[4:5], s[0:1], 0x8c
	s_load_dwordx4 s[24:27], s[0:1], 0x98
	s_abs_i32 s20, s28
	s_mul_hi_u32 s21, s20, s38
	s_ashr_i32 s36, s28, 31
	s_waitcnt lgkmcnt(0)
	s_ashr_i32 s15, s4, 2
	s_ashr_i32 s4, s33, 31
	;; [unrolled: 1-line block ×4, first 2 shown]
	s_mul_hi_u32 s37, s24, s33
	s_mul_i32 s38, s24, s4
	s_add_i32 s37, s37, s38
	s_mul_i32 s25, s25, s33
	s_ashr_i32 s31, s31, 31
	s_add_i32 s37, s37, s25
	s_mul_i32 s24, s24, s33
	s_add_u32 s6, s6, s24
	s_mul_i32 s25, s21, s29
	s_addc_u32 s7, s7, s37
	s_sub_i32 s20, s20, s25
	s_xor_b32 s24, s36, s31
	s_add_i32 s25, s21, 1
	s_sub_i32 s31, s20, s29
	s_cmp_ge_u32 s20, s29
	s_cselect_b32 s21, s25, s21
	s_cselect_b32 s20, s31, s20
	s_add_i32 s25, s21, 1
	s_cmp_ge_u32 s20, s29
	s_load_dwordx2 s[10:11], s[0:1], 0xa8
	s_cselect_b32 s20, s25, s21
	s_xor_b32 s20, s20, s24
	s_sub_i32 s24, s20, s24
	s_mul_i32 s5, s24, s5
	s_ashr_i32 s21, s5, 31
	s_add_u32 s20, s6, s5
	s_waitcnt lgkmcnt(0)
	s_mul_hi_u32 s5, s10, s33
	s_mul_i32 s4, s10, s4
	s_addc_u32 s21, s7, s21
	s_add_i32 s4, s5, s4
	s_mul_i32 s5, s11, s33
	s_add_i32 s4, s4, s5
	s_mul_i32 s5, s10, s33
	s_add_u32 s5, s8, s5
	s_mul_i32 s24, s24, s27
	s_addc_u32 s4, s9, s4
	s_ashr_i32 s6, s24, 31
	v_lshlrev_b32_e32 v35, 2, v8
	s_add_u32 s24, s5, s24
	v_lshrrev_b32_e32 v3, 3, v8
	v_and_b32_e32 v4, 28, v35
	s_addc_u32 s25, s4, s6
	v_lshl_add_u32 v3, v1, 2, v3
	v_lshlrev_b32_e32 v5, 2, v4
	s_movk_i32 s4, 0x90
	v_mad_u32_u24 v36, v3, s4, v5
	v_mul_lo_u32 v14, s15, v3
	v_mad_u64_u32 v[18:19], s[4:5], v2, s26, v[8:9]
	v_mov_b32_e32 v2, 0x1600
	v_mul_lo_u32 v20, s14, v3
	v_mbcnt_hi_u32_b32 v28, -1, v0
	v_mov_b32_e32 v13, 0
	v_lshl_add_u32 v16, s15, 4, v14
	v_lshl_add_u32 v39, v1, 7, v2
	v_lshl_or_b32 v40, v3, 7, v5
	v_lshl_add_u32 v22, s14, 4, v20
	s_add_u32 s10, s0, 0xd0
	v_mov_b32_e32 v24, 0xfeffffff
	v_and_b32_e32 v0, 0x60, v28
	v_ashrrev_i32_e32 v15, 31, v14
	v_add_u32_e32 v37, 0x900, v36
	v_ashrrev_i32_e32 v17, 31, v16
	v_mul_u32_u24_e32 v38, 0x90, v8
	v_ashrrev_i32_e32 v21, 31, v20
	v_add_u32_e32 v41, 0x800, v40
	v_ashrrev_i32_e32 v23, 31, v22
	s_addc_u32 s11, s1, 0
	v_lshlrev_b32_e32 v12, 2, v4
	v_add_u32_e32 v29, 32, v0
	v_xor_b32_e32 v34, 16, v28
	v_xor_b32_e32 v33, 8, v28
	;; [unrolled: 1-line block ×5, first 2 shown]
	s_mov_b32 s26, 0x3fb8aa3b
	s_mov_b32 s27, 0xc2ce8ed0
	;; [unrolled: 1-line block ×3, first 2 shown]
	v_mov_b32_e32 v42, 0x7f800000
	s_mov_b32 s31, 0x10001
	v_add_u32_e32 v43, v39, v35
	v_add_u32_e32 v44, 0x400, v35
	;; [unrolled: 1-line block ×4, first 2 shown]
	v_mov_b32_e32 v19, v13
	v_mov_b32_e32 v26, v13
	;; [unrolled: 1-line block ×5, first 2 shown]
.LBB43_9:                               ; =>This Inner Loop Header: Depth=1
	s_mul_hi_i32 s5, s2, s15
	s_mul_i32 s4, s2, s15
	v_cmp_lt_i32_e32 vcc, v34, v29
	s_lshl_b64 s[4:5], s[4:5], 2
	v_add_u32_e32 v0, s2, v18
	v_cndmask_b32_e32 v2, v28, v34, vcc
	v_cmp_lt_i32_e32 vcc, v33, v29
	s_add_u32 s4, s20, s4
	v_ashrrev_i32_e32 v1, 31, v0
	v_cndmask_b32_e32 v3, v28, v33, vcc
	v_cmp_lt_i32_e32 vcc, v32, v29
	s_addc_u32 s5, s21, s5
	v_lshl_add_u64 v[54:55], v[0:1], 1, s[34:35]
	v_cndmask_b32_e32 v4, v28, v32, vcc
	v_cmp_lt_i32_e32 vcc, v31, v29
	v_lshl_add_u64 v[0:1], v[14:15], 2, s[4:5]
	v_lshlrev_b32_e32 v61, 2, v2
	v_cndmask_b32_e32 v5, v28, v31, vcc
	v_cmp_lt_i32_e32 vcc, v30, v29
	v_lshlrev_b32_e32 v62, 2, v3
	v_lshl_add_u64 v[2:3], v[16:17], 2, s[4:5]
	v_cndmask_b32_e32 v6, v28, v30, vcc
	v_lshl_add_u64 v[50:51], v[0:1], 0, v[12:13]
	v_lshlrev_b32_e32 v63, 2, v4
	v_lshlrev_b32_e32 v64, 2, v5
	;; [unrolled: 1-line block ×3, first 2 shown]
	v_lshl_add_u64 v[52:53], v[2:3], 0, v[12:13]
	global_load_dwordx4 v[0:3], v[50:51], off
	global_load_dwordx4 v[4:7], v[52:53], off
	s_mul_hi_i32 s7, s2, s14
	s_mul_i32 s6, s2, s14
	s_lshl_b64 s[6:7], s[6:7], 2
	s_add_u32 s4, s24, s6
	s_addc_u32 s5, s25, s7
	v_lshl_add_u64 v[50:51], v[20:21], 2, s[4:5]
	v_lshl_add_u64 v[52:53], v[22:23], 2, s[4:5]
	;; [unrolled: 1-line block ×4, first 2 shown]
	v_mov_b32_e32 v48, v24
	v_mov_b32_e32 v24, 0
	v_mov_b32_e32 v47, v25
	v_mov_b32_e32 v25, 0
	v_max_f32_e32 v49, v48, v48
	v_max_f32_e32 v60, v47, v47
	s_waitcnt vmcnt(1)
	ds_write_b128 v36, v[0:3]
	s_waitcnt vmcnt(0)
	ds_write_b128 v37, v[4:7]
	s_waitcnt lgkmcnt(0)
	s_barrier
	ds_read_b128 v[0:3], v38
	ds_read_b128 v[4:7], v27
	ds_read_b128 v[50:53], v27 offset:128
	s_waitcnt lgkmcnt(1)
	;;#ASMSTART
	v_dot2_f32_f16 v24, v0, v4, v24
	;;#ASMEND
	s_nop 0
	;;#ASMSTART
	v_dot2_f32_f16 v24, v1, v5, v24
	;;#ASMEND
	s_nop 0
	;;#ASMSTART
	v_dot2_f32_f16 v24, v2, v6, v24
	;;#ASMEND
	s_nop 0
	;;#ASMSTART
	v_dot2_f32_f16 v24, v3, v7, v24
	;;#ASMEND
	s_waitcnt lgkmcnt(0)
	;;#ASMSTART
	v_dot2_f32_f16 v25, v0, v50, v25
	;;#ASMEND
	s_nop 0
	;;#ASMSTART
	v_dot2_f32_f16 v25, v1, v51, v25
	;;#ASMEND
	s_nop 0
	;;#ASMSTART
	v_dot2_f32_f16 v25, v2, v52, v25
	;;#ASMEND
	s_nop 0
	;;#ASMSTART
	v_dot2_f32_f16 v25, v3, v53, v25
	;;#ASMEND
	ds_read_b128 v[0:3], v38 offset:16
	ds_read_b128 v[4:7], v27 offset:16
	ds_read_b128 v[50:53], v27 offset:144
	s_waitcnt lgkmcnt(1)
	;;#ASMSTART
	v_dot2_f32_f16 v24, v0, v4, v24
	;;#ASMEND
	s_nop 0
	;;#ASMSTART
	v_dot2_f32_f16 v24, v1, v5, v24
	;;#ASMEND
	s_nop 0
	;;#ASMSTART
	v_dot2_f32_f16 v24, v2, v6, v24
	;;#ASMEND
	s_nop 0
	;;#ASMSTART
	v_dot2_f32_f16 v24, v3, v7, v24
	;;#ASMEND
	s_waitcnt lgkmcnt(0)
	;;#ASMSTART
	v_dot2_f32_f16 v25, v0, v50, v25
	;;#ASMEND
	s_nop 0
	;;#ASMSTART
	v_dot2_f32_f16 v25, v1, v51, v25
	;;#ASMEND
	s_nop 0
	;;#ASMSTART
	v_dot2_f32_f16 v25, v2, v52, v25
	;;#ASMEND
	s_nop 0
	;;#ASMSTART
	v_dot2_f32_f16 v25, v3, v53, v25
	;;#ASMEND
	ds_read_b128 v[0:3], v38 offset:32
	ds_read_b128 v[4:7], v27 offset:32
	;; [unrolled: 35-line block ×7, first 2 shown]
	ds_read_b128 v[50:53], v27 offset:240
	s_waitcnt lgkmcnt(1)
	;;#ASMSTART
	v_dot2_f32_f16 v24, v0, v4, v24
	;;#ASMEND
	s_nop 0
	;;#ASMSTART
	v_dot2_f32_f16 v24, v1, v5, v24
	;;#ASMEND
	s_nop 0
	;; [unrolled: 4-line block ×3, first 2 shown]
	;;#ASMSTART
	v_dot2_f32_f16 v24, v3, v7, v24
	;;#ASMEND
	s_waitcnt lgkmcnt(0)
	;;#ASMSTART
	v_dot2_f32_f16 v25, v0, v50, v25
	;;#ASMEND
	s_nop 0
	;;#ASMSTART
	v_dot2_f32_f16 v25, v1, v51, v25
	;;#ASMEND
	s_nop 0
	;; [unrolled: 4-line block ×3, first 2 shown]
	;;#ASMSTART
	v_dot2_f32_f16 v25, v3, v53, v25
	;;#ASMEND
	global_load_ushort v50, v[54:55], off
	s_barrier
	global_load_dwordx4 v[0:3], v[56:57], off
	global_load_dwordx4 v[4:7], v[58:59], off
	s_waitcnt vmcnt(2)
	v_cvt_f32_f16_e32 v50, v50
	v_add_f32_e32 v51, v24, v50
	v_add_f32_e32 v50, v25, v50
	;; [unrolled: 1-line block ×4, first 2 shown]
	v_max_f32_e32 v24, v49, v24
	v_max_f32_e32 v25, v60, v25
	ds_bpermute_b32 v49, v61, v24
	ds_bpermute_b32 v52, v61, v25
	s_waitcnt lgkmcnt(1)
	v_max_f32_e32 v49, v49, v49
	s_waitcnt lgkmcnt(0)
	v_max_f32_e32 v52, v52, v52
	v_max_f32_e32 v24, v24, v49
	v_max_f32_e32 v25, v25, v52
	ds_bpermute_b32 v49, v62, v24
	ds_bpermute_b32 v52, v62, v25
	s_waitcnt lgkmcnt(1)
	v_max_f32_e32 v49, v49, v49
	s_waitcnt lgkmcnt(0)
	v_max_f32_e32 v52, v52, v52
	;; [unrolled: 8-line block ×5, first 2 shown]
	v_max_f32_e32 v24, v24, v49
	v_max_f32_e32 v25, v25, v52
	v_sub_f32_e32 v49, v51, v24
	v_sub_f32_e32 v50, v50, v25
	;; [unrolled: 1-line block ×4, first 2 shown]
	v_mul_f32_e32 v51, 0x3fb8aa3b, v49
	v_mul_f32_e32 v52, 0x3fb8aa3b, v50
	;; [unrolled: 1-line block ×4, first 2 shown]
	v_fma_f32 v55, v49, s26, -v51
	v_rndne_f32_e32 v56, v51
	v_fma_f32 v57, v50, s26, -v52
	v_rndne_f32_e32 v58, v52
	v_fma_f32 v59, v48, s26, -v53
	v_fma_f32 v60, v47, s26, -v54
	v_rndne_f32_e32 v61, v53
	v_rndne_f32_e32 v62, v54
	v_fmac_f32_e32 v55, 0x32a5705f, v49
	v_sub_f32_e32 v51, v51, v56
	v_fmac_f32_e32 v57, 0x32a5705f, v50
	v_sub_f32_e32 v52, v52, v58
	v_fmac_f32_e32 v59, 0x32a5705f, v48
	v_fmac_f32_e32 v60, 0x32a5705f, v47
	v_sub_f32_e32 v53, v53, v61
	v_sub_f32_e32 v54, v54, v62
	v_add_f32_e32 v51, v51, v55
	v_add_f32_e32 v52, v52, v57
	;; [unrolled: 1-line block ×4, first 2 shown]
	v_cvt_i32_f32_e32 v56, v56
	v_cvt_i32_f32_e32 v58, v58
	;; [unrolled: 1-line block ×4, first 2 shown]
	v_exp_f32_e32 v51, v51
	v_exp_f32_e32 v52, v52
	;; [unrolled: 1-line block ×4, first 2 shown]
	v_ldexp_f32 v51, v51, v56
	v_cmp_ngt_f32_e32 vcc, s27, v49
	v_ldexp_f32 v52, v52, v58
	v_ldexp_f32 v53, v53, v61
	v_cmp_ngt_f32_e64 s[4:5], s27, v48
	v_ldexp_f32 v54, v54, v62
	v_cmp_ngt_f32_e64 s[6:7], s27, v47
	v_cmp_ngt_f32_e64 s[8:9], s27, v50
	s_nop 1
	v_cndmask_b32_e64 v52, 0, v52, s[8:9]
	v_cmp_nlt_f32_e64 s[8:9], s29, v50
	v_cndmask_b32_e32 v50, 0, v51, vcc
	v_cndmask_b32_e64 v51, 0, v53, s[4:5]
	v_cmp_nlt_f32_e32 vcc, s29, v48
	v_cndmask_b32_e64 v53, 0, v54, s[6:7]
	v_cmp_nlt_f32_e64 s[4:5], s29, v47
	v_cmp_nlt_f32_e64 s[6:7], s29, v49
	v_cndmask_b32_e64 v49, v42, v52, s[8:9]
	s_nop 0
	v_cndmask_b32_e64 v48, v42, v50, s[6:7]
	v_cndmask_b32_e32 v50, v42, v51, vcc
	v_cndmask_b32_e64 v51, v42, v53, s[4:5]
	v_cvt_f16_f32_e32 v88, v50
	v_cvt_f16_f32_e32 v89, v51
	v_cvt_pk_f16_f32 v47, v48, v49
	v_pk_fma_f32 v[10:11], v[10:11], v[50:51], v[48:49]
	ds_write_b32 v43, v47
	s_waitcnt vmcnt(1)
	ds_write_b128 v40, v[0:3]
	s_waitcnt vmcnt(0)
	ds_write_b128 v41, v[4:7]
	s_waitcnt lgkmcnt(0)
	s_barrier
	ds_read_b128 v[0:3], v39
	ds_read_b128 v[4:7], v39 offset:16
	ds_read_b128 v[48:51], v39 offset:32
	;; [unrolled: 1-line block ×7, first 2 shown]
	ds_read2_b32 v[72:73], v35 offset1:32
	ds_read2_b32 v[74:75], v35 offset0:64 offset1:96
	ds_read2_b32 v[76:77], v35 offset0:128 offset1:160
	;; [unrolled: 1-line block ×3, first 2 shown]
	ds_read2_b32 v[80:81], v44 offset1:32
	ds_read2_b32 v[82:83], v44 offset0:64 offset1:96
	ds_read2_b32 v[84:85], v44 offset0:128 offset1:160
	;; [unrolled: 1-line block ×3, first 2 shown]
	s_waitcnt lgkmcnt(14)
	v_mul_u32_u24_sdwa v47, v0, s31 dst_sel:DWORD dst_unused:UNUSED_PAD src0_sel:WORD_0 src1_sel:DWORD
	v_mul_u32_u24_sdwa v90, v0, s31 dst_sel:DWORD dst_unused:UNUSED_PAD src0_sel:WORD_1 src1_sel:DWORD
	v_mul_u32_u24_sdwa v97, v4, s31 dst_sel:DWORD dst_unused:UNUSED_PAD src0_sel:WORD_0 src1_sel:DWORD
	v_mul_u32_u24_sdwa v98, v4, s31 dst_sel:DWORD dst_unused:UNUSED_PAD src0_sel:WORD_1 src1_sel:DWORD
	;; [unrolled: 2-line block ×5, first 2 shown]
	v_mul_u32_u24_e32 v4, 0x10001, v88
	s_waitcnt lgkmcnt(7)
	v_pk_mul_f16 v5, v72, v47
	v_mul_u32_u24_e32 v6, 0x10001, v89
	v_pk_mul_f16 v7, v72, v90
	v_mul_u32_u24_sdwa v91, v1, s31 dst_sel:DWORD dst_unused:UNUSED_PAD src0_sel:WORD_0 src1_sel:DWORD
	v_mul_u32_u24_sdwa v92, v1, s31 dst_sel:DWORD dst_unused:UNUSED_PAD src0_sel:WORD_1 src1_sel:DWORD
	v_pk_fma_f16 v26, v26, v4, v5
	v_pk_fma_f16 v19, v19, v6, v7
	v_mul_u32_u24_sdwa v93, v2, s31 dst_sel:DWORD dst_unused:UNUSED_PAD src0_sel:WORD_0 src1_sel:DWORD
	v_mul_u32_u24_sdwa v94, v2, s31 dst_sel:DWORD dst_unused:UNUSED_PAD src0_sel:WORD_1 src1_sel:DWORD
	v_pk_fma_f16 v26, v73, v91, v26
	v_pk_fma_f16 v19, v73, v92, v19
	v_mul_u32_u24_sdwa v95, v3, s31 dst_sel:DWORD dst_unused:UNUSED_PAD src0_sel:WORD_0 src1_sel:DWORD
	v_mul_u32_u24_sdwa v96, v3, s31 dst_sel:DWORD dst_unused:UNUSED_PAD src0_sel:WORD_1 src1_sel:DWORD
	s_waitcnt lgkmcnt(6)
	v_pk_fma_f16 v26, v74, v93, v26
	v_pk_fma_f16 v19, v74, v94, v19
	;; [unrolled: 1-line block ×4, first 2 shown]
	s_waitcnt lgkmcnt(5)
	v_pk_fma_f16 v26, v76, v97, v26
	v_pk_fma_f16 v19, v76, v98, v19
	;; [unrolled: 1-line block ×4, first 2 shown]
	s_waitcnt lgkmcnt(4)
	v_pk_fma_f16 v26, v78, v101, v26
	v_pk_fma_f16 v19, v78, v102, v19
	v_mul_u32_u24_sdwa v105, v48, s31 dst_sel:DWORD dst_unused:UNUSED_PAD src0_sel:WORD_0 src1_sel:DWORD
	v_mul_u32_u24_sdwa v106, v48, s31 dst_sel:DWORD dst_unused:UNUSED_PAD src0_sel:WORD_1 src1_sel:DWORD
	v_pk_fma_f16 v26, v79, v103, v26
	v_pk_fma_f16 v19, v79, v104, v19
	v_mul_u32_u24_sdwa v107, v49, s31 dst_sel:DWORD dst_unused:UNUSED_PAD src0_sel:WORD_0 src1_sel:DWORD
	v_mul_u32_u24_sdwa v108, v49, s31 dst_sel:DWORD dst_unused:UNUSED_PAD src0_sel:WORD_1 src1_sel:DWORD
	s_waitcnt lgkmcnt(3)
	v_pk_fma_f16 v26, v80, v105, v26
	v_pk_fma_f16 v19, v80, v106, v19
	v_mul_u32_u24_sdwa v109, v50, s31 dst_sel:DWORD dst_unused:UNUSED_PAD src0_sel:WORD_0 src1_sel:DWORD
	v_mul_u32_u24_sdwa v110, v50, s31 dst_sel:DWORD dst_unused:UNUSED_PAD src0_sel:WORD_1 src1_sel:DWORD
	v_pk_fma_f16 v26, v81, v107, v26
	v_pk_fma_f16 v19, v81, v108, v19
	v_mul_u32_u24_sdwa v111, v51, s31 dst_sel:DWORD dst_unused:UNUSED_PAD src0_sel:WORD_0 src1_sel:DWORD
	v_mul_u32_u24_sdwa v112, v51, s31 dst_sel:DWORD dst_unused:UNUSED_PAD src0_sel:WORD_1 src1_sel:DWORD
	;; [unrolled: 9-line block ×3, first 2 shown]
	ds_read2_b32 v[0:1], v45 offset1:32
	ds_read2_b32 v[2:3], v45 offset0:64 offset1:96
	s_waitcnt lgkmcnt(3)
	v_pk_fma_f16 v26, v84, v113, v26
	v_pk_fma_f16 v19, v84, v114, v19
	v_mul_u32_u24_sdwa v117, v54, s31 dst_sel:DWORD dst_unused:UNUSED_PAD src0_sel:WORD_0 src1_sel:DWORD
	v_mul_u32_u24_sdwa v118, v54, s31 dst_sel:DWORD dst_unused:UNUSED_PAD src0_sel:WORD_1 src1_sel:DWORD
	v_pk_fma_f16 v26, v85, v115, v26
	v_pk_fma_f16 v19, v85, v116, v19
	v_mul_u32_u24_sdwa v119, v55, s31 dst_sel:DWORD dst_unused:UNUSED_PAD src0_sel:WORD_0 src1_sel:DWORD
	v_mul_u32_u24_sdwa v120, v55, s31 dst_sel:DWORD dst_unused:UNUSED_PAD src0_sel:WORD_1 src1_sel:DWORD
	s_waitcnt lgkmcnt(2)
	v_pk_fma_f16 v26, v86, v117, v26
	v_pk_fma_f16 v19, v86, v118, v19
	v_mul_u32_u24_sdwa v121, v56, s31 dst_sel:DWORD dst_unused:UNUSED_PAD src0_sel:WORD_0 src1_sel:DWORD
	v_mul_u32_u24_sdwa v56, v56, s31 dst_sel:DWORD dst_unused:UNUSED_PAD src0_sel:WORD_1 src1_sel:DWORD
	ds_read2_b32 v[4:5], v45 offset0:128 offset1:160
	v_pk_fma_f16 v26, v87, v119, v26
	v_pk_fma_f16 v19, v87, v120, v19
	v_mul_u32_u24_sdwa v122, v57, s31 dst_sel:DWORD dst_unused:UNUSED_PAD src0_sel:WORD_0 src1_sel:DWORD
	v_mul_u32_u24_sdwa v57, v57, s31 dst_sel:DWORD dst_unused:UNUSED_PAD src0_sel:WORD_1 src1_sel:DWORD
	s_waitcnt lgkmcnt(2)
	v_pk_fma_f16 v26, v0, v121, v26
	v_pk_fma_f16 v0, v0, v56, v19
	v_mul_u32_u24_sdwa v123, v58, s31 dst_sel:DWORD dst_unused:UNUSED_PAD src0_sel:WORD_0 src1_sel:DWORD
	v_mul_u32_u24_sdwa v58, v58, s31 dst_sel:DWORD dst_unused:UNUSED_PAD src0_sel:WORD_1 src1_sel:DWORD
	ds_read2_b32 v[6:7], v45 offset0:192 offset1:224
	v_pk_fma_f16 v19, v1, v122, v26
	v_pk_fma_f16 v0, v1, v57, v0
	v_mul_u32_u24_sdwa v124, v59, s31 dst_sel:DWORD dst_unused:UNUSED_PAD src0_sel:WORD_0 src1_sel:DWORD
	v_mul_u32_u24_sdwa v59, v59, s31 dst_sel:DWORD dst_unused:UNUSED_PAD src0_sel:WORD_1 src1_sel:DWORD
	s_waitcnt lgkmcnt(2)
	v_pk_fma_f16 v1, v2, v123, v19
	v_pk_fma_f16 v0, v2, v58, v0
	v_mul_u32_u24_sdwa v125, v60, s31 dst_sel:DWORD dst_unused:UNUSED_PAD src0_sel:WORD_0 src1_sel:DWORD
	v_mul_u32_u24_sdwa v60, v60, s31 dst_sel:DWORD dst_unused:UNUSED_PAD src0_sel:WORD_1 src1_sel:DWORD
	v_pk_fma_f16 v1, v3, v124, v1
	v_pk_fma_f16 v0, v3, v59, v0
	v_mul_u32_u24_sdwa v126, v61, s31 dst_sel:DWORD dst_unused:UNUSED_PAD src0_sel:WORD_0 src1_sel:DWORD
	v_mul_u32_u24_sdwa v61, v61, s31 dst_sel:DWORD dst_unused:UNUSED_PAD src0_sel:WORD_1 src1_sel:DWORD
	ds_read2_b32 v[48:49], v46 offset1:32
	ds_read2_b32 v[50:51], v46 offset0:64 offset1:96
	s_waitcnt lgkmcnt(3)
	v_pk_fma_f16 v1, v4, v125, v1
	v_pk_fma_f16 v0, v4, v60, v0
	v_mul_u32_u24_sdwa v127, v62, s31 dst_sel:DWORD dst_unused:UNUSED_PAD src0_sel:WORD_0 src1_sel:DWORD
	v_mul_u32_u24_sdwa v62, v62, s31 dst_sel:DWORD dst_unused:UNUSED_PAD src0_sel:WORD_1 src1_sel:DWORD
	v_pk_fma_f16 v1, v5, v126, v1
	v_pk_fma_f16 v0, v5, v61, v0
	v_mul_u32_u24_sdwa v128, v63, s31 dst_sel:DWORD dst_unused:UNUSED_PAD src0_sel:WORD_0 src1_sel:DWORD
	v_mul_u32_u24_sdwa v63, v63, s31 dst_sel:DWORD dst_unused:UNUSED_PAD src0_sel:WORD_1 src1_sel:DWORD
	s_waitcnt lgkmcnt(2)
	v_pk_fma_f16 v1, v6, v127, v1
	v_pk_fma_f16 v0, v6, v62, v0
	v_mul_u32_u24_sdwa v129, v64, s31 dst_sel:DWORD dst_unused:UNUSED_PAD src0_sel:WORD_0 src1_sel:DWORD
	v_mul_u32_u24_sdwa v64, v64, s31 dst_sel:DWORD dst_unused:UNUSED_PAD src0_sel:WORD_1 src1_sel:DWORD
	ds_read2_b32 v[52:53], v46 offset0:128 offset1:160
	v_pk_fma_f16 v1, v7, v128, v1
	v_pk_fma_f16 v0, v7, v63, v0
	v_mul_u32_u24_sdwa v130, v65, s31 dst_sel:DWORD dst_unused:UNUSED_PAD src0_sel:WORD_0 src1_sel:DWORD
	v_mul_u32_u24_sdwa v65, v65, s31 dst_sel:DWORD dst_unused:UNUSED_PAD src0_sel:WORD_1 src1_sel:DWORD
	ds_read2_b32 v[54:55], v46 offset0:192 offset1:224
	s_waitcnt lgkmcnt(0)
	s_barrier
	s_load_dword s4, s[10:11], 0x4
	v_pk_fma_f16 v1, v48, v129, v1
	v_pk_fma_f16 v0, v48, v64, v0
	v_mul_u32_u24_sdwa v131, v66, s31 dst_sel:DWORD dst_unused:UNUSED_PAD src0_sel:WORD_0 src1_sel:DWORD
	v_mul_u32_u24_sdwa v66, v66, s31 dst_sel:DWORD dst_unused:UNUSED_PAD src0_sel:WORD_1 src1_sel:DWORD
	v_pk_fma_f16 v1, v49, v130, v1
	v_pk_fma_f16 v0, v49, v65, v0
	v_mul_u32_u24_sdwa v132, v67, s31 dst_sel:DWORD dst_unused:UNUSED_PAD src0_sel:WORD_0 src1_sel:DWORD
	v_mul_u32_u24_sdwa v67, v67, s31 dst_sel:DWORD dst_unused:UNUSED_PAD src0_sel:WORD_1 src1_sel:DWORD
	;; [unrolled: 4-line block ×5, first 2 shown]
	s_waitcnt lgkmcnt(0)
	s_lshl_b32 s4, s4, 5
	v_pk_fma_f16 v1, v53, v134, v1
	v_pk_fma_f16 v0, v53, v69, v0
	v_mul_u32_u24_sdwa v136, v71, s31 dst_sel:DWORD dst_unused:UNUSED_PAD src0_sel:WORD_0 src1_sel:DWORD
	v_mul_u32_u24_sdwa v71, v71, s31 dst_sel:DWORD dst_unused:UNUSED_PAD src0_sel:WORD_1 src1_sel:DWORD
	s_add_i32 s2, s4, s2
	v_pk_fma_f16 v1, v54, v135, v1
	v_pk_fma_f16 v0, v54, v70, v0
	s_cmp_ge_i32 s2, s30
	v_pk_fma_f16 v26, v55, v136, v1
	v_pk_fma_f16 v19, v55, v71, v0
	s_cbranch_scc0 .LBB43_9
.LBB43_10:
	v_cmp_lt_i32_e32 vcc, v34, v29
	s_cmp_lg_u64 s[12:13], 0
	s_cselect_b64 s[4:5], -1, 0
	v_cndmask_b32_e32 v0, v28, v34, vcc
	v_lshlrev_b32_e32 v1, 2, v0
	ds_bpermute_b32 v0, v1, v10
	ds_bpermute_b32 v1, v1, v11
	v_cmp_lt_i32_e32 vcc, v33, v29
	s_cmp_eq_u32 s3, 0
	s_cselect_b64 s[6:7], -1, 0
	v_cndmask_b32_e32 v2, v28, v33, vcc
	v_lshlrev_b32_e32 v3, 2, v2
	s_waitcnt lgkmcnt(0)
	v_pk_add_f32 v[0:1], v[10:11], v[0:1]
	ds_bpermute_b32 v2, v3, v0
	ds_bpermute_b32 v3, v3, v1
	v_cmp_lt_i32_e32 vcc, v32, v29
	s_and_b64 s[4:5], s[6:7], s[4:5]
	v_lshlrev_b32_e32 v5, 1, v8
	v_cndmask_b32_e32 v4, v28, v32, vcc
	v_lshlrev_b32_e32 v4, 2, v4
	s_waitcnt lgkmcnt(0)
	v_pk_add_f32 v[0:1], v[0:1], v[2:3]
	ds_bpermute_b32 v2, v4, v0
	ds_bpermute_b32 v3, v4, v1
	v_cmp_lt_i32_e32 vcc, v31, v29
	s_waitcnt lgkmcnt(0)
	v_pk_add_f32 v[0:1], v[0:1], v[2:3]
	v_cndmask_b32_e32 v4, v28, v31, vcc
	v_lshlrev_b32_e32 v4, 2, v4
	ds_bpermute_b32 v2, v4, v0
	ds_bpermute_b32 v3, v4, v1
	v_cmp_lt_i32_e32 vcc, v30, v29
	s_waitcnt lgkmcnt(0)
	v_pk_add_f32 v[0:1], v[0:1], v[2:3]
	v_cndmask_b32_e32 v4, v28, v30, vcc
	v_lshlrev_b32_e32 v4, 2, v4
	ds_bpermute_b32 v2, v4, v0
	ds_bpermute_b32 v3, v4, v1
	s_and_b64 vcc, exec, s[4:5]
	s_waitcnt lgkmcnt(0)
	v_pk_add_f32 v[0:1], v[0:1], v[2:3]
	s_cbranch_vccz .LBB43_12
; %bb.11:
	s_ashr_i32 s29, s28, 31
	s_lshl_b64 s[4:5], s[28:29], 2
	s_add_u32 s4, s12, s4
	s_addc_u32 s5, s13, s5
	v_mov_b32_e32 v2, 0
	global_load_dwordx2 v[2:3], v2, s[4:5]
	v_max_f32_e32 v4, v24, v24
	v_max_f32_e32 v7, v25, v25
	s_mov_b32 s2, 0x3fb8aa3b
	s_mov_b32 s4, 0xc2ce8ed0
	s_mov_b32 s5, 0x42b17218
	v_mov_b32_e32 v11, 0x7f800000
	s_waitcnt vmcnt(0)
	v_max_f32_e32 v6, v2, v2
	v_max_f32_e32 v6, v4, v6
	;; [unrolled: 1-line block ×3, first 2 shown]
	v_sub_f32_e32 v4, v24, v6
	v_max_f32_e32 v7, v7, v10
	v_sub_f32_e32 v10, v2, v6
	v_mul_f32_e32 v2, 0x3fb8aa3b, v4
	v_sub_f32_e32 v12, v25, v7
	v_sub_f32_e32 v13, v3, v7
	v_mul_f32_e32 v3, 0x3fb8aa3b, v10
	v_fma_f32 v16, v4, s2, -v2
	v_rndne_f32_e32 v17, v2
	v_mul_f32_e32 v14, 0x3fb8aa3b, v12
	v_fma_f32 v18, v10, s2, -v3
	v_rndne_f32_e32 v20, v3
	v_fmac_f32_e32 v16, 0x32a5705f, v4
	v_sub_f32_e32 v2, v2, v17
	v_mul_f32_e32 v15, 0x3fb8aa3b, v13
	v_fma_f32 v21, v12, s2, -v14
	v_rndne_f32_e32 v22, v14
	v_fmac_f32_e32 v18, 0x32a5705f, v10
	v_sub_f32_e32 v3, v3, v20
	v_add_f32_e32 v2, v2, v16
	v_fma_f32 v23, v13, s2, -v15
	v_rndne_f32_e32 v24, v15
	v_cvt_i32_f32_e32 v17, v17
	v_fmac_f32_e32 v21, 0x32a5705f, v12
	v_sub_f32_e32 v14, v14, v22
	v_add_f32_e32 v3, v3, v18
	v_exp_f32_e32 v2, v2
	v_cvt_i32_f32_e32 v20, v20
	v_fmac_f32_e32 v23, 0x32a5705f, v13
	v_sub_f32_e32 v15, v15, v24
	v_add_f32_e32 v14, v14, v21
	v_exp_f32_e32 v3, v3
	v_cvt_i32_f32_e32 v22, v22
	v_add_f32_e32 v15, v15, v23
	v_exp_f32_e32 v14, v14
	v_cvt_i32_f32_e32 v24, v24
	v_exp_f32_e32 v15, v15
	v_ldexp_f32 v2, v2, v17
	v_cmp_ngt_f32_e32 vcc, s4, v4
	v_ldexp_f32 v3, v3, v20
	v_ldexp_f32 v14, v14, v22
	v_cndmask_b32_e32 v2, 0, v2, vcc
	v_cmp_ngt_f32_e32 vcc, s4, v10
	v_ldexp_f32 v15, v15, v24
	v_mov_b64_e32 v[24:25], v[6:7]
	v_cndmask_b32_e32 v3, 0, v3, vcc
	v_cmp_ngt_f32_e32 vcc, s4, v12
	s_nop 1
	v_cndmask_b32_e32 v14, 0, v14, vcc
	v_cmp_ngt_f32_e32 vcc, s4, v13
	s_nop 1
	v_cndmask_b32_e32 v15, 0, v15, vcc
	v_cmp_nlt_f32_e32 vcc, s5, v4
	s_nop 1
	v_cndmask_b32_e32 v2, v11, v2, vcc
	v_cmp_nlt_f32_e32 vcc, s5, v10
	v_cvt_f16_f32_e32 v4, v2
	s_nop 0
	v_cndmask_b32_e32 v10, v11, v3, vcc
	v_cmp_nlt_f32_e32 vcc, s5, v12
	s_nop 1
	v_cndmask_b32_e32 v3, v11, v14, vcc
	v_cvt_f16_f32_e32 v12, v3
	v_cmp_nlt_f32_e32 vcc, s5, v13
	s_nop 1
	v_cndmask_b32_e32 v11, v11, v15, vcc
	v_pk_fma_f32 v[0:1], v[0:1], v[2:3], v[10:11]
	v_mul_u32_u24_e32 v2, 0x10001, v4
	v_mul_u32_u24_e32 v3, 0x10001, v12
	v_pk_mul_f16 v26, v26, v2
	v_pk_mul_f16 v19, v19, v3
.LBB43_12:
	v_cmp_gt_i32_e32 vcc, s22, v9
	s_and_saveexec_b64 s[4:5], vcc
	s_cbranch_execz .LBB43_21
; %bb.13:
	s_load_dword s6, s[0:1], 0xd4
	v_mov_b32_e32 v4, 1.0
	s_waitcnt lgkmcnt(0)
	s_cmp_lg_u32 s6, 1
	s_cselect_b64 s[0:1], -1, 0
	s_cmp_eq_u32 s6, 1
	s_cselect_b64 s[4:5], -1, 0
	s_and_b64 vcc, exec, s[0:1]
	s_cbranch_vccnz .LBB43_15
; %bb.14:
	v_div_scale_f32 v2, s[8:9], v0, v0, 1.0
	v_rcp_f32_e32 v3, v2
	v_div_scale_f32 v4, vcc, 1.0, v0, 1.0
	v_fma_f32 v6, -v2, v3, 1.0
	v_fmac_f32_e32 v3, v6, v3
	v_mul_f32_e32 v6, v4, v3
	v_fma_f32 v7, -v2, v6, v4
	v_fmac_f32_e32 v6, v7, v3
	v_fma_f32 v2, -v2, v6, v4
	v_div_fmas_f32 v2, v2, v3, v6
	v_div_fixup_f32 v4, v2, v0, 1.0
.LBB43_15:
	s_mul_i32 s33, s33, s22
	v_add_u32_e32 v2, s33, v9
	v_mul_lo_u32 v2, v2, s23
	v_add_u32_e32 v2, s28, v2
	v_cvt_f32_f16_sdwa v7, v26 dst_sel:DWORD dst_unused:UNUSED_PAD src0_sel:WORD_1
	v_cvt_f32_f16_e32 v6, v26
	v_mul_lo_u32 v2, s6, v2
	v_add_u32_e32 v2, s3, v2
	v_cmp_eq_u32_e32 vcc, 0, v8
	v_lshl_add_u32 v8, v2, 6, v5
	v_mov_b32_e32 v9, 0
	s_and_b64 s[0:1], vcc, s[0:1]
	v_lshl_add_u64 v[8:9], v[8:9], 2, s[16:17]
	v_pk_mul_f32 v[6:7], v[4:5], v[6:7] op_sel_hi:[0,1]
	global_store_dwordx2 v[8:9], v[6:7], off
	s_and_saveexec_b64 s[2:3], s[0:1]
	s_cbranch_execz .LBB43_17
; %bb.16:
	v_ashrrev_i32_e32 v3, 31, v2
	v_lshl_add_u64 v[6:7], v[2:3], 3, s[18:19]
	v_mov_b32_e32 v8, v24
	v_mov_b32_e32 v9, v0
	global_store_dwordx2 v[6:7], v[8:9], off
.LBB43_17:
	s_or_b64 exec, exec, s[2:3]
	s_andn2_b64 vcc, exec, s[4:5]
	v_mov_b32_e32 v0, 1.0
	s_cbranch_vccnz .LBB43_19
; %bb.18:
	v_div_scale_f32 v0, s[2:3], v1, v1, 1.0
	v_rcp_f32_e32 v3, v0
	v_div_scale_f32 v4, vcc, 1.0, v1, 1.0
	v_fma_f32 v6, -v0, v3, 1.0
	v_fmac_f32_e32 v3, v6, v3
	v_mul_f32_e32 v6, v4, v3
	v_fma_f32 v7, -v0, v6, v4
	v_fmac_f32_e32 v6, v7, v3
	v_fma_f32 v0, -v0, v6, v4
	v_div_fmas_f32 v0, v0, v3, v6
	v_div_fixup_f32 v0, v0, v1, 1.0
.LBB43_19:
	v_cvt_f32_f16_sdwa v7, v19 dst_sel:DWORD dst_unused:UNUSED_PAD src0_sel:WORD_1
	v_cvt_f32_f16_e32 v6, v19
	v_add_u32_e32 v2, s6, v2
	v_lshl_add_u32 v4, v2, 6, v5
	v_mov_b32_e32 v5, 0
	v_lshl_add_u64 v[4:5], v[4:5], 2, s[16:17]
	v_pk_mul_f32 v[6:7], v[0:1], v[6:7] op_sel_hi:[0,1]
	global_store_dwordx2 v[4:5], v[6:7], off
	s_and_b64 exec, exec, s[0:1]
	s_cbranch_execz .LBB43_21
; %bb.20:
	v_ashrrev_i32_e32 v3, 31, v2
	v_lshl_add_u64 v[2:3], v[2:3], 3, s[18:19]
	v_mov_b32_e32 v0, v25
	global_store_dwordx2 v[2:3], v[0:1], off
.LBB43_21:
	s_endpgm
	.section	.rodata,"a",@progbits
	.p2align	6, 0x0
	.amdhsa_kernel _ZL15flash_attn_tileILi64ELi64ELi4ELi2ELb0EEvPKcS1_S1_S1_S1_PKiPfP15HIP_vector_typeIfLj2EEffffjfiS5_IjLj3EEiiiiiiiiiiiliiliiiiil
		.amdhsa_group_segment_fixed_size 6144
		.amdhsa_private_segment_fixed_size 0
		.amdhsa_kernarg_size 464
		.amdhsa_user_sgpr_count 2
		.amdhsa_user_sgpr_dispatch_ptr 0
		.amdhsa_user_sgpr_queue_ptr 0
		.amdhsa_user_sgpr_kernarg_segment_ptr 1
		.amdhsa_user_sgpr_dispatch_id 0
		.amdhsa_user_sgpr_kernarg_preload_length 0
		.amdhsa_user_sgpr_kernarg_preload_offset 0
		.amdhsa_user_sgpr_private_segment_size 0
		.amdhsa_uses_dynamic_stack 0
		.amdhsa_enable_private_segment 0
		.amdhsa_system_sgpr_workgroup_id_x 1
		.amdhsa_system_sgpr_workgroup_id_y 1
		.amdhsa_system_sgpr_workgroup_id_z 1
		.amdhsa_system_sgpr_workgroup_info 0
		.amdhsa_system_vgpr_workitem_id 1
		.amdhsa_next_free_vgpr 137
		.amdhsa_next_free_sgpr 39
		.amdhsa_accum_offset 140
		.amdhsa_reserve_vcc 1
		.amdhsa_float_round_mode_32 0
		.amdhsa_float_round_mode_16_64 0
		.amdhsa_float_denorm_mode_32 3
		.amdhsa_float_denorm_mode_16_64 3
		.amdhsa_dx10_clamp 1
		.amdhsa_ieee_mode 1
		.amdhsa_fp16_overflow 0
		.amdhsa_tg_split 0
		.amdhsa_exception_fp_ieee_invalid_op 0
		.amdhsa_exception_fp_denorm_src 0
		.amdhsa_exception_fp_ieee_div_zero 0
		.amdhsa_exception_fp_ieee_overflow 0
		.amdhsa_exception_fp_ieee_underflow 0
		.amdhsa_exception_fp_ieee_inexact 0
		.amdhsa_exception_int_div_zero 0
	.end_amdhsa_kernel
	.section	.text._ZL15flash_attn_tileILi64ELi64ELi4ELi2ELb0EEvPKcS1_S1_S1_S1_PKiPfP15HIP_vector_typeIfLj2EEffffjfiS5_IjLj3EEiiiiiiiiiiiliiliiiiil,"axG",@progbits,_ZL15flash_attn_tileILi64ELi64ELi4ELi2ELb0EEvPKcS1_S1_S1_S1_PKiPfP15HIP_vector_typeIfLj2EEffffjfiS5_IjLj3EEiiiiiiiiiiiliiliiiiil,comdat
.Lfunc_end43:
	.size	_ZL15flash_attn_tileILi64ELi64ELi4ELi2ELb0EEvPKcS1_S1_S1_S1_PKiPfP15HIP_vector_typeIfLj2EEffffjfiS5_IjLj3EEiiiiiiiiiiiliiliiiiil, .Lfunc_end43-_ZL15flash_attn_tileILi64ELi64ELi4ELi2ELb0EEvPKcS1_S1_S1_S1_PKiPfP15HIP_vector_typeIfLj2EEffffjfiS5_IjLj3EEiiiiiiiiiiiliiliiiiil
                                        ; -- End function
	.set _ZL15flash_attn_tileILi64ELi64ELi4ELi2ELb0EEvPKcS1_S1_S1_S1_PKiPfP15HIP_vector_typeIfLj2EEffffjfiS5_IjLj3EEiiiiiiiiiiiliiliiiiil.num_vgpr, 137
	.set _ZL15flash_attn_tileILi64ELi64ELi4ELi2ELb0EEvPKcS1_S1_S1_S1_PKiPfP15HIP_vector_typeIfLj2EEffffjfiS5_IjLj3EEiiiiiiiiiiiliiliiiiil.num_agpr, 0
	.set _ZL15flash_attn_tileILi64ELi64ELi4ELi2ELb0EEvPKcS1_S1_S1_S1_PKiPfP15HIP_vector_typeIfLj2EEffffjfiS5_IjLj3EEiiiiiiiiiiiliiliiiiil.numbered_sgpr, 39
	.set _ZL15flash_attn_tileILi64ELi64ELi4ELi2ELb0EEvPKcS1_S1_S1_S1_PKiPfP15HIP_vector_typeIfLj2EEffffjfiS5_IjLj3EEiiiiiiiiiiiliiliiiiil.num_named_barrier, 0
	.set _ZL15flash_attn_tileILi64ELi64ELi4ELi2ELb0EEvPKcS1_S1_S1_S1_PKiPfP15HIP_vector_typeIfLj2EEffffjfiS5_IjLj3EEiiiiiiiiiiiliiliiiiil.private_seg_size, 0
	.set _ZL15flash_attn_tileILi64ELi64ELi4ELi2ELb0EEvPKcS1_S1_S1_S1_PKiPfP15HIP_vector_typeIfLj2EEffffjfiS5_IjLj3EEiiiiiiiiiiiliiliiiiil.uses_vcc, 1
	.set _ZL15flash_attn_tileILi64ELi64ELi4ELi2ELb0EEvPKcS1_S1_S1_S1_PKiPfP15HIP_vector_typeIfLj2EEffffjfiS5_IjLj3EEiiiiiiiiiiiliiliiiiil.uses_flat_scratch, 0
	.set _ZL15flash_attn_tileILi64ELi64ELi4ELi2ELb0EEvPKcS1_S1_S1_S1_PKiPfP15HIP_vector_typeIfLj2EEffffjfiS5_IjLj3EEiiiiiiiiiiiliiliiiiil.has_dyn_sized_stack, 0
	.set _ZL15flash_attn_tileILi64ELi64ELi4ELi2ELb0EEvPKcS1_S1_S1_S1_PKiPfP15HIP_vector_typeIfLj2EEffffjfiS5_IjLj3EEiiiiiiiiiiiliiliiiiil.has_recursion, 0
	.set _ZL15flash_attn_tileILi64ELi64ELi4ELi2ELb0EEvPKcS1_S1_S1_S1_PKiPfP15HIP_vector_typeIfLj2EEffffjfiS5_IjLj3EEiiiiiiiiiiiliiliiiiil.has_indirect_call, 0
	.section	.AMDGPU.csdata,"",@progbits
; Kernel info:
; codeLenInByte = 6280
; TotalNumSgprs: 45
; NumVgprs: 137
; NumAgprs: 0
; TotalNumVgprs: 137
; ScratchSize: 0
; MemoryBound: 0
; FloatMode: 240
; IeeeMode: 1
; LDSByteSize: 6144 bytes/workgroup (compile time only)
; SGPRBlocks: 5
; VGPRBlocks: 17
; NumSGPRsForWavesPerEU: 45
; NumVGPRsForWavesPerEU: 137
; AccumOffset: 140
; Occupancy: 3
; WaveLimiterHint : 1
; COMPUTE_PGM_RSRC2:SCRATCH_EN: 0
; COMPUTE_PGM_RSRC2:USER_SGPR: 2
; COMPUTE_PGM_RSRC2:TRAP_HANDLER: 0
; COMPUTE_PGM_RSRC2:TGID_X_EN: 1
; COMPUTE_PGM_RSRC2:TGID_Y_EN: 1
; COMPUTE_PGM_RSRC2:TGID_Z_EN: 1
; COMPUTE_PGM_RSRC2:TIDIG_COMP_CNT: 1
; COMPUTE_PGM_RSRC3_GFX90A:ACCUM_OFFSET: 34
; COMPUTE_PGM_RSRC3_GFX90A:TG_SPLIT: 0
	.section	.text._ZL33flash_attn_stream_k_fixup_uniformILi64ELi4ELi2EEvPfPK15HIP_vector_typeIfLj2EEiiiiiiS1_IjLj3EES5_S5_,"axG",@progbits,_ZL33flash_attn_stream_k_fixup_uniformILi64ELi4ELi2EEvPfPK15HIP_vector_typeIfLj2EEiiiiiiS1_IjLj3EES5_S5_,comdat
	.globl	_ZL33flash_attn_stream_k_fixup_uniformILi64ELi4ELi2EEvPfPK15HIP_vector_typeIfLj2EEiiiiiiS1_IjLj3EES5_S5_ ; -- Begin function _ZL33flash_attn_stream_k_fixup_uniformILi64ELi4ELi2EEvPfPK15HIP_vector_typeIfLj2EEiiiiiiS1_IjLj3EES5_S5_
	.p2align	8
	.type	_ZL33flash_attn_stream_k_fixup_uniformILi64ELi4ELi2EEvPfPK15HIP_vector_typeIfLj2EEiiiiiiS1_IjLj3EES5_S5_,@function
_ZL33flash_attn_stream_k_fixup_uniformILi64ELi4ELi2EEvPfPK15HIP_vector_typeIfLj2EEiiiiiiS1_IjLj3EES5_S5_: ; @_ZL33flash_attn_stream_k_fixup_uniformILi64ELi4ELi2EEvPfPK15HIP_vector_typeIfLj2EEiiiiiiS1_IjLj3EES5_S5_
; %bb.0:
	s_load_dwordx8 s[8:15], s[0:1], 0x1c
	s_load_dwordx2 s[6:7], s[0:1], 0x10
	s_load_dwordx4 s[20:23], s[0:1], 0x3c
	s_waitcnt lgkmcnt(0)
	s_mul_hi_u32 s5, s11, s2
	s_add_i32 s5, s2, s5
	s_lshr_b32 s5, s5, s12
	s_mul_i32 s11, s5, s13
	s_sub_i32 s11, s2, s11
	s_mul_hi_u32 s12, s11, s14
	s_add_i32 s12, s11, s12
	s_lshr_b32 s16, s12, s15
	s_mul_i32 s12, s16, s20
	s_sub_i32 s11, s11, s12
	;; [unrolled: 5-line block ×3, first 2 shown]
	s_lshl_b32 s11, s12, 1
	s_lshl_b32 s12, s17, 2
	s_add_i32 s12, s12, s3
	s_cmp_lt_i32 s12, s6
	s_cselect_b64 s[12:13], -1, 0
	s_add_i32 s14, s11, s4
	s_cmp_lt_i32 s14, s9
	s_cselect_b64 s[14:15], -1, 0
	s_and_b64 s[12:13], s[12:13], s[14:15]
	s_andn2_b64 vcc, exec, s[12:13]
	s_cbranch_vccnz .LBB44_6
; %bb.1:
	s_load_dwordx4 s[12:15], s[0:1], 0x0
	s_mul_i32 s0, s5, s6
	s_add_i32 s0, s0, s3
	s_mul_i32 s0, s0, s7
	s_mul_i32 s16, s16, s9
	s_add_i32 s0, s0, s4
	s_add_i32 s0, s0, s16
	s_mul_i32 s1, s7, s17
	s_add_i32 s0, s0, s11
	s_lshl_b32 s1, s1, 8
	s_lshl_b32 s0, s0, 6
	s_add_i32 s1, s1, s0
	v_or_b32_e32 v4, s1, v0
	s_waitcnt lgkmcnt(0)
	v_mov_b32_e32 v2, s12
	v_mov_b32_e32 v3, s13
	v_ashrrev_i32_e32 v5, 31, v4
	v_lshl_add_u64 v[2:3], v[4:5], 2, v[2:3]
	global_load_dword v5, v[2:3], off
	s_mul_i32 s5, s10, s2
	s_lshl_b32 s11, s3, 1
	s_add_i32 s9, s5, s10
	s_add_i32 s0, s11, s4
	s_lshl_b32 s1, s9, 3
	s_add_i32 s0, s0, s1
	s_add_i32 s0, s0, -8
	s_ashr_i32 s1, s0, 31
	s_lshl_b64 s[0:1], s[0:1], 3
	s_add_u32 s0, s14, s0
	s_addc_u32 s1, s15, s1
	s_load_dword s12, s[0:1], 0x4
	s_add_i32 s6, s9, -2
	s_cmp_lt_i32 s6, s5
	s_cbranch_scc1 .LBB44_4
; %bb.2:
	s_lshl_b32 s6, s8, 5
	s_ashr_i32 s7, s6, 31
	s_lshl_b64 s[6:7], s[6:7], 2
	s_add_u32 s6, s14, s6
	s_addc_u32 s7, s15, s7
	s_add_i32 s2, s2, 1
	s_load_dword s0, s[0:1], 0x0
	s_mul_i32 s1, s10, s2
	s_lshl_b32 s3, s3, 7
	s_lshl_b32 s10, s4, 6
	;; [unrolled: 1-line block ×3, first 2 shown]
	s_add_i32 s3, s10, s3
	s_lshl_b32 s1, s1, 3
	s_add_i32 s3, s3, s2
	s_add_i32 s1, s4, s1
	s_lshl_b32 s2, s8, 3
	s_add_i32 s1, s1, s2
	v_or_b32_e32 v0, s3, v0
	s_add_i32 s1, s1, s11
	s_add_i32 s9, s9, -1
	v_add_u32_e32 v0, 0xfffffc00, v0
	s_add_i32 s2, s1, -16
	s_waitcnt lgkmcnt(0)
	v_mov_b32_e32 v7, s0
	v_mov_b32_e32 v4, s12
	s_mov_b32 s4, 0x3fb8aa3b
	s_mov_b32 s8, 0xc2ce8ed0
	;; [unrolled: 1-line block ×3, first 2 shown]
	v_mov_b32_e32 v6, 0x7f800000
	s_mov_b32 s11, 0xc1a00000
.LBB44_3:                               ; =>This Inner Loop Header: Depth=1
	v_ashrrev_i32_e32 v1, 31, v0
	v_lshl_add_u64 v[8:9], v[0:1], 2, s[6:7]
	global_load_dword v9, v[8:9], off
	s_ashr_i32 s3, s2, 31
	s_lshl_b64 s[0:1], s[2:3], 3
	s_add_u32 s0, s14, s0
	s_addc_u32 s1, s15, s1
	s_load_dwordx2 s[0:1], s[0:1], 0x0
	v_max_f32_e32 v1, v7, v7
	s_add_i32 s9, s9, -1
	s_add_i32 s2, s2, -8
	v_add_u32_e32 v0, 0xfffffe00, v0
	s_waitcnt lgkmcnt(0)
	v_max_f32_e64 v10, s0, s0
	v_max_f32_e32 v1, v1, v10
	v_sub_f32_e32 v11, s0, v1
	v_sub_f32_e32 v10, v7, v1
	v_mul_f32_e32 v12, 0x3fb8aa3b, v11
	v_mov_b32_e32 v7, v1
	v_mul_f32_e32 v1, 0x3fb8aa3b, v10
	v_fma_f32 v15, v11, s4, -v12
	v_rndne_f32_e32 v16, v12
	v_fma_f32 v13, v10, s4, -v1
	v_rndne_f32_e32 v14, v1
	v_fmac_f32_e32 v15, 0x32a5705f, v11
	v_sub_f32_e32 v12, v12, v16
	v_fmac_f32_e32 v13, 0x32a5705f, v10
	v_sub_f32_e32 v1, v1, v14
	v_add_f32_e32 v12, v12, v15
	v_cvt_i32_f32_e32 v16, v16
	v_add_f32_e32 v1, v1, v13
	v_exp_f32_e32 v12, v12
	v_cvt_i32_f32_e32 v14, v14
	v_exp_f32_e32 v1, v1
	v_cmp_ngt_f32_e32 vcc, s8, v11
	v_ldexp_f32 v12, v12, v16
	v_mov_b32_e32 v8, s1
	v_ldexp_f32 v1, v1, v14
	v_cmp_ngt_f32_e64 s[0:1], s8, v10
	v_cndmask_b32_e32 v12, 0, v12, vcc
	v_cmp_nlt_f32_e32 vcc, s10, v11
	v_cndmask_b32_e64 v1, 0, v1, s[0:1]
	v_cmp_nlt_f32_e64 s[0:1], s10, v10
	v_cndmask_b32_e32 v12, v6, v12, vcc
	v_cmp_le_f32_e32 vcc, s11, v11
	v_cndmask_b32_e64 v1, v6, v1, s[0:1]
	v_cmp_le_f32_e64 s[0:1], s11, v10
	v_cndmask_b32_e32 v12, 0, v12, vcc
	s_cmp_le_i32 s9, s5
	v_cndmask_b32_e64 v10, 0, v1, s[0:1]
	s_waitcnt vmcnt(0)
	v_pk_mul_f32 v[8:9], v[8:9], v[12:13] op_sel_hi:[1,0]
	s_nop 0
	v_pk_fma_f32 v[4:5], v[4:5], v[10:11], v[8:9] op_sel_hi:[1,0,1]
	s_cbranch_scc0 .LBB44_3
	s_branch .LBB44_5
.LBB44_4:
	s_waitcnt lgkmcnt(0)
	v_mov_b32_e32 v4, s12
.LBB44_5:
	s_waitcnt vmcnt(0)
	v_div_scale_f32 v0, s[0:1], v4, v4, v5
	v_rcp_f32_e32 v1, v0
	v_div_scale_f32 v6, vcc, v5, v4, v5
	v_fma_f32 v7, -v0, v1, 1.0
	v_fmac_f32_e32 v1, v7, v1
	v_mul_f32_e32 v7, v6, v1
	v_fma_f32 v8, -v0, v7, v6
	v_fmac_f32_e32 v7, v8, v1
	v_fma_f32 v0, -v0, v7, v6
	v_div_fmas_f32 v0, v0, v1, v7
	v_div_fixup_f32 v0, v0, v4, v5
	global_store_dword v[2:3], v0, off
.LBB44_6:
	s_endpgm
	.section	.rodata,"a",@progbits
	.p2align	6, 0x0
	.amdhsa_kernel _ZL33flash_attn_stream_k_fixup_uniformILi64ELi4ELi2EEvPfPK15HIP_vector_typeIfLj2EEiiiiiiS1_IjLj3EES5_S5_
		.amdhsa_group_segment_fixed_size 0
		.amdhsa_private_segment_fixed_size 0
		.amdhsa_kernarg_size 76
		.amdhsa_user_sgpr_count 2
		.amdhsa_user_sgpr_dispatch_ptr 0
		.amdhsa_user_sgpr_queue_ptr 0
		.amdhsa_user_sgpr_kernarg_segment_ptr 1
		.amdhsa_user_sgpr_dispatch_id 0
		.amdhsa_user_sgpr_kernarg_preload_length 0
		.amdhsa_user_sgpr_kernarg_preload_offset 0
		.amdhsa_user_sgpr_private_segment_size 0
		.amdhsa_uses_dynamic_stack 0
		.amdhsa_enable_private_segment 0
		.amdhsa_system_sgpr_workgroup_id_x 1
		.amdhsa_system_sgpr_workgroup_id_y 1
		.amdhsa_system_sgpr_workgroup_id_z 1
		.amdhsa_system_sgpr_workgroup_info 0
		.amdhsa_system_vgpr_workitem_id 0
		.amdhsa_next_free_vgpr 17
		.amdhsa_next_free_sgpr 24
		.amdhsa_accum_offset 20
		.amdhsa_reserve_vcc 1
		.amdhsa_float_round_mode_32 0
		.amdhsa_float_round_mode_16_64 0
		.amdhsa_float_denorm_mode_32 3
		.amdhsa_float_denorm_mode_16_64 3
		.amdhsa_dx10_clamp 1
		.amdhsa_ieee_mode 1
		.amdhsa_fp16_overflow 0
		.amdhsa_tg_split 0
		.amdhsa_exception_fp_ieee_invalid_op 0
		.amdhsa_exception_fp_denorm_src 0
		.amdhsa_exception_fp_ieee_div_zero 0
		.amdhsa_exception_fp_ieee_overflow 0
		.amdhsa_exception_fp_ieee_underflow 0
		.amdhsa_exception_fp_ieee_inexact 0
		.amdhsa_exception_int_div_zero 0
	.end_amdhsa_kernel
	.section	.text._ZL33flash_attn_stream_k_fixup_uniformILi64ELi4ELi2EEvPfPK15HIP_vector_typeIfLj2EEiiiiiiS1_IjLj3EES5_S5_,"axG",@progbits,_ZL33flash_attn_stream_k_fixup_uniformILi64ELi4ELi2EEvPfPK15HIP_vector_typeIfLj2EEiiiiiiS1_IjLj3EES5_S5_,comdat
.Lfunc_end44:
	.size	_ZL33flash_attn_stream_k_fixup_uniformILi64ELi4ELi2EEvPfPK15HIP_vector_typeIfLj2EEiiiiiiS1_IjLj3EES5_S5_, .Lfunc_end44-_ZL33flash_attn_stream_k_fixup_uniformILi64ELi4ELi2EEvPfPK15HIP_vector_typeIfLj2EEiiiiiiS1_IjLj3EES5_S5_
                                        ; -- End function
	.set _ZL33flash_attn_stream_k_fixup_uniformILi64ELi4ELi2EEvPfPK15HIP_vector_typeIfLj2EEiiiiiiS1_IjLj3EES5_S5_.num_vgpr, 17
	.set _ZL33flash_attn_stream_k_fixup_uniformILi64ELi4ELi2EEvPfPK15HIP_vector_typeIfLj2EEiiiiiiS1_IjLj3EES5_S5_.num_agpr, 0
	.set _ZL33flash_attn_stream_k_fixup_uniformILi64ELi4ELi2EEvPfPK15HIP_vector_typeIfLj2EEiiiiiiS1_IjLj3EES5_S5_.numbered_sgpr, 24
	.set _ZL33flash_attn_stream_k_fixup_uniformILi64ELi4ELi2EEvPfPK15HIP_vector_typeIfLj2EEiiiiiiS1_IjLj3EES5_S5_.num_named_barrier, 0
	.set _ZL33flash_attn_stream_k_fixup_uniformILi64ELi4ELi2EEvPfPK15HIP_vector_typeIfLj2EEiiiiiiS1_IjLj3EES5_S5_.private_seg_size, 0
	.set _ZL33flash_attn_stream_k_fixup_uniformILi64ELi4ELi2EEvPfPK15HIP_vector_typeIfLj2EEiiiiiiS1_IjLj3EES5_S5_.uses_vcc, 1
	.set _ZL33flash_attn_stream_k_fixup_uniformILi64ELi4ELi2EEvPfPK15HIP_vector_typeIfLj2EEiiiiiiS1_IjLj3EES5_S5_.uses_flat_scratch, 0
	.set _ZL33flash_attn_stream_k_fixup_uniformILi64ELi4ELi2EEvPfPK15HIP_vector_typeIfLj2EEiiiiiiS1_IjLj3EES5_S5_.has_dyn_sized_stack, 0
	.set _ZL33flash_attn_stream_k_fixup_uniformILi64ELi4ELi2EEvPfPK15HIP_vector_typeIfLj2EEiiiiiiS1_IjLj3EES5_S5_.has_recursion, 0
	.set _ZL33flash_attn_stream_k_fixup_uniformILi64ELi4ELi2EEvPfPK15HIP_vector_typeIfLj2EEiiiiiiS1_IjLj3EES5_S5_.has_indirect_call, 0
	.section	.AMDGPU.csdata,"",@progbits
; Kernel info:
; codeLenInByte = 836
; TotalNumSgprs: 30
; NumVgprs: 17
; NumAgprs: 0
; TotalNumVgprs: 17
; ScratchSize: 0
; MemoryBound: 0
; FloatMode: 240
; IeeeMode: 1
; LDSByteSize: 0 bytes/workgroup (compile time only)
; SGPRBlocks: 3
; VGPRBlocks: 2
; NumSGPRsForWavesPerEU: 30
; NumVGPRsForWavesPerEU: 17
; AccumOffset: 20
; Occupancy: 8
; WaveLimiterHint : 0
; COMPUTE_PGM_RSRC2:SCRATCH_EN: 0
; COMPUTE_PGM_RSRC2:USER_SGPR: 2
; COMPUTE_PGM_RSRC2:TRAP_HANDLER: 0
; COMPUTE_PGM_RSRC2:TGID_X_EN: 1
; COMPUTE_PGM_RSRC2:TGID_Y_EN: 1
; COMPUTE_PGM_RSRC2:TGID_Z_EN: 1
; COMPUTE_PGM_RSRC2:TIDIG_COMP_CNT: 0
; COMPUTE_PGM_RSRC3_GFX90A:ACCUM_OFFSET: 4
; COMPUTE_PGM_RSRC3_GFX90A:TG_SPLIT: 0
	.section	.text._ZL33flash_attn_stream_k_fixup_generalILi64ELi4ELi2EEvPfPK15HIP_vector_typeIfLj2EEiiiiS1_IjLj3EES5_S5_S5_,"axG",@progbits,_ZL33flash_attn_stream_k_fixup_generalILi64ELi4ELi2EEvPfPK15HIP_vector_typeIfLj2EEiiiiS1_IjLj3EES5_S5_S5_,comdat
	.globl	_ZL33flash_attn_stream_k_fixup_generalILi64ELi4ELi2EEvPfPK15HIP_vector_typeIfLj2EEiiiiS1_IjLj3EES5_S5_S5_ ; -- Begin function _ZL33flash_attn_stream_k_fixup_generalILi64ELi4ELi2EEvPfPK15HIP_vector_typeIfLj2EEiiiiS1_IjLj3EES5_S5_S5_
	.p2align	8
	.type	_ZL33flash_attn_stream_k_fixup_generalILi64ELi4ELi2EEvPfPK15HIP_vector_typeIfLj2EEiiiiS1_IjLj3EES5_S5_S5_,@function
_ZL33flash_attn_stream_k_fixup_generalILi64ELi4ELi2EEvPfPK15HIP_vector_typeIfLj2EEiiiiS1_IjLj3EES5_S5_S5_: ; @_ZL33flash_attn_stream_k_fixup_generalILi64ELi4ELi2EEvPfPK15HIP_vector_typeIfLj2EEiiiiS1_IjLj3EES5_S5_S5_
; %bb.0:
	s_load_dwordx4 s[8:11], s[0:1], 0x10
	s_load_dword s22, s[0:1], 0x50
	s_mov_b32 s12, 0
	s_waitcnt lgkmcnt(0)
	s_mul_hi_i32 s13, s11, s2
	s_cmp_lg_u64 s[12:13], 0
	s_mul_i32 s5, s11, s2
	s_cbranch_scc0 .LBB45_20
; %bb.1:
	s_add_u32 s6, s22, 0
	s_addc_u32 s7, 0, 0
	s_xor_b64 s[6:7], s[6:7], 0
	v_cvt_f32_u32_e32 v1, s6
	v_cvt_f32_u32_e32 v2, s7
	s_sub_u32 s12, 0, s6
	s_subb_u32 s18, 0, s7
	v_fmamk_f32 v1, v2, 0x4f800000, v1
	v_rcp_f32_e32 v1, v1
	s_nop 0
	v_mul_f32_e32 v1, 0x5f7ffffc, v1
	v_mul_f32_e32 v2, 0x2f800000, v1
	v_trunc_f32_e32 v2, v2
	v_fmamk_f32 v1, v2, 0xcf800000, v1
	v_cvt_u32_f32_e32 v2, v2
	v_cvt_u32_f32_e32 v1, v1
	v_readfirstlane_b32 s19, v2
	v_readfirstlane_b32 s14, v1
	s_mul_i32 s15, s12, s19
	s_mul_hi_u32 s21, s12, s14
	s_mul_i32 s20, s18, s14
	s_add_i32 s15, s21, s15
	s_add_i32 s15, s15, s20
	s_mul_i32 s23, s12, s14
	s_mul_i32 s21, s14, s15
	s_mul_hi_u32 s24, s14, s23
	s_mul_hi_u32 s20, s14, s15
	s_add_u32 s21, s24, s21
	s_addc_u32 s20, 0, s20
	s_mul_hi_u32 s25, s19, s23
	s_mul_i32 s23, s19, s23
	s_add_u32 s21, s21, s23
	s_mul_hi_u32 s24, s19, s15
	s_addc_u32 s20, s20, s25
	s_addc_u32 s21, s24, 0
	s_mul_i32 s15, s19, s15
	s_add_u32 s15, s20, s15
	s_addc_u32 s20, 0, s21
	s_add_u32 s21, s14, s15
	s_cselect_b64 s[14:15], -1, 0
	s_cmp_lg_u64 s[14:15], 0
	s_addc_u32 s19, s19, s20
	s_mul_i32 s14, s12, s19
	s_mul_hi_u32 s15, s12, s21
	s_add_i32 s14, s15, s14
	s_mul_i32 s18, s18, s21
	s_add_i32 s14, s14, s18
	s_mul_i32 s12, s12, s21
	s_mul_hi_u32 s18, s19, s12
	s_mul_i32 s20, s19, s12
	s_mul_i32 s24, s21, s14
	s_mul_hi_u32 s12, s21, s12
	s_mul_hi_u32 s23, s21, s14
	s_add_u32 s12, s12, s24
	s_addc_u32 s23, 0, s23
	s_add_u32 s12, s12, s20
	s_mul_hi_u32 s15, s19, s14
	s_addc_u32 s12, s23, s18
	s_addc_u32 s15, s15, 0
	s_mul_i32 s14, s19, s14
	s_add_u32 s12, s12, s14
	s_addc_u32 s18, 0, s15
	s_add_u32 s20, s21, s12
	s_cselect_b64 s[14:15], -1, 0
	s_cmp_lg_u64 s[14:15], 0
	s_addc_u32 s18, s19, s18
	s_ashr_i32 s14, s13, 31
	s_add_u32 s12, s5, s14
	s_mov_b32 s15, s14
	s_addc_u32 s13, s13, s14
	s_xor_b64 s[12:13], s[12:13], s[14:15]
	s_mul_i32 s21, s12, s18
	s_mul_hi_u32 s23, s12, s20
	s_mul_hi_u32 s19, s12, s18
	s_add_u32 s21, s23, s21
	s_addc_u32 s19, 0, s19
	s_mul_hi_u32 s24, s13, s20
	s_mul_i32 s20, s13, s20
	s_add_u32 s20, s21, s20
	s_mul_hi_u32 s23, s13, s18
	s_addc_u32 s19, s19, s24
	s_addc_u32 s20, s23, 0
	s_mul_i32 s18, s13, s18
	s_add_u32 s23, s19, s18
	s_addc_u32 s24, 0, s20
	s_mul_i32 s18, s6, s24
	s_mul_hi_u32 s19, s6, s23
	s_add_i32 s18, s19, s18
	s_mul_i32 s19, s7, s23
	s_add_i32 s25, s18, s19
	s_sub_i32 s20, s13, s25
	s_mul_i32 s18, s6, s23
	s_sub_u32 s12, s12, s18
	s_cselect_b64 s[18:19], -1, 0
	s_cmp_lg_u64 s[18:19], 0
	s_subb_u32 s26, s20, s7
	s_sub_u32 s27, s12, s6
	s_cselect_b64 s[20:21], -1, 0
	s_cmp_lg_u64 s[20:21], 0
	s_subb_u32 s20, s26, 0
	s_cmp_ge_u32 s20, s7
	s_cselect_b32 s21, -1, 0
	s_cmp_ge_u32 s27, s6
	s_cselect_b32 s26, -1, 0
	s_cmp_eq_u32 s20, s7
	s_cselect_b32 s20, s26, s21
	s_add_u32 s21, s23, 1
	s_addc_u32 s26, s24, 0
	s_add_u32 s27, s23, 2
	s_addc_u32 s28, s24, 0
	s_cmp_lg_u32 s20, 0
	s_cselect_b32 s20, s27, s21
	s_cselect_b32 s21, s28, s26
	s_cmp_lg_u64 s[18:19], 0
	s_subb_u32 s13, s13, s25
	s_cmp_ge_u32 s13, s7
	s_cselect_b32 s18, -1, 0
	s_cmp_ge_u32 s12, s6
	s_cselect_b32 s6, -1, 0
	s_cmp_eq_u32 s13, s7
	s_cselect_b32 s6, s6, s18
	s_cmp_lg_u32 s6, 0
	s_cselect_b32 s7, s21, s24
	s_cselect_b32 s6, s20, s23
	s_xor_b64 s[12:13], s[14:15], 0
	s_xor_b64 s[6:7], s[6:7], s[12:13]
	s_sub_u32 s6, s6, s12
	s_load_dwordx4 s[12:15], s[0:1], 0x44
	s_cbranch_execnz .LBB45_3
.LBB45_2:
	v_cvt_f32_u32_e32 v1, s22
	s_sub_i32 s6, 0, s22
	v_rcp_iflag_f32_e32 v1, v1
	s_nop 0
	v_mul_f32_e32 v1, 0x4f7ffffe, v1
	v_cvt_u32_f32_e32 v1, v1
	s_nop 0
	v_readfirstlane_b32 s7, v1
	s_mul_i32 s6, s6, s7
	s_mul_hi_u32 s6, s7, s6
	s_add_i32 s7, s7, s6
	s_mul_hi_u32 s6, s5, s7
	s_waitcnt lgkmcnt(0)
	s_mul_i32 s15, s6, s22
	s_sub_i32 s5, s5, s15
	s_add_i32 s7, s6, 1
	s_sub_i32 s15, s5, s22
	s_cmp_ge_u32 s5, s22
	s_cselect_b32 s6, s7, s6
	s_cselect_b32 s5, s15, s5
	s_add_i32 s7, s6, 1
	s_cmp_ge_u32 s5, s22
	s_cselect_b32 s6, s7, s6
.LBB45_3:
	s_add_i32 s5, s2, 1
	s_mul_hi_i32 s21, s11, s5
	s_mov_b32 s20, 0
	s_cmp_lg_u64 s[20:21], 0
	s_mul_i32 s5, s11, s5
	s_cbranch_scc0 .LBB45_21
; %bb.4:
	s_add_u32 s16, s22, 0
	s_addc_u32 s17, 0, 0
	s_xor_b64 s[18:19], s[16:17], 0
	v_cvt_f32_u32_e32 v1, s18
	v_cvt_f32_u32_e32 v2, s19
	s_sub_u32 s7, 0, s18
	s_waitcnt lgkmcnt(0)
	s_subb_u32 s15, 0, s19
	v_fmamk_f32 v1, v2, 0x4f800000, v1
	v_rcp_f32_e32 v1, v1
	s_nop 0
	v_mul_f32_e32 v1, 0x5f7ffffc, v1
	v_mul_f32_e32 v2, 0x2f800000, v1
	v_trunc_f32_e32 v2, v2
	v_fmamk_f32 v1, v2, 0xcf800000, v1
	v_cvt_u32_f32_e32 v2, v2
	v_cvt_u32_f32_e32 v1, v1
	v_readfirstlane_b32 s20, v2
	v_readfirstlane_b32 s23, v1
	s_mul_i32 s24, s7, s20
	s_mul_hi_u32 s26, s7, s23
	s_mul_i32 s25, s15, s23
	s_add_i32 s24, s26, s24
	s_add_i32 s24, s24, s25
	s_mul_i32 s27, s7, s23
	s_mul_i32 s26, s23, s24
	s_mul_hi_u32 s28, s23, s27
	s_mul_hi_u32 s25, s23, s24
	s_add_u32 s26, s28, s26
	s_addc_u32 s25, 0, s25
	s_mul_hi_u32 s29, s20, s27
	s_mul_i32 s27, s20, s27
	s_add_u32 s26, s26, s27
	s_mul_hi_u32 s28, s20, s24
	s_addc_u32 s25, s25, s29
	s_addc_u32 s26, s28, 0
	s_mul_i32 s24, s20, s24
	s_add_u32 s24, s25, s24
	s_addc_u32 s26, 0, s26
	s_add_u32 s23, s23, s24
	s_cselect_b64 s[24:25], -1, 0
	s_cmp_lg_u64 s[24:25], 0
	s_addc_u32 s20, s20, s26
	s_mul_i32 s24, s7, s20
	s_mul_hi_u32 s25, s7, s23
	s_add_i32 s24, s25, s24
	s_mul_i32 s15, s15, s23
	s_add_i32 s24, s24, s15
	s_mul_i32 s7, s7, s23
	s_mul_hi_u32 s25, s20, s7
	s_mul_i32 s26, s20, s7
	s_mul_i32 s28, s23, s24
	s_mul_hi_u32 s7, s23, s7
	s_mul_hi_u32 s27, s23, s24
	s_add_u32 s7, s7, s28
	s_addc_u32 s27, 0, s27
	s_add_u32 s7, s7, s26
	s_mul_hi_u32 s15, s20, s24
	s_addc_u32 s7, s27, s25
	s_addc_u32 s15, s15, 0
	s_mul_i32 s24, s20, s24
	s_add_u32 s7, s7, s24
	s_addc_u32 s15, 0, s15
	s_add_u32 s7, s23, s7
	s_cselect_b64 s[24:25], -1, 0
	s_cmp_lg_u64 s[24:25], 0
	s_addc_u32 s15, s20, s15
	s_ashr_i32 s24, s21, 31
	s_add_u32 s20, s5, s24
	s_mov_b32 s25, s24
	s_addc_u32 s21, s21, s24
	s_xor_b64 s[20:21], s[20:21], s[24:25]
	s_mul_i32 s26, s20, s15
	s_mul_hi_u32 s27, s20, s7
	s_mul_hi_u32 s23, s20, s15
	s_add_u32 s26, s27, s26
	s_addc_u32 s23, 0, s23
	s_mul_hi_u32 s28, s21, s7
	s_mul_i32 s7, s21, s7
	s_add_u32 s7, s26, s7
	s_mul_hi_u32 s27, s21, s15
	s_addc_u32 s7, s23, s28
	s_addc_u32 s23, s27, 0
	s_mul_i32 s15, s21, s15
	s_add_u32 s7, s7, s15
	s_addc_u32 s15, 0, s23
	s_mul_i32 s23, s18, s15
	s_mul_hi_u32 s26, s18, s7
	s_add_i32 s23, s26, s23
	s_mul_i32 s26, s19, s7
	s_add_i32 s23, s23, s26
	s_sub_i32 s28, s21, s23
	s_mul_i32 s26, s18, s7
	s_sub_u32 s20, s20, s26
	s_cselect_b64 s[26:27], -1, 0
	s_cmp_lg_u64 s[26:27], 0
	s_subb_u32 s30, s28, s19
	s_sub_u32 s31, s20, s18
	s_cselect_b64 s[28:29], -1, 0
	s_cmp_lg_u64 s[28:29], 0
	s_subb_u32 s28, s30, 0
	s_cmp_ge_u32 s28, s19
	s_cselect_b32 s29, -1, 0
	s_cmp_ge_u32 s31, s18
	s_cselect_b32 s30, -1, 0
	s_cmp_eq_u32 s28, s19
	s_cselect_b32 s28, s30, s29
	s_add_u32 s29, s7, 1
	s_addc_u32 s30, s15, 0
	s_add_u32 s31, s7, 2
	s_addc_u32 s33, s15, 0
	s_cmp_lg_u32 s28, 0
	s_cselect_b32 s28, s31, s29
	s_cselect_b32 s29, s33, s30
	s_cmp_lg_u64 s[26:27], 0
	s_subb_u32 s21, s21, s23
	s_cmp_ge_u32 s21, s19
	s_cselect_b32 s23, -1, 0
	s_cmp_ge_u32 s20, s18
	s_cselect_b32 s18, -1, 0
	s_cmp_eq_u32 s21, s19
	s_cselect_b32 s18, s18, s23
	s_cmp_lg_u32 s18, 0
	s_cselect_b32 s19, s29, s15
	s_cselect_b32 s18, s28, s7
	s_xor_b64 s[20:21], s[24:25], 0
	s_xor_b64 s[18:19], s[18:19], s[20:21]
	s_sub_u32 s18, s18, s20
	s_cbranch_execnz .LBB45_6
.LBB45_5:
	v_cvt_f32_u32_e32 v1, s22
	s_sub_i32 s7, 0, s22
	v_rcp_iflag_f32_e32 v1, v1
	s_nop 0
	v_mul_f32_e32 v1, 0x4f7ffffe, v1
	v_cvt_u32_f32_e32 v1, v1
	s_waitcnt lgkmcnt(0)
	v_readfirstlane_b32 s15, v1
	s_mul_i32 s7, s7, s15
	s_mul_hi_u32 s7, s15, s7
	s_add_i32 s15, s15, s7
	s_mul_hi_u32 s7, s5, s15
	s_mul_i32 s16, s7, s22
	s_sub_i32 s5, s5, s16
	s_add_i32 s15, s7, 1
	s_sub_i32 s16, s5, s22
	s_cmp_ge_u32 s5, s22
	s_cselect_b32 s7, s15, s7
	s_cselect_b32 s5, s16, s5
	s_add_i32 s15, s7, 1
	s_cmp_ge_u32 s5, s22
	s_cselect_b32 s18, s15, s7
.LBB45_6:
	s_cmp_eq_u32 s6, s18
	s_waitcnt lgkmcnt(0)
	s_mul_hi_u32 s5, s6, s12
	s_cselect_b64 s[16:17], -1, 0
	s_add_i32 s5, s5, s6
	s_lshr_b32 s7, s5, s13
	s_mul_i32 s5, s7, s14
	s_cmp_eq_u32 s5, s6
	s_mul_hi_u32 s5, s18, s12
	s_cselect_b64 s[20:21], -1, 0
	s_add_i32 s5, s5, s18
	s_lshr_b32 s5, s5, s13
	s_cmp_eq_u32 s7, s5
	s_mul_i32 s5, s5, s14
	s_cselect_b64 s[24:25], -1, 0
	s_cmp_lg_u32 s5, s18
	s_cselect_b64 s[18:19], -1, 0
	s_and_b64 s[18:19], s[24:25], s[18:19]
	s_or_b64 s[16:17], s[16:17], s[20:21]
	s_or_b64 s[16:17], s[16:17], s[18:19]
	s_and_b64 vcc, exec, s[16:17]
	s_cbranch_vccnz .LBB45_23
; %bb.7:
	s_load_dwordx8 s[24:31], s[0:1], 0x20
	s_load_dword s15, s[0:1], 0x40
	s_waitcnt lgkmcnt(0)
	s_mul_hi_u32 s5, s6, s24
	s_add_i32 s5, s5, s6
	s_lshr_b32 s5, s5, s25
	s_mul_i32 s16, s5, s26
	s_sub_i32 s16, s6, s16
	s_mul_hi_u32 s17, s16, s27
	s_add_i32 s17, s16, s17
	s_lshr_b32 s20, s17, s28
	s_mul_i32 s17, s20, s29
	s_sub_i32 s16, s16, s17
	;; [unrolled: 5-line block ×3, first 2 shown]
	s_mul_hi_u32 s16, s15, s12
	s_add_i32 s15, s15, s16
	s_lshr_b32 s23, s15, s13
	s_lshl_b32 s15, s23, 2
	s_lshl_b32 s21, s17, 1
	s_add_i32 s15, s15, s3
	s_cmp_lt_i32 s15, s8
	s_cselect_b64 s[16:17], -1, 0
	s_add_i32 s15, s21, s4
	s_cmp_lt_i32 s15, s10
	s_cselect_b64 s[18:19], -1, 0
	s_and_b64 s[16:17], s[16:17], s[18:19]
	s_andn2_b64 vcc, exec, s[16:17]
	s_cbranch_vccnz .LBB45_23
; %bb.8:
	s_load_dwordx4 s[16:19], s[0:1], 0x0
	s_mov_b32 s0, 0
	s_lshl_b32 s15, s3, 1
	s_lshl_b32 s24, s22, 5
	s_mov_b32 s25, s0
	s_add_i32 s15, s15, s4
	s_waitcnt lgkmcnt(0)
	v_mov_b32_e32 v2, s16
	v_mov_b32_e32 v3, s17
	s_lshl_b64 s[16:17], s[24:25], 2
	s_add_u32 s16, s18, s16
	s_mul_i32 s1, s5, s8
	s_addc_u32 s17, s19, s17
	s_add_i32 s1, s1, s3
	s_mul_i32 s1, s1, s9
	s_mul_i32 s20, s20, s10
	s_add_i32 s1, s1, s4
	s_add_i32 s1, s1, s20
	s_mul_i32 s5, s9, s23
	s_add_i32 s1, s1, s21
	s_lshl_b32 s5, s5, 8
	s_lshl_b32 s1, s1, 6
	s_add_i32 s5, s5, s1
	v_or_b32_e32 v4, s5, v0
	v_ashrrev_i32_e32 v5, 31, v4
	v_lshl_add_u64 v[2:3], v[4:5], 2, v[2:3]
	global_load_dword v1, v[2:3], off
	v_cvt_f32_u32_e32 v4, s22
	s_lshl_b32 s1, s2, 3
	s_add_i32 s4, s15, s1
	s_ashr_i32 s5, s4, 31
	s_lshl_b64 s[4:5], s[4:5], 3
	v_rcp_iflag_f32_e32 v4, v4
	s_add_u32 s4, s18, s4
	s_addc_u32 s5, s19, s5
	s_load_dwordx2 s[4:5], s[4:5], 0x0
	v_mul_f32_e32 v4, 0x4f7ffffe, v4
	v_cvt_u32_f32_e32 v7, v4
	s_add_i32 s24, s2, -1
	v_lshl_or_b32 v6, s15, 6, v0
	s_waitcnt lgkmcnt(0)
	v_mov_b32_e32 v0, s5
	v_mov_b32_e32 v9, s4
	s_mov_b32 s10, 0x3fb8aa3b
	s_mov_b32 s20, 0xc2ce8ed0
	;; [unrolled: 1-line block ×4, first 2 shown]
	v_mov_b32_e32 v8, 0x7f800000
	s_mul_hi_i32 s1, s24, s11
	s_cmp_lg_u64 s[0:1], 0
	s_mul_i32 s8, s24, s11
	s_cbranch_scc0 .LBB45_19
.LBB45_9:
	s_add_u32 s2, s22, 0
	s_addc_u32 s3, 0, 0
	s_xor_b64 s[2:3], s[2:3], 0
	v_cvt_f32_u32_e32 v4, s2
	v_cvt_f32_u32_e32 v5, s3
	s_sub_u32 s9, 0, s2
	s_subb_u32 s25, 0, s3
	v_fmac_f32_e32 v4, 0x4f800000, v5
	v_rcp_f32_e32 v4, v4
	s_nop 0
	v_mul_f32_e32 v4, 0x5f7ffffc, v4
	v_mul_f32_e32 v5, 0x2f800000, v4
	v_trunc_f32_e32 v5, v5
	v_fmac_f32_e32 v4, 0xcf800000, v5
	v_cvt_u32_f32_e32 v5, v5
	v_cvt_u32_f32_e32 v4, v4
	v_readfirstlane_b32 s26, v5
	v_readfirstlane_b32 s4, v4
	s_mul_i32 s5, s9, s26
	s_mul_hi_u32 s28, s9, s4
	s_mul_i32 s27, s25, s4
	s_add_i32 s5, s28, s5
	s_mul_i32 s29, s9, s4
	s_add_i32 s5, s5, s27
	s_mul_i32 s28, s4, s5
	s_mul_hi_u32 s30, s4, s29
	s_mul_hi_u32 s27, s4, s5
	s_add_u32 s28, s30, s28
	s_addc_u32 s27, 0, s27
	s_mul_hi_u32 s31, s26, s29
	s_mul_i32 s29, s26, s29
	s_add_u32 s28, s28, s29
	s_mul_hi_u32 s30, s26, s5
	s_addc_u32 s27, s27, s31
	s_addc_u32 s28, s30, 0
	s_mul_i32 s5, s26, s5
	s_add_u32 s5, s27, s5
	s_addc_u32 s27, 0, s28
	s_add_u32 s28, s4, s5
	s_cselect_b64 s[4:5], -1, 0
	s_cmp_lg_u64 s[4:5], 0
	s_addc_u32 s26, s26, s27
	s_mul_i32 s4, s9, s26
	s_mul_hi_u32 s5, s9, s28
	s_add_i32 s4, s5, s4
	s_mul_i32 s25, s25, s28
	s_add_i32 s4, s4, s25
	s_mul_i32 s9, s9, s28
	s_mul_hi_u32 s25, s26, s9
	s_mul_i32 s27, s26, s9
	s_mul_i32 s30, s28, s4
	s_mul_hi_u32 s9, s28, s9
	s_mul_hi_u32 s29, s28, s4
	s_add_u32 s9, s9, s30
	s_addc_u32 s29, 0, s29
	s_add_u32 s9, s9, s27
	s_mul_hi_u32 s5, s26, s4
	s_addc_u32 s9, s29, s25
	s_addc_u32 s5, s5, 0
	s_mul_i32 s4, s26, s4
	s_add_u32 s4, s9, s4
	s_addc_u32 s9, 0, s5
	s_add_u32 s25, s28, s4
	s_cselect_b64 s[4:5], -1, 0
	s_cmp_lg_u64 s[4:5], 0
	s_addc_u32 s9, s26, s9
	s_ashr_i32 s4, s1, 31
	s_add_u32 s26, s8, s4
	s_mov_b32 s5, s4
	s_addc_u32 s27, s1, s4
	s_xor_b64 s[26:27], s[26:27], s[4:5]
	s_mul_i32 s28, s26, s9
	s_mul_hi_u32 s29, s26, s25
	s_mul_hi_u32 s1, s26, s9
	s_add_u32 s28, s29, s28
	s_addc_u32 s1, 0, s1
	s_mul_hi_u32 s30, s27, s25
	s_mul_i32 s25, s27, s25
	s_add_u32 s25, s28, s25
	s_mul_hi_u32 s29, s27, s9
	s_addc_u32 s1, s1, s30
	s_addc_u32 s25, s29, 0
	s_mul_i32 s9, s27, s9
	s_add_u32 s1, s1, s9
	s_addc_u32 s9, 0, s25
	s_mul_i32 s25, s2, s9
	s_mul_hi_u32 s28, s2, s1
	s_add_i32 s25, s28, s25
	s_mul_i32 s28, s3, s1
	s_add_i32 s25, s25, s28
	s_sub_i32 s30, s27, s25
	s_mul_i32 s28, s2, s1
	s_sub_u32 s26, s26, s28
	s_cselect_b64 s[28:29], -1, 0
	s_cmp_lg_u64 s[28:29], 0
	s_subb_u32 s33, s30, s3
	s_sub_u32 s34, s26, s2
	s_cselect_b64 s[30:31], -1, 0
	s_cmp_lg_u64 s[30:31], 0
	s_subb_u32 s30, s33, 0
	s_cmp_ge_u32 s30, s3
	s_cselect_b32 s31, -1, 0
	s_cmp_ge_u32 s34, s2
	s_cselect_b32 s33, -1, 0
	s_cmp_eq_u32 s30, s3
	s_cselect_b32 s30, s33, s31
	s_add_u32 s31, s1, 1
	s_addc_u32 s33, s9, 0
	s_add_u32 s34, s1, 2
	s_addc_u32 s35, s9, 0
	s_cmp_lg_u32 s30, 0
	s_cselect_b32 s30, s34, s31
	s_cselect_b32 s31, s35, s33
	s_cmp_lg_u64 s[28:29], 0
	s_subb_u32 s25, s27, s25
	s_cmp_ge_u32 s25, s3
	s_cselect_b32 s27, -1, 0
	s_cmp_ge_u32 s26, s2
	s_cselect_b32 s2, -1, 0
	s_cmp_eq_u32 s25, s3
	s_cselect_b32 s2, s2, s27
	s_cmp_lg_u32 s2, 0
	s_cselect_b32 s3, s31, s9
	s_cselect_b32 s2, s30, s1
	s_xor_b64 s[4:5], s[4:5], 0
	s_xor_b64 s[2:3], s[2:3], s[4:5]
	s_sub_u32 s4, s2, s4
	s_cbranch_execnz .LBB45_11
.LBB45_10:
	s_sub_i32 s1, 0, s22
	v_readfirstlane_b32 s2, v7
	s_mul_i32 s1, s1, s2
	s_mul_hi_u32 s1, s2, s1
	s_add_i32 s2, s2, s1
	s_mul_hi_u32 s1, s8, s2
	s_mul_i32 s3, s1, s22
	s_sub_i32 s3, s8, s3
	s_add_i32 s2, s1, 1
	s_sub_i32 s4, s3, s22
	s_cmp_ge_u32 s3, s22
	s_cselect_b32 s1, s2, s1
	s_cselect_b32 s3, s4, s3
	s_add_i32 s2, s1, 1
	s_cmp_ge_u32 s3, s22
	s_cselect_b32 s4, s2, s1
.LBB45_11:
	s_cmp_lg_u32 s6, s4
	s_cbranch_scc0 .LBB45_15
; %bb.12:
	s_add_i32 s1, s24, s22
	s_lshl_b32 s1, s1, 3
	s_add_i32 s2, s1, s15
	s_mov_b32 s3, s0
	s_lshl_b64 s[2:3], s[2:3], 3
	s_add_u32 s8, s18, s2
	s_mul_hi_u32 s1, s4, s12
	s_addc_u32 s9, s19, s3
	s_add_i32 s1, s1, s4
	s_lshr_b32 s1, s1, s13
	s_mul_i32 s2, s1, s14
	s_cmp_eq_u32 s2, s4
	s_cselect_b64 s[2:3], -1, 0
	s_cmp_lt_u32 s1, s7
	s_cselect_b64 s[26:27], -1, 0
	s_or_b64 s[26:27], s[26:27], s[2:3]
	s_mov_b64 s[2:3], -1
	s_and_b64 vcc, exec, s[26:27]
	s_mov_b32 s1, s24
	s_mov_b32 s25, s6
	s_cbranch_vccnz .LBB45_14
; %bb.13:
	s_add_i32 s1, s24, -1
	s_mov_b64 s[2:3], 0
	s_mov_b32 s25, s4
.LBB45_14:
	v_lshl_add_u32 v4, s24, 9, v6
	v_ashrrev_i32_e32 v5, 31, v4
	v_lshl_add_u64 v[4:5], v[4:5], 2, s[16:17]
	global_load_dword v5, v[4:5], off
	s_load_dwordx2 s[4:5], s[8:9], 0x0
	v_max_f32_e32 v4, v9, v9
	s_waitcnt lgkmcnt(0)
	v_max_f32_e64 v10, s4, s4
	v_max_f32_e32 v10, v4, v10
	v_sub_f32_e32 v11, v9, v10
	v_sub_f32_e32 v13, s4, v10
	v_mul_f32_e32 v4, 0x3fb8aa3b, v11
	v_mul_f32_e32 v12, 0x3fb8aa3b, v13
	v_fma_f32 v14, v11, s10, -v4
	v_rndne_f32_e32 v15, v4
	v_fma_f32 v16, v13, s10, -v12
	v_rndne_f32_e32 v17, v12
	v_fmac_f32_e32 v14, 0x32a5705f, v11
	v_sub_f32_e32 v4, v4, v15
	v_fmac_f32_e32 v16, 0x32a5705f, v13
	v_sub_f32_e32 v12, v12, v17
	v_add_f32_e32 v4, v4, v14
	v_cvt_i32_f32_e32 v15, v15
	v_add_f32_e32 v12, v12, v16
	v_exp_f32_e32 v14, v4
	v_cvt_i32_f32_e32 v17, v17
	v_exp_f32_e32 v12, v12
	v_cmp_ngt_f32_e32 vcc, s20, v11
	v_ldexp_f32 v14, v14, v15
	v_mov_b32_e32 v4, s5
	v_ldexp_f32 v12, v12, v17
	v_cndmask_b32_e32 v14, 0, v14, vcc
	v_cmp_ngt_f32_e32 vcc, s20, v13
	s_nop 1
	v_cndmask_b32_e32 v12, 0, v12, vcc
	v_cmp_nlt_f32_e32 vcc, s21, v11
	s_nop 1
	v_cndmask_b32_e32 v14, v8, v14, vcc
	v_cmp_nlt_f32_e32 vcc, s21, v13
	s_nop 1
	v_cndmask_b32_e32 v15, v8, v12, vcc
	v_cmp_le_f32_e32 vcc, s23, v11
	s_nop 1
	v_cndmask_b32_e32 v12, 0, v14, vcc
	v_cmp_le_f32_e32 vcc, s23, v13
	s_nop 1
	v_cndmask_b32_e32 v14, 0, v15, vcc
	s_waitcnt vmcnt(0)
	v_pk_mul_f32 v[4:5], v[4:5], v[14:15] op_sel_hi:[1,0]
	s_nop 0
	v_pk_fma_f32 v[4:5], v[0:1], v[12:13], v[4:5] op_sel_hi:[1,0,1]
	s_cbranch_execz .LBB45_16
	s_branch .LBB45_17
.LBB45_15:
                                        ; implicit-def: $vgpr4_vgpr5
                                        ; implicit-def: $sgpr2_sgpr3
                                        ; implicit-def: $vgpr10
                                        ; implicit-def: $sgpr1
                                        ; implicit-def: $sgpr25
.LBB45_16:
	s_add_i32 s1, s24, -1
	s_mov_b64 s[2:3], 0
	s_mov_b32 s25, s6
	v_mov_b32_e32 v10, v9
	s_waitcnt vmcnt(0)
	v_mov_b64_e32 v[4:5], v[0:1]
.LBB45_17:
	s_andn2_b64 vcc, exec, s[2:3]
	s_cbranch_vccz .LBB45_22
; %bb.18:
	s_mov_b32 s6, s25
	s_mov_b32 s24, s1
	v_mov_b32_e32 v9, v10
	s_waitcnt vmcnt(0)
	v_mov_b64_e32 v[0:1], v[4:5]
	s_mul_hi_i32 s1, s24, s11
	s_cmp_lg_u64 s[0:1], 0
	s_mul_i32 s8, s24, s11
	s_cbranch_scc1 .LBB45_9
.LBB45_19:
                                        ; implicit-def: $sgpr4_sgpr5
	s_branch .LBB45_10
.LBB45_20:
                                        ; implicit-def: $sgpr6_sgpr7
	s_load_dwordx4 s[12:15], s[0:1], 0x44
	s_branch .LBB45_2
.LBB45_21:
                                        ; implicit-def: $sgpr18_sgpr19
	s_branch .LBB45_5
.LBB45_22:
	v_div_scale_f32 v0, s[0:1], v4, v4, v5
	s_waitcnt vmcnt(0)
	v_rcp_f32_e32 v1, v0
	v_div_scale_f32 v6, vcc, v5, v4, v5
	v_fma_f32 v7, -v0, v1, 1.0
	v_fmac_f32_e32 v1, v7, v1
	v_mul_f32_e32 v7, v6, v1
	v_fma_f32 v8, -v0, v7, v6
	v_fmac_f32_e32 v7, v8, v1
	v_fma_f32 v0, -v0, v7, v6
	v_div_fmas_f32 v0, v0, v1, v7
	v_div_fixup_f32 v0, v0, v4, v5
	global_store_dword v[2:3], v0, off
.LBB45_23:
	s_endpgm
	.section	.rodata,"a",@progbits
	.p2align	6, 0x0
	.amdhsa_kernel _ZL33flash_attn_stream_k_fixup_generalILi64ELi4ELi2EEvPfPK15HIP_vector_typeIfLj2EEiiiiS1_IjLj3EES5_S5_S5_
		.amdhsa_group_segment_fixed_size 0
		.amdhsa_private_segment_fixed_size 0
		.amdhsa_kernarg_size 336
		.amdhsa_user_sgpr_count 2
		.amdhsa_user_sgpr_dispatch_ptr 0
		.amdhsa_user_sgpr_queue_ptr 0
		.amdhsa_user_sgpr_kernarg_segment_ptr 1
		.amdhsa_user_sgpr_dispatch_id 0
		.amdhsa_user_sgpr_kernarg_preload_length 0
		.amdhsa_user_sgpr_kernarg_preload_offset 0
		.amdhsa_user_sgpr_private_segment_size 0
		.amdhsa_uses_dynamic_stack 0
		.amdhsa_enable_private_segment 0
		.amdhsa_system_sgpr_workgroup_id_x 1
		.amdhsa_system_sgpr_workgroup_id_y 1
		.amdhsa_system_sgpr_workgroup_id_z 1
		.amdhsa_system_sgpr_workgroup_info 0
		.amdhsa_system_vgpr_workitem_id 0
		.amdhsa_next_free_vgpr 18
		.amdhsa_next_free_sgpr 36
		.amdhsa_accum_offset 20
		.amdhsa_reserve_vcc 1
		.amdhsa_float_round_mode_32 0
		.amdhsa_float_round_mode_16_64 0
		.amdhsa_float_denorm_mode_32 3
		.amdhsa_float_denorm_mode_16_64 3
		.amdhsa_dx10_clamp 1
		.amdhsa_ieee_mode 1
		.amdhsa_fp16_overflow 0
		.amdhsa_tg_split 0
		.amdhsa_exception_fp_ieee_invalid_op 0
		.amdhsa_exception_fp_denorm_src 0
		.amdhsa_exception_fp_ieee_div_zero 0
		.amdhsa_exception_fp_ieee_overflow 0
		.amdhsa_exception_fp_ieee_underflow 0
		.amdhsa_exception_fp_ieee_inexact 0
		.amdhsa_exception_int_div_zero 0
	.end_amdhsa_kernel
	.section	.text._ZL33flash_attn_stream_k_fixup_generalILi64ELi4ELi2EEvPfPK15HIP_vector_typeIfLj2EEiiiiS1_IjLj3EES5_S5_S5_,"axG",@progbits,_ZL33flash_attn_stream_k_fixup_generalILi64ELi4ELi2EEvPfPK15HIP_vector_typeIfLj2EEiiiiS1_IjLj3EES5_S5_S5_,comdat
.Lfunc_end45:
	.size	_ZL33flash_attn_stream_k_fixup_generalILi64ELi4ELi2EEvPfPK15HIP_vector_typeIfLj2EEiiiiS1_IjLj3EES5_S5_S5_, .Lfunc_end45-_ZL33flash_attn_stream_k_fixup_generalILi64ELi4ELi2EEvPfPK15HIP_vector_typeIfLj2EEiiiiS1_IjLj3EES5_S5_S5_
                                        ; -- End function
	.set _ZL33flash_attn_stream_k_fixup_generalILi64ELi4ELi2EEvPfPK15HIP_vector_typeIfLj2EEiiiiS1_IjLj3EES5_S5_S5_.num_vgpr, 18
	.set _ZL33flash_attn_stream_k_fixup_generalILi64ELi4ELi2EEvPfPK15HIP_vector_typeIfLj2EEiiiiS1_IjLj3EES5_S5_S5_.num_agpr, 0
	.set _ZL33flash_attn_stream_k_fixup_generalILi64ELi4ELi2EEvPfPK15HIP_vector_typeIfLj2EEiiiiS1_IjLj3EES5_S5_S5_.numbered_sgpr, 36
	.set _ZL33flash_attn_stream_k_fixup_generalILi64ELi4ELi2EEvPfPK15HIP_vector_typeIfLj2EEiiiiS1_IjLj3EES5_S5_S5_.num_named_barrier, 0
	.set _ZL33flash_attn_stream_k_fixup_generalILi64ELi4ELi2EEvPfPK15HIP_vector_typeIfLj2EEiiiiS1_IjLj3EES5_S5_S5_.private_seg_size, 0
	.set _ZL33flash_attn_stream_k_fixup_generalILi64ELi4ELi2EEvPfPK15HIP_vector_typeIfLj2EEiiiiS1_IjLj3EES5_S5_S5_.uses_vcc, 1
	.set _ZL33flash_attn_stream_k_fixup_generalILi64ELi4ELi2EEvPfPK15HIP_vector_typeIfLj2EEiiiiS1_IjLj3EES5_S5_S5_.uses_flat_scratch, 0
	.set _ZL33flash_attn_stream_k_fixup_generalILi64ELi4ELi2EEvPfPK15HIP_vector_typeIfLj2EEiiiiS1_IjLj3EES5_S5_S5_.has_dyn_sized_stack, 0
	.set _ZL33flash_attn_stream_k_fixup_generalILi64ELi4ELi2EEvPfPK15HIP_vector_typeIfLj2EEiiiiS1_IjLj3EES5_S5_S5_.has_recursion, 0
	.set _ZL33flash_attn_stream_k_fixup_generalILi64ELi4ELi2EEvPfPK15HIP_vector_typeIfLj2EEiiiiS1_IjLj3EES5_S5_S5_.has_indirect_call, 0
	.section	.AMDGPU.csdata,"",@progbits
; Kernel info:
; codeLenInByte = 2940
; TotalNumSgprs: 42
; NumVgprs: 18
; NumAgprs: 0
; TotalNumVgprs: 18
; ScratchSize: 0
; MemoryBound: 0
; FloatMode: 240
; IeeeMode: 1
; LDSByteSize: 0 bytes/workgroup (compile time only)
; SGPRBlocks: 5
; VGPRBlocks: 2
; NumSGPRsForWavesPerEU: 42
; NumVGPRsForWavesPerEU: 18
; AccumOffset: 20
; Occupancy: 8
; WaveLimiterHint : 0
; COMPUTE_PGM_RSRC2:SCRATCH_EN: 0
; COMPUTE_PGM_RSRC2:USER_SGPR: 2
; COMPUTE_PGM_RSRC2:TRAP_HANDLER: 0
; COMPUTE_PGM_RSRC2:TGID_X_EN: 1
; COMPUTE_PGM_RSRC2:TGID_Y_EN: 1
; COMPUTE_PGM_RSRC2:TGID_Z_EN: 1
; COMPUTE_PGM_RSRC2:TIDIG_COMP_CNT: 0
; COMPUTE_PGM_RSRC3_GFX90A:ACCUM_OFFSET: 4
; COMPUTE_PGM_RSRC3_GFX90A:TG_SPLIT: 0
	.section	.text._ZL15flash_attn_tileILi64ELi64ELi2ELi2ELb0EEvPKcS1_S1_S1_S1_PKiPfP15HIP_vector_typeIfLj2EEffffjfiS5_IjLj3EEiiiiiiiiiiiliiliiiiil,"axG",@progbits,_ZL15flash_attn_tileILi64ELi64ELi2ELi2ELb0EEvPKcS1_S1_S1_S1_PKiPfP15HIP_vector_typeIfLj2EEffffjfiS5_IjLj3EEiiiiiiiiiiiliiliiiiil,comdat
	.globl	_ZL15flash_attn_tileILi64ELi64ELi2ELi2ELb0EEvPKcS1_S1_S1_S1_PKiPfP15HIP_vector_typeIfLj2EEffffjfiS5_IjLj3EEiiiiiiiiiiiliiliiiiil ; -- Begin function _ZL15flash_attn_tileILi64ELi64ELi2ELi2ELb0EEvPKcS1_S1_S1_S1_PKiPfP15HIP_vector_typeIfLj2EEffffjfiS5_IjLj3EEiiiiiiiiiiiliiliiiiil
	.p2align	8
	.type	_ZL15flash_attn_tileILi64ELi64ELi2ELi2ELb0EEvPKcS1_S1_S1_S1_PKiPfP15HIP_vector_typeIfLj2EEffffjfiS5_IjLj3EEiiiiiiiiiiiliiliiiiil,@function
_ZL15flash_attn_tileILi64ELi64ELi2ELi2ELb0EEvPKcS1_S1_S1_S1_PKiPfP15HIP_vector_typeIfLj2EEffffjfiS5_IjLj3EEiiiiiiiiiiiliiliiiiil: ; @_ZL15flash_attn_tileILi64ELi64ELi2ELi2ELb0EEvPKcS1_S1_S1_S1_PKiPfP15HIP_vector_typeIfLj2EEffffjfiS5_IjLj3EEiiiiiiiiiiiliiliiiiil
; %bb.0:
	s_load_dwordx4 s[20:23], s[0:1], 0x5c
	s_load_dwordx2 s[24:25], s[0:1], 0x80
	s_load_dwordx2 s[28:29], s[0:1], 0xb8
	s_mov_b64 s[26:27], 0
	s_waitcnt lgkmcnt(0)
	s_lshr_b32 s5, s23, 31
	s_add_i32 s5, s23, s5
	s_ashr_i32 s5, s5, 1
	v_cvt_f32_u32_e32 v1, s5
	s_sub_i32 s6, 0, s5
	v_rcp_iflag_f32_e32 v1, v1
	s_nop 0
	v_mul_f32_e32 v1, 0x4f7ffffe, v1
	v_cvt_u32_f32_e32 v1, v1
	s_nop 0
	v_readfirstlane_b32 s7, v1
	s_mul_i32 s6, s6, s7
	s_mul_hi_u32 s6, s7, s6
	s_add_i32 s7, s7, s6
	s_mul_hi_u32 s6, s4, s7
	s_mul_i32 s7, s6, s5
	s_sub_i32 s7, s4, s7
	s_add_i32 s8, s6, 1
	s_sub_i32 s9, s7, s5
	s_cmp_ge_u32 s7, s5
	s_cselect_b32 s6, s8, s6
	s_cselect_b32 s7, s9, s7
	s_add_i32 s8, s6, 1
	s_cmp_ge_u32 s7, s5
	s_cselect_b32 s30, s8, s6
	s_abs_i32 s5, s25
	v_cvt_f32_u32_e32 v1, s5
	s_lshl_b32 s4, s4, 1
	s_mul_i32 s8, s30, s23
	s_xor_b32 s6, s23, s25
	v_rcp_iflag_f32_e32 v1, v1
	s_sub_i32 s9, 0, s5
	s_sub_i32 s25, s4, s8
	s_abs_i32 s7, s23
	v_mul_f32_e32 v1, 0x4f7ffffe, v1
	v_cvt_u32_f32_e32 v1, v1
	s_ashr_i32 s6, s6, 31
	v_readfirstlane_b32 s4, v1
	s_mul_i32 s9, s9, s4
	s_mul_hi_u32 s8, s4, s9
	s_add_i32 s4, s4, s8
	s_mul_hi_u32 s4, s7, s4
	s_mul_i32 s8, s4, s5
	s_sub_i32 s7, s7, s8
	s_add_i32 s9, s4, 1
	s_sub_i32 s8, s7, s5
	s_cmp_ge_u32 s7, s5
	s_cselect_b32 s4, s9, s4
	s_cselect_b32 s7, s8, s7
	s_add_i32 s8, s4, 1
	s_cmp_ge_u32 s7, s5
	s_cselect_b32 s4, s8, s4
	s_xor_b32 s4, s4, s6
	s_sub_i32 s33, s4, s6
	s_abs_i32 s31, s33
	v_cvt_f32_u32_e32 v1, s31
	s_load_dwordx16 s[4:19], s[0:1], 0x0
	v_rcp_iflag_f32_e32 v1, v1
	s_waitcnt lgkmcnt(0)
	s_cmp_eq_u64 s[10:11], 0
	v_mul_f32_e32 v1, 0x4f7ffffe, v1
	v_cvt_u32_f32_e32 v1, v1
	s_nop 0
	v_readfirstlane_b32 s34, v1
	s_cbranch_scc1 .LBB46_2
; %bb.1:
	s_abs_i32 s28, s28
	v_cvt_f32_u32_e32 v1, s28
	s_sub_i32 s37, 0, s28
	s_abs_i32 s36, s30
	s_ashr_i32 s35, s30, 31
	v_rcp_iflag_f32_e32 v1, v1
	s_load_dwordx2 s[26:27], s[0:1], 0xc8
	v_mul_f32_e32 v1, 0x4f7ffffe, v1
	v_cvt_u32_f32_e32 v1, v1
	s_nop 0
	v_readfirstlane_b32 s38, v1
	s_mul_i32 s37, s37, s38
	s_mul_hi_u32 s37, s38, s37
	s_add_i32 s38, s38, s37
	s_mul_hi_u32 s37, s36, s38
	s_mul_i32 s37, s37, s28
	s_sub_i32 s36, s36, s37
	s_sub_i32 s37, s36, s28
	s_cmp_ge_u32 s36, s28
	s_cselect_b32 s36, s37, s36
	s_sub_i32 s37, s36, s28
	s_cmp_ge_u32 s36, s28
	s_cselect_b32 s28, s37, s36
	s_xor_b32 s28, s28, s35
	s_sub_i32 s28, s28, s35
	s_ashr_i32 s35, s28, 31
	s_waitcnt lgkmcnt(0)
	s_mul_hi_u32 s36, s26, s28
	s_mul_i32 s35, s26, s35
	s_mul_i32 s27, s27, s28
	s_add_i32 s35, s36, s35
	s_add_i32 s35, s35, s27
	s_mul_i32 s26, s26, s28
	s_add_u32 s26, s10, s26
	s_addc_u32 s27, s11, s35
.LBB46_2:
	s_load_dwordx4 s[36:39], s[0:1], 0x70
	v_lshrrev_b32_e32 v1, 10, v0
	v_bfe_u32 v1, v1, 1, 9
	v_lshl_add_u32 v24, s2, 1, v1
	v_mul_hi_u32 v1, s20, v24
	s_waitcnt lgkmcnt(0)
	s_mul_i32 s10, s30, s38
	s_ashr_i32 s28, s10, 31
	s_mul_i32 s11, s25, s37
	s_add_u32 s4, s4, s10
	s_addc_u32 s5, s5, s28
	s_ashr_i32 s10, s11, 31
	s_add_u32 s4, s4, s11
	v_add_u32_e32 v1, v24, v1
	s_addc_u32 s5, s5, s10
	s_ashr_i32 s11, s37, 31
	s_mov_b32 s10, s37
	v_lshrrev_b32_e32 v1, s21, v1
	v_bfe_u32 v3, v0, 10, 1
	s_lshr_b64 s[38:39], s[10:11], 2
	s_lshr_b32 s10, s11, 2
	v_mul_lo_u32 v1, v1, s22
	s_ashr_i32 s37, s36, 31
	v_mul_lo_u32 v5, s10, v3
	v_sub_u32_e32 v12, v24, v1
	s_lshr_b64 s[10:11], s[36:37], 2
	v_mad_u64_u32 v[6:7], s[10:11], s10, v12, 0
	v_mov_b32_e32 v2, v7
	s_lshr_b32 s10, s37, 2
	v_mul_lo_u32 v4, s38, v3
	v_mad_u64_u32 v[8:9], s[10:11], s10, v12, v[2:3]
	v_mov_b32_e32 v7, v8
	v_and_b32_e32 v2, 0x3ff, v0
	v_lshl_add_u64 v[4:5], v[4:5], 2, s[4:5]
	v_lshl_add_u64 v[4:5], v[6:7], 2, v[4:5]
	v_lshlrev_b32_e32 v6, 3, v2
	v_mov_b32_e32 v7, 0
	v_lshl_add_u64 v[4:5], v[4:5], 0, v[6:7]
	global_load_dwordx2 v[4:5], v[4:5], off
	s_load_dword s4, s[0:1], 0x40
	v_bfe_u32 v1, v0, 10, 10
	v_lshlrev_b32_e32 v0, 7, v1
	v_add_u32_e32 v25, 0x2600, v0
	v_lshl_add_u32 v6, v2, 2, v25
	s_cmp_eq_u64 s[14:15], 0
	s_waitcnt vmcnt(0) lgkmcnt(0)
	v_fma_mixlo_f16 v5, s4, v5, 0
	v_fma_mixlo_f16 v4, s4, v4, 0
	v_lshlrev_b32_e32 v5, 16, v5
	v_or_b32_sdwa v4, v5, v4 dst_sel:DWORD dst_unused:UNUSED_PAD src0_sel:DWORD src1_sel:WORD_0
	ds_write_b32 v6, v4
	s_waitcnt lgkmcnt(0)
	s_barrier
	s_cbranch_scc1 .LBB46_4
; %bb.3:
	s_load_dword s4, s[0:1], 0xd0
	s_mov_b32 s5, 0
	s_waitcnt lgkmcnt(0)
	s_mul_i32 s4, s4, s30
	s_add_i32 s4, s4, s2
	s_lshl_b64 s[4:5], s[4:5], 2
	s_add_u32 s4, s14, s4
	s_addc_u32 s5, s15, s5
	s_load_dword s24, s[4:5], 0x0
.LBB46_4:
	s_lshl_b32 s2, s3, 6
	s_waitcnt lgkmcnt(0)
	s_cmp_lt_i32 s2, s24
	v_mbcnt_lo_u32_b32 v23, -1, 0
	s_cbranch_scc1 .LBB46_7
; %bb.5:
	v_mbcnt_hi_u32_b32 v13, -1, v23
	v_and_b32_e32 v4, 0x60, v13
	v_add_u32_e32 v26, 32, v4
	v_xor_b32_e32 v32, 16, v13
	v_xor_b32_e32 v30, 8, v13
	;; [unrolled: 1-line block ×5, first 2 shown]
	s_cbranch_execz .LBB46_8
; %bb.6:
	v_mov_b32_e32 v23, 0
	v_mov_b32_e32 v22, 0xfeffffff
	;; [unrolled: 1-line block ×3, first 2 shown]
	s_branch .LBB46_10
.LBB46_7:
                                        ; implicit-def: $vgpr13
                                        ; implicit-def: $vgpr26
                                        ; implicit-def: $vgpr32
                                        ; implicit-def: $vgpr30
                                        ; implicit-def: $vgpr29
                                        ; implicit-def: $vgpr28
                                        ; implicit-def: $vgpr27
.LBB46_8:
	s_sub_i32 s4, 0, s31
	s_mul_i32 s4, s4, s34
	s_mul_hi_u32 s4, s34, s4
	s_add_i32 s34, s34, s4
	s_load_dwordx2 s[4:5], s[0:1], 0x8c
	s_load_dwordx4 s[36:39], s[0:1], 0x98
	s_abs_i32 s14, s25
	s_mul_hi_u32 s15, s14, s34
	s_ashr_i32 s28, s25, 31
	s_waitcnt lgkmcnt(0)
	s_ashr_i32 s11, s4, 2
	s_ashr_i32 s4, s29, 1
	;; [unrolled: 1-line block ×3, first 2 shown]
	s_mul_hi_u32 s34, s36, s30
	s_mul_i32 s35, s36, s29
	s_add_i32 s34, s34, s35
	s_mul_i32 s35, s37, s30
	s_ashr_i32 s33, s33, 31
	s_ashr_i32 s10, s38, 2
	s_add_i32 s34, s34, s35
	s_mul_i32 s35, s36, s30
	s_add_u32 s6, s6, s35
	s_addc_u32 s7, s7, s34
	s_xor_b32 s28, s28, s33
	s_mul_i32 s33, s15, s31
	s_sub_i32 s14, s14, s33
	s_add_i32 s33, s15, 1
	s_sub_i32 s34, s14, s31
	s_cmp_ge_u32 s14, s31
	s_cselect_b32 s15, s33, s15
	s_cselect_b32 s14, s34, s14
	s_add_i32 s33, s15, 1
	s_cmp_ge_u32 s14, s31
	s_load_dwordx2 s[20:21], s[0:1], 0xa8
	s_cselect_b32 s14, s33, s15
	s_xor_b32 s14, s14, s28
	s_sub_i32 s28, s14, s28
	s_mul_i32 s5, s28, s5
	s_ashr_i32 s15, s5, 31
	s_add_u32 s14, s6, s5
	s_waitcnt lgkmcnt(0)
	s_mul_hi_u32 s5, s20, s30
	s_mul_i32 s6, s20, s29
	s_addc_u32 s15, s7, s15
	s_add_i32 s5, s5, s6
	s_mul_i32 s6, s21, s30
	s_add_i32 s5, s5, s6
	s_mul_i32 s6, s20, s30
	s_add_u32 s6, s8, s6
	s_mul_i32 s28, s28, s39
	s_addc_u32 s5, s9, s5
	s_ashr_i32 s7, s28, 31
	v_lshlrev_b32_e32 v33, 2, v2
	s_add_u32 s20, s6, s28
	v_lshrrev_b32_e32 v4, 3, v2
	v_and_b32_e32 v26, 28, v33
	s_addc_u32 s21, s5, s7
	v_lshl_add_u32 v14, v1, 2, v4
	v_lshlrev_b32_e32 v15, 2, v26
	s_movk_i32 s5, 0x90
	v_mad_u32_u24 v34, v14, s5, v15
	v_mul_lo_u32 v4, s11, v14
	s_lshl_b32 s5, s11, 4
	v_add_u32_e32 v6, s5, v4
	v_add_u32_e32 v8, s5, v6
	;; [unrolled: 1-line block ×3, first 2 shown]
	v_mad_u64_u32 v[12:13], s[4:5], v12, s4, v[2:3]
	v_lshl_or_b32 v41, v14, 7, v15
	v_mul_lo_u32 v14, s10, v14
	s_lshl_b32 s4, s10, 4
	v_add_u32_e32 v16, s4, v14
	v_add_u32_e32 v18, s4, v16
	v_mbcnt_hi_u32_b32 v13, -1, v23
	v_mov_b32_e32 v1, 0
	v_add_u32_e32 v39, 0x2400, v0
	v_add_u32_e32 v20, s4, v18
	s_add_u32 s8, s0, 0xd0
	v_and_b32_e32 v23, 0x60, v13
	v_ashrrev_i32_e32 v5, 31, v4
	v_add_u32_e32 v35, 0x900, v34
	v_ashrrev_i32_e32 v7, 31, v6
	v_add_u32_e32 v36, 0x1200, v34
	;; [unrolled: 2-line block ×3, first 2 shown]
	v_ashrrev_i32_e32 v11, 31, v10
	v_mul_u32_u24_e32 v38, 0x90, v2
	v_lshl_add_u32 v40, v2, 1, v39
	v_ashrrev_i32_e32 v15, 31, v14
	v_add_u32_e32 v42, 0x800, v41
	v_ashrrev_i32_e32 v17, 31, v16
	v_add_u32_e32 v43, 0x1000, v41
	;; [unrolled: 2-line block ×3, first 2 shown]
	v_ashrrev_i32_e32 v21, 31, v20
	s_addc_u32 s9, s1, 0
	v_mov_b32_e32 v22, 0xfeffffff
	v_lshlrev_b32_e32 v0, 2, v26
	v_add_u32_e32 v26, 32, v23
	v_xor_b32_e32 v32, 16, v13
	v_xor_b32_e32 v30, 8, v13
	;; [unrolled: 1-line block ×5, first 2 shown]
	s_mov_b32 s28, 0x3fb8aa3b
	s_mov_b32 s29, 0xc2ce8ed0
	;; [unrolled: 1-line block ×3, first 2 shown]
	v_mov_b32_e32 v45, 0x7f800000
	s_mov_b32 s33, 0x10001
	v_add_u32_e32 v46, 0x400, v33
	v_add_u32_e32 v47, 0x800, v33
	;; [unrolled: 1-line block ×7, first 2 shown]
	v_mov_b32_e32 v31, v1
	v_mov_b32_e32 v23, v1
.LBB46_9:                               ; =>This Inner Loop Header: Depth=1
	v_cmp_lt_i32_e32 vcc, v32, v26
	s_mul_hi_i32 s5, s2, s11
	s_mul_i32 s4, s2, s11
	v_cndmask_b32_e32 v56, v13, v32, vcc
	v_cmp_lt_i32_e32 vcc, v30, v26
	s_lshl_b64 s[4:5], s[4:5], 2
	s_add_u32 s4, s14, s4
	v_cndmask_b32_e32 v57, v13, v30, vcc
	v_cmp_lt_i32_e32 vcc, v29, v26
	s_addc_u32 s5, s15, s5
	v_lshlrev_b32_e32 v81, 2, v56
	v_cndmask_b32_e32 v58, v13, v29, vcc
	v_cmp_lt_i32_e32 vcc, v28, v26
	v_lshlrev_b32_e32 v82, 2, v57
	v_lshlrev_b32_e32 v83, 2, v58
	v_cndmask_b32_e32 v59, v13, v28, vcc
	v_cmp_lt_i32_e32 vcc, v27, v26
	v_lshlrev_b32_e32 v84, 2, v59
	v_lshl_add_u64 v[56:57], v[4:5], 2, s[4:5]
	v_cndmask_b32_e32 v60, v13, v27, vcc
	v_lshl_add_u64 v[58:59], v[6:7], 2, s[4:5]
	v_lshlrev_b32_e32 v85, 2, v60
	v_lshl_add_u64 v[60:61], v[8:9], 2, s[4:5]
	v_lshl_add_u64 v[62:63], v[10:11], 2, s[4:5]
	;; [unrolled: 1-line block ×6, first 2 shown]
	global_load_dwordx4 v[56:59], v[68:69], off
	global_load_dwordx4 v[60:63], v[70:71], off
	;; [unrolled: 1-line block ×3, first 2 shown]
                                        ; kill: killed $vgpr72_vgpr73
                                        ; kill: killed $vgpr70_vgpr71
                                        ; kill: killed $vgpr68_vgpr69
	s_nop 0
	global_load_dwordx4 v[68:71], v[74:75], off
	v_mov_b32_e32 v53, 0
	v_mov_b32_e32 v54, 0
	;; [unrolled: 1-line block ×3, first 2 shown]
	v_add_u32_e32 v22, s2, v12
	v_mov_b32_e32 v80, v23
	v_ashrrev_i32_e32 v23, 31, v22
	v_lshl_add_u64 v[22:23], v[22:23], 1, s[26:27]
	s_mul_hi_i32 s7, s2, s10
	s_mul_i32 s6, s2, s10
	s_lshl_b64 s[6:7], s[6:7], 2
	s_add_u32 s4, s20, s6
	s_addc_u32 s5, s21, s7
	v_lshl_add_u64 v[72:73], v[14:15], 2, s[4:5]
	v_lshl_add_u64 v[74:75], v[16:17], 2, s[4:5]
	v_lshl_add_u64 v[76:77], v[18:19], 2, s[4:5]
	v_lshl_add_u64 v[78:79], v[20:21], 2, s[4:5]
	v_lshl_add_u64 v[72:73], v[72:73], 0, v[0:1]
	v_lshl_add_u64 v[74:75], v[74:75], 0, v[0:1]
	v_lshl_add_u64 v[76:77], v[76:77], 0, v[0:1]
	v_lshl_add_u64 v[78:79], v[78:79], 0, v[0:1]
	s_waitcnt vmcnt(3)
	ds_write_b128 v34, v[56:59]
	s_waitcnt vmcnt(2)
	ds_write_b128 v35, v[60:63]
	;; [unrolled: 2-line block ×4, first 2 shown]
	s_waitcnt lgkmcnt(0)
	s_barrier
	ds_read_b128 v[56:59], v38
	ds_read_b128 v[60:63], v25
	ds_read_b128 v[64:67], v38 offset:4608
	s_waitcnt lgkmcnt(1)
	;;#ASMSTART
	v_dot2_f32_f16 v53, v56, v60, v53
	;;#ASMEND
	s_nop 0
	;;#ASMSTART
	v_dot2_f32_f16 v53, v57, v61, v53
	;;#ASMEND
	s_nop 0
	;;#ASMSTART
	v_dot2_f32_f16 v53, v58, v62, v53
	;;#ASMEND
	s_nop 0
	;;#ASMSTART
	v_dot2_f32_f16 v53, v59, v63, v53
	;;#ASMEND
	s_waitcnt lgkmcnt(0)
	;;#ASMSTART
	v_dot2_f32_f16 v54, v64, v60, v54
	;;#ASMEND
	s_nop 0
	;;#ASMSTART
	v_dot2_f32_f16 v54, v65, v61, v54
	;;#ASMEND
	s_nop 0
	;;#ASMSTART
	v_dot2_f32_f16 v54, v66, v62, v54
	;;#ASMEND
	s_nop 0
	;;#ASMSTART
	v_dot2_f32_f16 v54, v67, v63, v54
	;;#ASMEND
	ds_read_b128 v[56:59], v38 offset:16
	ds_read_b128 v[60:63], v25 offset:16
	ds_read_b128 v[64:67], v38 offset:4624
	s_waitcnt lgkmcnt(1)
	;;#ASMSTART
	v_dot2_f32_f16 v53, v56, v60, v53
	;;#ASMEND
	s_nop 0
	;;#ASMSTART
	v_dot2_f32_f16 v53, v57, v61, v53
	;;#ASMEND
	s_nop 0
	;;#ASMSTART
	v_dot2_f32_f16 v53, v58, v62, v53
	;;#ASMEND
	s_nop 0
	;;#ASMSTART
	v_dot2_f32_f16 v53, v59, v63, v53
	;;#ASMEND
	s_waitcnt lgkmcnt(0)
	;;#ASMSTART
	v_dot2_f32_f16 v54, v64, v60, v54
	;;#ASMEND
	s_nop 0
	;;#ASMSTART
	v_dot2_f32_f16 v54, v65, v61, v54
	;;#ASMEND
	s_nop 0
	;;#ASMSTART
	v_dot2_f32_f16 v54, v66, v62, v54
	;;#ASMEND
	s_nop 0
	;;#ASMSTART
	v_dot2_f32_f16 v54, v67, v63, v54
	;;#ASMEND
	ds_read_b128 v[56:59], v38 offset:32
	ds_read_b128 v[60:63], v25 offset:32
	;; [unrolled: 35-line block ×7, first 2 shown]
	ds_read_b128 v[64:67], v38 offset:4720
	s_waitcnt lgkmcnt(1)
	;;#ASMSTART
	v_dot2_f32_f16 v53, v56, v60, v53
	;;#ASMEND
	s_nop 0
	;;#ASMSTART
	v_dot2_f32_f16 v53, v57, v61, v53
	;;#ASMEND
	s_nop 0
	;; [unrolled: 4-line block ×3, first 2 shown]
	;;#ASMSTART
	v_dot2_f32_f16 v53, v59, v63, v53
	;;#ASMEND
	s_waitcnt lgkmcnt(0)
	;;#ASMSTART
	v_dot2_f32_f16 v54, v64, v60, v54
	;;#ASMEND
	s_nop 0
	;;#ASMSTART
	v_dot2_f32_f16 v54, v65, v61, v54
	;;#ASMEND
	s_nop 0
	;; [unrolled: 4-line block ×3, first 2 shown]
	;;#ASMSTART
	v_dot2_f32_f16 v54, v67, v63, v54
	;;#ASMEND
	global_load_ushort v86, v[22:23], off
	s_nop 0
	global_load_ushort v22, v[22:23], off offset:64
	s_barrier
	global_load_dwordx4 v[56:59], v[72:73], off
	global_load_dwordx4 v[60:63], v[74:75], off
	global_load_dwordx4 v[64:67], v[76:77], off
                                        ; kill: killed $vgpr72_vgpr73
                                        ; kill: killed $vgpr74_vgpr75
                                        ; kill: killed $vgpr76_vgpr77
	global_load_dwordx4 v[68:71], v[78:79], off
	s_waitcnt vmcnt(5)
	v_cvt_f32_f16_e32 v23, v86
	s_waitcnt vmcnt(4)
	v_cvt_f32_f16_e32 v22, v22
	v_add_f32_e32 v23, v53, v23
	v_add_f32_e32 v53, v54, v22
	;; [unrolled: 1-line block ×4, first 2 shown]
	v_max3_f32 v22, v55, v22, v54
	ds_bpermute_b32 v54, v81, v22
	s_waitcnt lgkmcnt(0)
	v_max_f32_e32 v54, v54, v54
	v_max_f32_e32 v22, v22, v54
	ds_bpermute_b32 v54, v82, v22
	s_waitcnt lgkmcnt(0)
	v_max_f32_e32 v54, v54, v54
	v_max_f32_e32 v22, v22, v54
	;; [unrolled: 4-line block ×5, first 2 shown]
	v_sub_f32_e32 v23, v23, v22
	v_sub_f32_e32 v53, v53, v22
	;; [unrolled: 1-line block ×3, first 2 shown]
	v_mul_f32_e32 v55, 0x3fb8aa3b, v23
	v_mul_f32_e32 v72, 0x3fb8aa3b, v53
	;; [unrolled: 1-line block ×3, first 2 shown]
	v_fma_f32 v74, v23, s28, -v55
	v_rndne_f32_e32 v75, v55
	v_fma_f32 v76, v53, s28, -v72
	v_rndne_f32_e32 v77, v72
	;; [unrolled: 2-line block ×3, first 2 shown]
	v_fmac_f32_e32 v74, 0x32a5705f, v23
	v_sub_f32_e32 v55, v55, v75
	v_fmac_f32_e32 v76, 0x32a5705f, v53
	v_sub_f32_e32 v72, v72, v77
	;; [unrolled: 2-line block ×3, first 2 shown]
	v_add_f32_e32 v55, v55, v74
	v_add_f32_e32 v72, v72, v76
	;; [unrolled: 1-line block ×3, first 2 shown]
	v_cvt_i32_f32_e32 v75, v75
	v_cvt_i32_f32_e32 v77, v77
	v_cvt_i32_f32_e32 v79, v79
	v_exp_f32_e32 v55, v55
	v_exp_f32_e32 v72, v72
	;; [unrolled: 1-line block ×3, first 2 shown]
	v_cmp_ngt_f32_e32 vcc, s29, v23
	v_ldexp_f32 v55, v55, v75
	v_ldexp_f32 v72, v72, v77
	;; [unrolled: 1-line block ×3, first 2 shown]
	v_cmp_ngt_f32_e64 s[4:5], s29, v54
	v_cmp_ngt_f32_e64 s[6:7], s29, v53
	s_nop 1
	v_cndmask_b32_e64 v72, 0, v72, s[6:7]
	v_cmp_nlt_f32_e64 s[6:7], s31, v53
	v_cndmask_b32_e32 v53, 0, v55, vcc
	v_cndmask_b32_e64 v55, 0, v73, s[4:5]
	v_cmp_nlt_f32_e32 vcc, s31, v54
	v_cmp_nlt_f32_e64 s[4:5], s31, v23
	s_nop 0
	v_cndmask_b32_e32 v54, v45, v55, vcc
	v_cndmask_b32_e64 v23, v45, v53, s[4:5]
	v_cndmask_b32_e64 v53, v45, v72, s[6:7]
	v_cvt_f16_f32_e32 v55, v23
	v_cvt_f16_f32_e32 v86, v54
	;; [unrolled: 1-line block ×3, first 2 shown]
	v_add_f32_e32 v23, v23, v53
	v_fmac_f32_e32 v23, v80, v54
	ds_write_b16 v40, v55
	ds_write_b16 v40, v72 offset:64
	s_waitcnt vmcnt(3)
	ds_write_b128 v41, v[56:59]
	s_waitcnt vmcnt(2)
	ds_write_b128 v42, v[60:63]
	s_waitcnt vmcnt(1)
	ds_write_b128 v43, v[64:67]
	s_waitcnt vmcnt(0)
	ds_write_b128 v44, v[68:71]
	s_waitcnt lgkmcnt(0)
	s_barrier
	ds_read_b128 v[54:57], v39
	ds_read_b128 v[58:61], v39 offset:16
	ds_read_b128 v[62:65], v39 offset:32
	;; [unrolled: 1-line block ×7, first 2 shown]
	v_mul_u32_u24_e32 v53, 0x10001, v86
	ds_read2_b32 v[86:87], v33 offset1:32
	ds_read2_b32 v[88:89], v33 offset0:64 offset1:96
	s_waitcnt lgkmcnt(9)
	v_mul_u32_u24_sdwa v90, v54, s33 dst_sel:DWORD dst_unused:UNUSED_PAD src0_sel:WORD_0 src1_sel:DWORD
	v_mul_u32_u24_sdwa v91, v54, s33 dst_sel:DWORD dst_unused:UNUSED_PAD src0_sel:WORD_1 src1_sel:DWORD
	v_mul_u32_u24_sdwa v92, v55, s33 dst_sel:DWORD dst_unused:UNUSED_PAD src0_sel:WORD_0 src1_sel:DWORD
	v_mul_u32_u24_sdwa v93, v55, s33 dst_sel:DWORD dst_unused:UNUSED_PAD src0_sel:WORD_1 src1_sel:DWORD
	;; [unrolled: 2-line block ×3, first 2 shown]
	ds_read2_b32 v[54:55], v33 offset0:128 offset1:160
	s_waitcnt lgkmcnt(2)
	v_pk_mul_f16 v56, v86, v90
	v_mul_u32_u24_sdwa v96, v57, s33 dst_sel:DWORD dst_unused:UNUSED_PAD src0_sel:WORD_0 src1_sel:DWORD
	v_pk_fma_f16 v31, v31, v53, v56
	v_mul_u32_u24_sdwa v97, v57, s33 dst_sel:DWORD dst_unused:UNUSED_PAD src0_sel:WORD_1 src1_sel:DWORD
	ds_read2_b32 v[56:57], v33 offset0:192 offset1:224
	v_pk_fma_f16 v31, v87, v91, v31
	v_mul_u32_u24_sdwa v98, v58, s33 dst_sel:DWORD dst_unused:UNUSED_PAD src0_sel:WORD_0 src1_sel:DWORD
	s_waitcnt lgkmcnt(2)
	v_pk_fma_f16 v31, v88, v92, v31
	v_mul_u32_u24_sdwa v99, v58, s33 dst_sel:DWORD dst_unused:UNUSED_PAD src0_sel:WORD_1 src1_sel:DWORD
	v_pk_fma_f16 v31, v89, v93, v31
	v_mul_u32_u24_sdwa v100, v59, s33 dst_sel:DWORD dst_unused:UNUSED_PAD src0_sel:WORD_0 src1_sel:DWORD
	v_mul_u32_u24_sdwa v101, v59, s33 dst_sel:DWORD dst_unused:UNUSED_PAD src0_sel:WORD_1 src1_sel:DWORD
	v_mul_u32_u24_sdwa v102, v60, s33 dst_sel:DWORD dst_unused:UNUSED_PAD src0_sel:WORD_0 src1_sel:DWORD
	v_mul_u32_u24_sdwa v103, v60, s33 dst_sel:DWORD dst_unused:UNUSED_PAD src0_sel:WORD_1 src1_sel:DWORD
	;; [unrolled: 2-line block ×3, first 2 shown]
	ds_read2_b32 v[58:59], v46 offset1:32
	ds_read2_b32 v[60:61], v46 offset0:64 offset1:96
	s_waitcnt lgkmcnt(3)
	v_pk_fma_f16 v31, v54, v94, v31
	v_mul_u32_u24_sdwa v106, v62, s33 dst_sel:DWORD dst_unused:UNUSED_PAD src0_sel:WORD_0 src1_sel:DWORD
	v_pk_fma_f16 v31, v55, v95, v31
	v_mul_u32_u24_sdwa v107, v62, s33 dst_sel:DWORD dst_unused:UNUSED_PAD src0_sel:WORD_1 src1_sel:DWORD
	s_waitcnt lgkmcnt(2)
	v_pk_fma_f16 v31, v56, v96, v31
	v_mul_u32_u24_sdwa v108, v63, s33 dst_sel:DWORD dst_unused:UNUSED_PAD src0_sel:WORD_0 src1_sel:DWORD
	v_pk_fma_f16 v31, v57, v97, v31
	v_mul_u32_u24_sdwa v109, v63, s33 dst_sel:DWORD dst_unused:UNUSED_PAD src0_sel:WORD_1 src1_sel:DWORD
	v_mul_u32_u24_sdwa v110, v64, s33 dst_sel:DWORD dst_unused:UNUSED_PAD src0_sel:WORD_0 src1_sel:DWORD
	v_mul_u32_u24_sdwa v111, v64, s33 dst_sel:DWORD dst_unused:UNUSED_PAD src0_sel:WORD_1 src1_sel:DWORD
	v_mul_u32_u24_sdwa v112, v65, s33 dst_sel:DWORD dst_unused:UNUSED_PAD src0_sel:WORD_0 src1_sel:DWORD
	v_mul_u32_u24_sdwa v113, v65, s33 dst_sel:DWORD dst_unused:UNUSED_PAD src0_sel:WORD_1 src1_sel:DWORD
	ds_read2_b32 v[62:63], v46 offset0:128 offset1:160
	ds_read2_b32 v[64:65], v46 offset0:192 offset1:224
	s_waitcnt lgkmcnt(3)
	v_pk_fma_f16 v31, v58, v98, v31
	v_mul_u32_u24_sdwa v114, v66, s33 dst_sel:DWORD dst_unused:UNUSED_PAD src0_sel:WORD_0 src1_sel:DWORD
	v_pk_fma_f16 v31, v59, v99, v31
	v_mul_u32_u24_sdwa v115, v66, s33 dst_sel:DWORD dst_unused:UNUSED_PAD src0_sel:WORD_1 src1_sel:DWORD
	s_waitcnt lgkmcnt(2)
	v_pk_fma_f16 v31, v60, v100, v31
	v_mul_u32_u24_sdwa v116, v67, s33 dst_sel:DWORD dst_unused:UNUSED_PAD src0_sel:WORD_0 src1_sel:DWORD
	v_pk_fma_f16 v31, v61, v101, v31
	v_mul_u32_u24_sdwa v117, v67, s33 dst_sel:DWORD dst_unused:UNUSED_PAD src0_sel:WORD_1 src1_sel:DWORD
	ds_read2_b32 v[54:55], v47 offset1:32
	ds_read2_b32 v[66:67], v47 offset0:64 offset1:96
	s_waitcnt lgkmcnt(3)
	v_pk_fma_f16 v31, v62, v102, v31
	v_mul_u32_u24_sdwa v118, v68, s33 dst_sel:DWORD dst_unused:UNUSED_PAD src0_sel:WORD_0 src1_sel:DWORD
	v_pk_fma_f16 v31, v63, v103, v31
	v_mul_u32_u24_sdwa v119, v68, s33 dst_sel:DWORD dst_unused:UNUSED_PAD src0_sel:WORD_1 src1_sel:DWORD
	s_waitcnt lgkmcnt(2)
	v_pk_fma_f16 v31, v64, v104, v31
	v_mul_u32_u24_sdwa v120, v69, s33 dst_sel:DWORD dst_unused:UNUSED_PAD src0_sel:WORD_0 src1_sel:DWORD
	v_pk_fma_f16 v31, v65, v105, v31
	v_mul_u32_u24_sdwa v121, v69, s33 dst_sel:DWORD dst_unused:UNUSED_PAD src0_sel:WORD_1 src1_sel:DWORD
	ds_read2_b32 v[56:57], v47 offset0:128 offset1:160
	ds_read2_b32 v[68:69], v47 offset0:192 offset1:224
	s_waitcnt lgkmcnt(3)
	v_pk_fma_f16 v31, v54, v106, v31
	v_mul_u32_u24_sdwa v122, v70, s33 dst_sel:DWORD dst_unused:UNUSED_PAD src0_sel:WORD_0 src1_sel:DWORD
	v_pk_fma_f16 v31, v55, v107, v31
	v_mul_u32_u24_sdwa v123, v70, s33 dst_sel:DWORD dst_unused:UNUSED_PAD src0_sel:WORD_1 src1_sel:DWORD
	s_waitcnt lgkmcnt(2)
	v_pk_fma_f16 v31, v66, v108, v31
	v_mul_u32_u24_sdwa v124, v71, s33 dst_sel:DWORD dst_unused:UNUSED_PAD src0_sel:WORD_0 src1_sel:DWORD
	v_pk_fma_f16 v31, v67, v109, v31
	v_mul_u32_u24_sdwa v125, v71, s33 dst_sel:DWORD dst_unused:UNUSED_PAD src0_sel:WORD_1 src1_sel:DWORD
	ds_read2_b32 v[58:59], v48 offset1:32
	ds_read2_b32 v[70:71], v48 offset0:64 offset1:96
	s_waitcnt lgkmcnt(3)
	v_pk_fma_f16 v31, v56, v110, v31
	v_mul_u32_u24_sdwa v126, v72, s33 dst_sel:DWORD dst_unused:UNUSED_PAD src0_sel:WORD_0 src1_sel:DWORD
	v_pk_fma_f16 v31, v57, v111, v31
	v_mul_u32_u24_sdwa v127, v72, s33 dst_sel:DWORD dst_unused:UNUSED_PAD src0_sel:WORD_1 src1_sel:DWORD
	s_waitcnt lgkmcnt(2)
	v_pk_fma_f16 v31, v68, v112, v31
	v_mul_u32_u24_sdwa v128, v73, s33 dst_sel:DWORD dst_unused:UNUSED_PAD src0_sel:WORD_0 src1_sel:DWORD
	v_pk_fma_f16 v31, v69, v113, v31
	;; [unrolled: 24-line block ×5, first 2 shown]
	v_mul_u32_u24_sdwa v153, v85, s33 dst_sel:DWORD dst_unused:UNUSED_PAD src0_sel:WORD_1 src1_sel:DWORD
	ds_read2_b32 v[68:69], v51 offset0:128 offset1:160
	ds_read2_b32 v[84:85], v51 offset0:192 offset1:224
	s_waitcnt lgkmcnt(3)
	v_pk_fma_f16 v31, v56, v138, v31
	ds_read2_b32 v[58:59], v52 offset1:32
	ds_read2_b32 v[86:87], v52 offset0:64 offset1:96
	v_pk_fma_f16 v31, v57, v139, v31
	ds_read2_b32 v[70:71], v52 offset0:128 offset1:160
	ds_read2_b32 v[88:89], v52 offset0:192 offset1:224
	s_waitcnt lgkmcnt(6)
	v_pk_fma_f16 v31, v82, v140, v31
	s_waitcnt lgkmcnt(0)
	v_pk_fma_f16 v31, v83, v141, v31
	s_barrier
	v_pk_fma_f16 v31, v68, v142, v31
	s_nop 0
	v_pk_fma_f16 v31, v69, v143, v31
	s_load_dword s4, s[8:9], 0x4
	v_pk_fma_f16 v31, v84, v144, v31
	s_waitcnt lgkmcnt(0)
	s_lshl_b32 s4, s4, 6
	v_pk_fma_f16 v31, v85, v145, v31
	s_add_i32 s2, s4, s2
	v_pk_fma_f16 v31, v58, v146, v31
	s_cmp_ge_i32 s2, s24
	v_pk_fma_f16 v31, v59, v147, v31
	s_nop 0
	v_pk_fma_f16 v31, v86, v148, v31
	s_nop 0
	;; [unrolled: 2-line block ×6, first 2 shown]
	v_pk_fma_f16 v31, v89, v153, v31
	s_cbranch_scc0 .LBB46_9
.LBB46_10:
	v_cmp_lt_i32_e32 vcc, v32, v26
	s_cmp_lg_u64 s[12:13], 0
	s_cselect_b64 s[4:5], -1, 0
	v_cndmask_b32_e32 v0, v13, v32, vcc
	v_lshlrev_b32_e32 v0, 2, v0
	ds_bpermute_b32 v0, v0, v23
	v_cmp_lt_i32_e32 vcc, v30, v26
	s_cmp_eq_u32 s3, 0
	s_cselect_b64 s[6:7], -1, 0
	v_cndmask_b32_e32 v1, v13, v30, vcc
	v_lshlrev_b32_e32 v1, 2, v1
	s_waitcnt lgkmcnt(0)
	v_add_f32_e32 v0, v23, v0
	ds_bpermute_b32 v1, v1, v0
	v_cmp_lt_i32_e32 vcc, v29, v26
	s_and_b64 s[4:5], s[6:7], s[4:5]
	v_lshlrev_b32_e32 v4, 1, v2
	v_cndmask_b32_e32 v5, v13, v29, vcc
	v_lshlrev_b32_e32 v5, 2, v5
	s_waitcnt lgkmcnt(0)
	v_add_f32_e32 v0, v0, v1
	ds_bpermute_b32 v1, v5, v0
	v_cmp_lt_i32_e32 vcc, v28, v26
	s_waitcnt lgkmcnt(0)
	v_add_f32_e32 v0, v0, v1
	v_cndmask_b32_e32 v5, v13, v28, vcc
	v_lshlrev_b32_e32 v5, 2, v5
	ds_bpermute_b32 v1, v5, v0
	v_cmp_lt_i32_e32 vcc, v27, v26
	s_waitcnt lgkmcnt(0)
	v_add_f32_e32 v0, v0, v1
	v_cndmask_b32_e32 v5, v13, v27, vcc
	v_lshlrev_b32_e32 v5, 2, v5
	ds_bpermute_b32 v1, v5, v0
	s_and_b64 vcc, exec, s[4:5]
	s_waitcnt lgkmcnt(0)
	v_add_f32_e32 v23, v0, v1
	s_cbranch_vccz .LBB46_13
; %bb.11:
	v_add_u32_e32 v0, s25, v3
	v_ashrrev_i32_e32 v1, 31, v0
	v_lshl_add_u64 v[0:1], v[0:1], 2, s[12:13]
	global_load_dword v1, v[0:1], off
	v_max_f32_e32 v0, v22, v22
	s_mov_b32 s2, 0x3fb8aa3b
	s_mov_b32 s4, 0xc2ce8ed0
	s_waitcnt vmcnt(0)
	v_max_f32_e32 v5, v1, v1
	v_max_f32_e32 v0, v0, v5
	v_sub_f32_e32 v5, v22, v0
	v_sub_f32_e32 v1, v1, v0
	v_mul_f32_e32 v6, 0x3fb8aa3b, v5
	v_mul_f32_e32 v7, 0x3fb8aa3b, v1
	v_fma_f32 v8, v5, s2, -v6
	v_rndne_f32_e32 v9, v6
	v_fma_f32 v10, v1, s2, -v7
	v_rndne_f32_e32 v11, v7
	v_fmac_f32_e32 v8, 0x32a5705f, v5
	v_sub_f32_e32 v6, v6, v9
	v_fmac_f32_e32 v10, 0x32a5705f, v1
	v_sub_f32_e32 v7, v7, v11
	v_add_f32_e32 v6, v6, v8
	v_cvt_i32_f32_e32 v9, v9
	v_add_f32_e32 v7, v7, v10
	v_exp_f32_e32 v6, v6
	v_cvt_i32_f32_e32 v11, v11
	v_exp_f32_e32 v7, v7
	v_cmp_ngt_f32_e32 vcc, s4, v5
	v_ldexp_f32 v6, v6, v9
	s_mov_b32 s2, 0x42b17218
	v_ldexp_f32 v7, v7, v11
	v_cndmask_b32_e32 v6, 0, v6, vcc
	v_cmp_ngt_f32_e32 vcc, s4, v1
	v_mov_b32_e32 v8, 0x7f800000
	s_nop 0
	v_cndmask_b32_e32 v7, 0, v7, vcc
	v_cmp_nlt_f32_e32 vcc, s2, v5
	s_nop 1
	v_cndmask_b32_e32 v5, v8, v6, vcc
	v_cvt_f16_f32_e32 v6, v5
	v_cmp_nlt_f32_e32 vcc, s2, v1
	s_nop 1
	v_cndmask_b32_e32 v1, v8, v7, vcc
	v_fmac_f32_e32 v1, v23, v5
	v_mul_u32_u24_e32 v5, 0x10001, v6
	v_pk_mul_f16 v31, v31, v5
	v_mov_b64_e32 v[22:23], v[0:1]
	v_cmp_gt_i32_e32 vcc, s22, v24
	s_and_saveexec_b64 s[4:5], vcc
	s_cbranch_execnz .LBB46_14
.LBB46_12:
	s_endpgm
.LBB46_13:
	v_mov_b32_e32 v1, v23
	v_cmp_gt_i32_e32 vcc, s22, v24
	s_and_saveexec_b64 s[4:5], vcc
	s_cbranch_execz .LBB46_12
.LBB46_14:
	s_load_dword s2, s[0:1], 0xd4
	v_div_scale_f32 v0, s[0:1], v1, v1, 1.0
	v_rcp_f32_e32 v5, v0
	s_mul_i32 s30, s30, s22
	s_waitcnt lgkmcnt(0)
	s_cmp_lg_u32 s2, 1
	s_cselect_b64 s[0:1], -1, 0
	v_fma_f32 v8, -v0, v5, 1.0
	v_fmac_f32_e32 v5, v8, v5
	v_div_scale_f32 v8, vcc, 1.0, v1, 1.0
	v_mul_f32_e32 v9, v8, v5
	v_fma_f32 v10, -v0, v9, v8
	v_fmac_f32_e32 v9, v10, v5
	v_fma_f32 v0, -v0, v9, v8
	v_div_fmas_f32 v0, v0, v5, v9
	v_div_fixup_f32 v0, v0, v1, 1.0
	v_cndmask_b32_e64 v8, v0, 1.0, s[0:1]
	v_add_u32_e32 v0, s30, v24
	v_mul_lo_u32 v0, v0, s23
	v_add3_u32 v0, s25, v3, v0
	v_cvt_f32_f16_sdwa v11, v31 dst_sel:DWORD dst_unused:UNUSED_PAD src0_sel:WORD_1
	v_cvt_f32_f16_e32 v10, v31
	v_mul_lo_u32 v0, s2, v0
	v_add_u32_e32 v0, s3, v0
	v_mov_b32_e32 v6, s16
	v_mov_b32_e32 v7, s17
	v_lshl_add_u32 v4, v0, 6, v4
	v_mov_b32_e32 v5, 0
	v_cmp_eq_u32_e32 vcc, 0, v2
	v_lshl_add_u64 v[4:5], v[4:5], 2, v[6:7]
	s_and_b64 s[0:1], vcc, s[0:1]
	v_pk_mul_f32 v[2:3], v[8:9], v[10:11] op_sel_hi:[0,1]
	global_store_dwordx2 v[4:5], v[2:3], off
	s_and_b64 exec, exec, s[0:1]
	s_cbranch_execz .LBB46_12
; %bb.15:
	v_mov_b32_e32 v2, s18
	v_mov_b32_e32 v3, s19
	v_ashrrev_i32_e32 v1, 31, v0
	v_lshl_add_u64 v[0:1], v[0:1], 3, v[2:3]
	global_store_dwordx2 v[0:1], v[22:23], off
	s_endpgm
	.section	.rodata,"a",@progbits
	.p2align	6, 0x0
	.amdhsa_kernel _ZL15flash_attn_tileILi64ELi64ELi2ELi2ELb0EEvPKcS1_S1_S1_S1_PKiPfP15HIP_vector_typeIfLj2EEffffjfiS5_IjLj3EEiiiiiiiiiiiliiliiiiil
		.amdhsa_group_segment_fixed_size 10240
		.amdhsa_private_segment_fixed_size 0
		.amdhsa_kernarg_size 464
		.amdhsa_user_sgpr_count 2
		.amdhsa_user_sgpr_dispatch_ptr 0
		.amdhsa_user_sgpr_queue_ptr 0
		.amdhsa_user_sgpr_kernarg_segment_ptr 1
		.amdhsa_user_sgpr_dispatch_id 0
		.amdhsa_user_sgpr_kernarg_preload_length 0
		.amdhsa_user_sgpr_kernarg_preload_offset 0
		.amdhsa_user_sgpr_private_segment_size 0
		.amdhsa_uses_dynamic_stack 0
		.amdhsa_enable_private_segment 0
		.amdhsa_system_sgpr_workgroup_id_x 1
		.amdhsa_system_sgpr_workgroup_id_y 1
		.amdhsa_system_sgpr_workgroup_id_z 1
		.amdhsa_system_sgpr_workgroup_info 0
		.amdhsa_system_vgpr_workitem_id 1
		.amdhsa_next_free_vgpr 154
		.amdhsa_next_free_sgpr 40
		.amdhsa_accum_offset 156
		.amdhsa_reserve_vcc 1
		.amdhsa_float_round_mode_32 0
		.amdhsa_float_round_mode_16_64 0
		.amdhsa_float_denorm_mode_32 3
		.amdhsa_float_denorm_mode_16_64 3
		.amdhsa_dx10_clamp 1
		.amdhsa_ieee_mode 1
		.amdhsa_fp16_overflow 0
		.amdhsa_tg_split 0
		.amdhsa_exception_fp_ieee_invalid_op 0
		.amdhsa_exception_fp_denorm_src 0
		.amdhsa_exception_fp_ieee_div_zero 0
		.amdhsa_exception_fp_ieee_overflow 0
		.amdhsa_exception_fp_ieee_underflow 0
		.amdhsa_exception_fp_ieee_inexact 0
		.amdhsa_exception_int_div_zero 0
	.end_amdhsa_kernel
	.section	.text._ZL15flash_attn_tileILi64ELi64ELi2ELi2ELb0EEvPKcS1_S1_S1_S1_PKiPfP15HIP_vector_typeIfLj2EEffffjfiS5_IjLj3EEiiiiiiiiiiiliiliiiiil,"axG",@progbits,_ZL15flash_attn_tileILi64ELi64ELi2ELi2ELb0EEvPKcS1_S1_S1_S1_PKiPfP15HIP_vector_typeIfLj2EEffffjfiS5_IjLj3EEiiiiiiiiiiiliiliiiiil,comdat
.Lfunc_end46:
	.size	_ZL15flash_attn_tileILi64ELi64ELi2ELi2ELb0EEvPKcS1_S1_S1_S1_PKiPfP15HIP_vector_typeIfLj2EEffffjfiS5_IjLj3EEiiiiiiiiiiiliiliiiiil, .Lfunc_end46-_ZL15flash_attn_tileILi64ELi64ELi2ELi2ELb0EEvPKcS1_S1_S1_S1_PKiPfP15HIP_vector_typeIfLj2EEffffjfiS5_IjLj3EEiiiiiiiiiiiliiliiiiil
                                        ; -- End function
	.set _ZL15flash_attn_tileILi64ELi64ELi2ELi2ELb0EEvPKcS1_S1_S1_S1_PKiPfP15HIP_vector_typeIfLj2EEffffjfiS5_IjLj3EEiiiiiiiiiiiliiliiiiil.num_vgpr, 154
	.set _ZL15flash_attn_tileILi64ELi64ELi2ELi2ELb0EEvPKcS1_S1_S1_S1_PKiPfP15HIP_vector_typeIfLj2EEffffjfiS5_IjLj3EEiiiiiiiiiiiliiliiiiil.num_agpr, 0
	.set _ZL15flash_attn_tileILi64ELi64ELi2ELi2ELb0EEvPKcS1_S1_S1_S1_PKiPfP15HIP_vector_typeIfLj2EEffffjfiS5_IjLj3EEiiiiiiiiiiiliiliiiiil.numbered_sgpr, 40
	.set _ZL15flash_attn_tileILi64ELi64ELi2ELi2ELb0EEvPKcS1_S1_S1_S1_PKiPfP15HIP_vector_typeIfLj2EEffffjfiS5_IjLj3EEiiiiiiiiiiiliiliiiiil.num_named_barrier, 0
	.set _ZL15flash_attn_tileILi64ELi64ELi2ELi2ELb0EEvPKcS1_S1_S1_S1_PKiPfP15HIP_vector_typeIfLj2EEffffjfiS5_IjLj3EEiiiiiiiiiiiliiliiiiil.private_seg_size, 0
	.set _ZL15flash_attn_tileILi64ELi64ELi2ELi2ELb0EEvPKcS1_S1_S1_S1_PKiPfP15HIP_vector_typeIfLj2EEffffjfiS5_IjLj3EEiiiiiiiiiiiliiliiiiil.uses_vcc, 1
	.set _ZL15flash_attn_tileILi64ELi64ELi2ELi2ELb0EEvPKcS1_S1_S1_S1_PKiPfP15HIP_vector_typeIfLj2EEffffjfiS5_IjLj3EEiiiiiiiiiiiliiliiiiil.uses_flat_scratch, 0
	.set _ZL15flash_attn_tileILi64ELi64ELi2ELi2ELb0EEvPKcS1_S1_S1_S1_PKiPfP15HIP_vector_typeIfLj2EEffffjfiS5_IjLj3EEiiiiiiiiiiiliiliiiiil.has_dyn_sized_stack, 0
	.set _ZL15flash_attn_tileILi64ELi64ELi2ELi2ELb0EEvPKcS1_S1_S1_S1_PKiPfP15HIP_vector_typeIfLj2EEffffjfiS5_IjLj3EEiiiiiiiiiiiliiliiiiil.has_recursion, 0
	.set _ZL15flash_attn_tileILi64ELi64ELi2ELi2ELb0EEvPKcS1_S1_S1_S1_PKiPfP15HIP_vector_typeIfLj2EEffffjfiS5_IjLj3EEiiiiiiiiiiiliiliiiiil.has_indirect_call, 0
	.section	.AMDGPU.csdata,"",@progbits
; Kernel info:
; codeLenInByte = 6108
; TotalNumSgprs: 46
; NumVgprs: 154
; NumAgprs: 0
; TotalNumVgprs: 154
; ScratchSize: 0
; MemoryBound: 0
; FloatMode: 240
; IeeeMode: 1
; LDSByteSize: 10240 bytes/workgroup (compile time only)
; SGPRBlocks: 5
; VGPRBlocks: 19
; NumSGPRsForWavesPerEU: 46
; NumVGPRsForWavesPerEU: 154
; AccumOffset: 156
; Occupancy: 3
; WaveLimiterHint : 1
; COMPUTE_PGM_RSRC2:SCRATCH_EN: 0
; COMPUTE_PGM_RSRC2:USER_SGPR: 2
; COMPUTE_PGM_RSRC2:TRAP_HANDLER: 0
; COMPUTE_PGM_RSRC2:TGID_X_EN: 1
; COMPUTE_PGM_RSRC2:TGID_Y_EN: 1
; COMPUTE_PGM_RSRC2:TGID_Z_EN: 1
; COMPUTE_PGM_RSRC2:TIDIG_COMP_CNT: 1
; COMPUTE_PGM_RSRC3_GFX90A:ACCUM_OFFSET: 38
; COMPUTE_PGM_RSRC3_GFX90A:TG_SPLIT: 0
	.section	.text._ZL33flash_attn_stream_k_fixup_uniformILi64ELi2ELi2EEvPfPK15HIP_vector_typeIfLj2EEiiiiiiS1_IjLj3EES5_S5_,"axG",@progbits,_ZL33flash_attn_stream_k_fixup_uniformILi64ELi2ELi2EEvPfPK15HIP_vector_typeIfLj2EEiiiiiiS1_IjLj3EES5_S5_,comdat
	.globl	_ZL33flash_attn_stream_k_fixup_uniformILi64ELi2ELi2EEvPfPK15HIP_vector_typeIfLj2EEiiiiiiS1_IjLj3EES5_S5_ ; -- Begin function _ZL33flash_attn_stream_k_fixup_uniformILi64ELi2ELi2EEvPfPK15HIP_vector_typeIfLj2EEiiiiiiS1_IjLj3EES5_S5_
	.p2align	8
	.type	_ZL33flash_attn_stream_k_fixup_uniformILi64ELi2ELi2EEvPfPK15HIP_vector_typeIfLj2EEiiiiiiS1_IjLj3EES5_S5_,@function
_ZL33flash_attn_stream_k_fixup_uniformILi64ELi2ELi2EEvPfPK15HIP_vector_typeIfLj2EEiiiiiiS1_IjLj3EES5_S5_: ; @_ZL33flash_attn_stream_k_fixup_uniformILi64ELi2ELi2EEvPfPK15HIP_vector_typeIfLj2EEiiiiiiS1_IjLj3EES5_S5_
; %bb.0:
	s_load_dwordx8 s[8:15], s[0:1], 0x1c
	s_load_dwordx2 s[6:7], s[0:1], 0x10
	s_load_dwordx4 s[20:23], s[0:1], 0x3c
	s_waitcnt lgkmcnt(0)
	s_mul_hi_u32 s5, s11, s2
	s_add_i32 s5, s2, s5
	s_lshr_b32 s5, s5, s12
	s_mul_i32 s11, s5, s13
	s_sub_i32 s11, s2, s11
	s_mul_hi_u32 s12, s11, s14
	s_add_i32 s12, s11, s12
	s_lshr_b32 s16, s12, s15
	s_mul_i32 s12, s16, s20
	s_sub_i32 s11, s11, s12
	;; [unrolled: 5-line block ×3, first 2 shown]
	s_lshl_b32 s11, s12, 1
	s_lshl_b32 s12, s17, 1
	s_add_i32 s12, s12, s3
	s_cmp_lt_i32 s12, s6
	s_cselect_b64 s[12:13], -1, 0
	s_add_i32 s14, s11, s4
	s_cmp_lt_i32 s14, s9
	s_cselect_b64 s[14:15], -1, 0
	s_and_b64 s[12:13], s[12:13], s[14:15]
	s_andn2_b64 vcc, exec, s[12:13]
	s_cbranch_vccnz .LBB47_6
; %bb.1:
	s_load_dwordx4 s[12:15], s[0:1], 0x0
	s_mul_i32 s0, s5, s6
	s_add_i32 s0, s0, s3
	s_mul_i32 s0, s0, s7
	s_mul_i32 s16, s16, s9
	s_add_i32 s0, s0, s4
	s_add_i32 s0, s0, s16
	s_mul_i32 s1, s7, s17
	s_add_i32 s0, s0, s11
	s_lshl_b32 s1, s1, 7
	s_lshl_b32 s0, s0, 6
	s_add_i32 s1, s1, s0
	v_or_b32_e32 v4, s1, v0
	s_waitcnt lgkmcnt(0)
	v_mov_b32_e32 v2, s12
	v_mov_b32_e32 v3, s13
	v_ashrrev_i32_e32 v5, 31, v4
	v_lshl_add_u64 v[2:3], v[4:5], 2, v[2:3]
	global_load_dword v5, v[2:3], off
	s_mul_i32 s5, s10, s2
	s_lshl_b32 s11, s3, 1
	s_add_i32 s9, s5, s10
	s_add_i32 s0, s11, s4
	s_lshl_b32 s1, s9, 2
	s_add_i32 s0, s0, s1
	s_add_i32 s0, s0, -4
	s_ashr_i32 s1, s0, 31
	s_lshl_b64 s[0:1], s[0:1], 3
	s_add_u32 s0, s14, s0
	s_addc_u32 s1, s15, s1
	s_load_dword s12, s[0:1], 0x4
	s_add_i32 s6, s9, -2
	s_cmp_lt_i32 s6, s5
	s_cbranch_scc1 .LBB47_4
; %bb.2:
	s_lshl_b32 s6, s8, 4
	s_ashr_i32 s7, s6, 31
	s_lshl_b64 s[6:7], s[6:7], 2
	s_add_u32 s6, s14, s6
	s_addc_u32 s7, s15, s7
	s_add_i32 s2, s2, 1
	s_load_dword s0, s[0:1], 0x0
	s_mul_i32 s1, s10, s2
	s_lshl_b32 s3, s3, 7
	s_lshl_b32 s10, s4, 6
	;; [unrolled: 1-line block ×3, first 2 shown]
	s_add_i32 s3, s10, s3
	s_lshl_b32 s1, s1, 2
	s_add_i32 s3, s3, s2
	s_add_i32 s1, s4, s1
	s_lshl_b32 s2, s8, 2
	s_add_i32 s1, s1, s2
	v_or_b32_e32 v0, s3, v0
	s_add_i32 s1, s1, s11
	s_add_i32 s9, s9, -1
	v_add_u32_e32 v0, 0xfffffe00, v0
	s_add_i32 s2, s1, -8
	s_waitcnt lgkmcnt(0)
	v_mov_b32_e32 v7, s0
	v_mov_b32_e32 v4, s12
	s_mov_b32 s4, 0x3fb8aa3b
	s_mov_b32 s8, 0xc2ce8ed0
	;; [unrolled: 1-line block ×3, first 2 shown]
	v_mov_b32_e32 v6, 0x7f800000
	s_mov_b32 s11, 0xc1a00000
.LBB47_3:                               ; =>This Inner Loop Header: Depth=1
	v_ashrrev_i32_e32 v1, 31, v0
	v_lshl_add_u64 v[8:9], v[0:1], 2, s[6:7]
	global_load_dword v9, v[8:9], off
	s_ashr_i32 s3, s2, 31
	s_lshl_b64 s[0:1], s[2:3], 3
	s_add_u32 s0, s14, s0
	s_addc_u32 s1, s15, s1
	s_load_dwordx2 s[0:1], s[0:1], 0x0
	v_max_f32_e32 v1, v7, v7
	s_add_i32 s9, s9, -1
	s_add_i32 s2, s2, -4
	v_add_u32_e32 v0, 0xffffff00, v0
	s_waitcnt lgkmcnt(0)
	v_max_f32_e64 v10, s0, s0
	v_max_f32_e32 v1, v1, v10
	v_sub_f32_e32 v11, s0, v1
	v_sub_f32_e32 v10, v7, v1
	v_mul_f32_e32 v12, 0x3fb8aa3b, v11
	v_mov_b32_e32 v7, v1
	v_mul_f32_e32 v1, 0x3fb8aa3b, v10
	v_fma_f32 v15, v11, s4, -v12
	v_rndne_f32_e32 v16, v12
	v_fma_f32 v13, v10, s4, -v1
	v_rndne_f32_e32 v14, v1
	v_fmac_f32_e32 v15, 0x32a5705f, v11
	v_sub_f32_e32 v12, v12, v16
	v_fmac_f32_e32 v13, 0x32a5705f, v10
	v_sub_f32_e32 v1, v1, v14
	v_add_f32_e32 v12, v12, v15
	v_cvt_i32_f32_e32 v16, v16
	v_add_f32_e32 v1, v1, v13
	v_exp_f32_e32 v12, v12
	v_cvt_i32_f32_e32 v14, v14
	v_exp_f32_e32 v1, v1
	v_cmp_ngt_f32_e32 vcc, s8, v11
	v_ldexp_f32 v12, v12, v16
	v_mov_b32_e32 v8, s1
	v_ldexp_f32 v1, v1, v14
	v_cmp_ngt_f32_e64 s[0:1], s8, v10
	v_cndmask_b32_e32 v12, 0, v12, vcc
	v_cmp_nlt_f32_e32 vcc, s10, v11
	v_cndmask_b32_e64 v1, 0, v1, s[0:1]
	v_cmp_nlt_f32_e64 s[0:1], s10, v10
	v_cndmask_b32_e32 v12, v6, v12, vcc
	v_cmp_le_f32_e32 vcc, s11, v11
	v_cndmask_b32_e64 v1, v6, v1, s[0:1]
	v_cmp_le_f32_e64 s[0:1], s11, v10
	v_cndmask_b32_e32 v12, 0, v12, vcc
	s_cmp_le_i32 s9, s5
	v_cndmask_b32_e64 v10, 0, v1, s[0:1]
	s_waitcnt vmcnt(0)
	v_pk_mul_f32 v[8:9], v[8:9], v[12:13] op_sel_hi:[1,0]
	s_nop 0
	v_pk_fma_f32 v[4:5], v[4:5], v[10:11], v[8:9] op_sel_hi:[1,0,1]
	s_cbranch_scc0 .LBB47_3
	s_branch .LBB47_5
.LBB47_4:
	s_waitcnt lgkmcnt(0)
	v_mov_b32_e32 v4, s12
.LBB47_5:
	s_waitcnt vmcnt(0)
	v_div_scale_f32 v0, s[0:1], v4, v4, v5
	v_rcp_f32_e32 v1, v0
	v_div_scale_f32 v6, vcc, v5, v4, v5
	v_fma_f32 v7, -v0, v1, 1.0
	v_fmac_f32_e32 v1, v7, v1
	v_mul_f32_e32 v7, v6, v1
	v_fma_f32 v8, -v0, v7, v6
	v_fmac_f32_e32 v7, v8, v1
	v_fma_f32 v0, -v0, v7, v6
	v_div_fmas_f32 v0, v0, v1, v7
	v_div_fixup_f32 v0, v0, v4, v5
	global_store_dword v[2:3], v0, off
.LBB47_6:
	s_endpgm
	.section	.rodata,"a",@progbits
	.p2align	6, 0x0
	.amdhsa_kernel _ZL33flash_attn_stream_k_fixup_uniformILi64ELi2ELi2EEvPfPK15HIP_vector_typeIfLj2EEiiiiiiS1_IjLj3EES5_S5_
		.amdhsa_group_segment_fixed_size 0
		.amdhsa_private_segment_fixed_size 0
		.amdhsa_kernarg_size 76
		.amdhsa_user_sgpr_count 2
		.amdhsa_user_sgpr_dispatch_ptr 0
		.amdhsa_user_sgpr_queue_ptr 0
		.amdhsa_user_sgpr_kernarg_segment_ptr 1
		.amdhsa_user_sgpr_dispatch_id 0
		.amdhsa_user_sgpr_kernarg_preload_length 0
		.amdhsa_user_sgpr_kernarg_preload_offset 0
		.amdhsa_user_sgpr_private_segment_size 0
		.amdhsa_uses_dynamic_stack 0
		.amdhsa_enable_private_segment 0
		.amdhsa_system_sgpr_workgroup_id_x 1
		.amdhsa_system_sgpr_workgroup_id_y 1
		.amdhsa_system_sgpr_workgroup_id_z 1
		.amdhsa_system_sgpr_workgroup_info 0
		.amdhsa_system_vgpr_workitem_id 0
		.amdhsa_next_free_vgpr 17
		.amdhsa_next_free_sgpr 24
		.amdhsa_accum_offset 20
		.amdhsa_reserve_vcc 1
		.amdhsa_float_round_mode_32 0
		.amdhsa_float_round_mode_16_64 0
		.amdhsa_float_denorm_mode_32 3
		.amdhsa_float_denorm_mode_16_64 3
		.amdhsa_dx10_clamp 1
		.amdhsa_ieee_mode 1
		.amdhsa_fp16_overflow 0
		.amdhsa_tg_split 0
		.amdhsa_exception_fp_ieee_invalid_op 0
		.amdhsa_exception_fp_denorm_src 0
		.amdhsa_exception_fp_ieee_div_zero 0
		.amdhsa_exception_fp_ieee_overflow 0
		.amdhsa_exception_fp_ieee_underflow 0
		.amdhsa_exception_fp_ieee_inexact 0
		.amdhsa_exception_int_div_zero 0
	.end_amdhsa_kernel
	.section	.text._ZL33flash_attn_stream_k_fixup_uniformILi64ELi2ELi2EEvPfPK15HIP_vector_typeIfLj2EEiiiiiiS1_IjLj3EES5_S5_,"axG",@progbits,_ZL33flash_attn_stream_k_fixup_uniformILi64ELi2ELi2EEvPfPK15HIP_vector_typeIfLj2EEiiiiiiS1_IjLj3EES5_S5_,comdat
.Lfunc_end47:
	.size	_ZL33flash_attn_stream_k_fixup_uniformILi64ELi2ELi2EEvPfPK15HIP_vector_typeIfLj2EEiiiiiiS1_IjLj3EES5_S5_, .Lfunc_end47-_ZL33flash_attn_stream_k_fixup_uniformILi64ELi2ELi2EEvPfPK15HIP_vector_typeIfLj2EEiiiiiiS1_IjLj3EES5_S5_
                                        ; -- End function
	.set _ZL33flash_attn_stream_k_fixup_uniformILi64ELi2ELi2EEvPfPK15HIP_vector_typeIfLj2EEiiiiiiS1_IjLj3EES5_S5_.num_vgpr, 17
	.set _ZL33flash_attn_stream_k_fixup_uniformILi64ELi2ELi2EEvPfPK15HIP_vector_typeIfLj2EEiiiiiiS1_IjLj3EES5_S5_.num_agpr, 0
	.set _ZL33flash_attn_stream_k_fixup_uniformILi64ELi2ELi2EEvPfPK15HIP_vector_typeIfLj2EEiiiiiiS1_IjLj3EES5_S5_.numbered_sgpr, 24
	.set _ZL33flash_attn_stream_k_fixup_uniformILi64ELi2ELi2EEvPfPK15HIP_vector_typeIfLj2EEiiiiiiS1_IjLj3EES5_S5_.num_named_barrier, 0
	.set _ZL33flash_attn_stream_k_fixup_uniformILi64ELi2ELi2EEvPfPK15HIP_vector_typeIfLj2EEiiiiiiS1_IjLj3EES5_S5_.private_seg_size, 0
	.set _ZL33flash_attn_stream_k_fixup_uniformILi64ELi2ELi2EEvPfPK15HIP_vector_typeIfLj2EEiiiiiiS1_IjLj3EES5_S5_.uses_vcc, 1
	.set _ZL33flash_attn_stream_k_fixup_uniformILi64ELi2ELi2EEvPfPK15HIP_vector_typeIfLj2EEiiiiiiS1_IjLj3EES5_S5_.uses_flat_scratch, 0
	.set _ZL33flash_attn_stream_k_fixup_uniformILi64ELi2ELi2EEvPfPK15HIP_vector_typeIfLj2EEiiiiiiS1_IjLj3EES5_S5_.has_dyn_sized_stack, 0
	.set _ZL33flash_attn_stream_k_fixup_uniformILi64ELi2ELi2EEvPfPK15HIP_vector_typeIfLj2EEiiiiiiS1_IjLj3EES5_S5_.has_recursion, 0
	.set _ZL33flash_attn_stream_k_fixup_uniformILi64ELi2ELi2EEvPfPK15HIP_vector_typeIfLj2EEiiiiiiS1_IjLj3EES5_S5_.has_indirect_call, 0
	.section	.AMDGPU.csdata,"",@progbits
; Kernel info:
; codeLenInByte = 836
; TotalNumSgprs: 30
; NumVgprs: 17
; NumAgprs: 0
; TotalNumVgprs: 17
; ScratchSize: 0
; MemoryBound: 0
; FloatMode: 240
; IeeeMode: 1
; LDSByteSize: 0 bytes/workgroup (compile time only)
; SGPRBlocks: 3
; VGPRBlocks: 2
; NumSGPRsForWavesPerEU: 30
; NumVGPRsForWavesPerEU: 17
; AccumOffset: 20
; Occupancy: 8
; WaveLimiterHint : 0
; COMPUTE_PGM_RSRC2:SCRATCH_EN: 0
; COMPUTE_PGM_RSRC2:USER_SGPR: 2
; COMPUTE_PGM_RSRC2:TRAP_HANDLER: 0
; COMPUTE_PGM_RSRC2:TGID_X_EN: 1
; COMPUTE_PGM_RSRC2:TGID_Y_EN: 1
; COMPUTE_PGM_RSRC2:TGID_Z_EN: 1
; COMPUTE_PGM_RSRC2:TIDIG_COMP_CNT: 0
; COMPUTE_PGM_RSRC3_GFX90A:ACCUM_OFFSET: 4
; COMPUTE_PGM_RSRC3_GFX90A:TG_SPLIT: 0
	.section	.text._ZL33flash_attn_stream_k_fixup_generalILi64ELi2ELi2EEvPfPK15HIP_vector_typeIfLj2EEiiiiS1_IjLj3EES5_S5_S5_,"axG",@progbits,_ZL33flash_attn_stream_k_fixup_generalILi64ELi2ELi2EEvPfPK15HIP_vector_typeIfLj2EEiiiiS1_IjLj3EES5_S5_S5_,comdat
	.globl	_ZL33flash_attn_stream_k_fixup_generalILi64ELi2ELi2EEvPfPK15HIP_vector_typeIfLj2EEiiiiS1_IjLj3EES5_S5_S5_ ; -- Begin function _ZL33flash_attn_stream_k_fixup_generalILi64ELi2ELi2EEvPfPK15HIP_vector_typeIfLj2EEiiiiS1_IjLj3EES5_S5_S5_
	.p2align	8
	.type	_ZL33flash_attn_stream_k_fixup_generalILi64ELi2ELi2EEvPfPK15HIP_vector_typeIfLj2EEiiiiS1_IjLj3EES5_S5_S5_,@function
_ZL33flash_attn_stream_k_fixup_generalILi64ELi2ELi2EEvPfPK15HIP_vector_typeIfLj2EEiiiiS1_IjLj3EES5_S5_S5_: ; @_ZL33flash_attn_stream_k_fixup_generalILi64ELi2ELi2EEvPfPK15HIP_vector_typeIfLj2EEiiiiS1_IjLj3EES5_S5_S5_
; %bb.0:
	s_load_dwordx4 s[8:11], s[0:1], 0x10
	s_load_dword s22, s[0:1], 0x50
	s_mov_b32 s12, 0
	s_waitcnt lgkmcnt(0)
	s_mul_hi_i32 s13, s11, s2
	s_cmp_lg_u64 s[12:13], 0
	s_mul_i32 s5, s11, s2
	s_cbranch_scc0 .LBB48_20
; %bb.1:
	s_add_u32 s6, s22, 0
	s_addc_u32 s7, 0, 0
	s_xor_b64 s[6:7], s[6:7], 0
	v_cvt_f32_u32_e32 v1, s6
	v_cvt_f32_u32_e32 v2, s7
	s_sub_u32 s12, 0, s6
	s_subb_u32 s18, 0, s7
	v_fmamk_f32 v1, v2, 0x4f800000, v1
	v_rcp_f32_e32 v1, v1
	s_nop 0
	v_mul_f32_e32 v1, 0x5f7ffffc, v1
	v_mul_f32_e32 v2, 0x2f800000, v1
	v_trunc_f32_e32 v2, v2
	v_fmamk_f32 v1, v2, 0xcf800000, v1
	v_cvt_u32_f32_e32 v2, v2
	v_cvt_u32_f32_e32 v1, v1
	v_readfirstlane_b32 s19, v2
	v_readfirstlane_b32 s14, v1
	s_mul_i32 s15, s12, s19
	s_mul_hi_u32 s21, s12, s14
	s_mul_i32 s20, s18, s14
	s_add_i32 s15, s21, s15
	s_add_i32 s15, s15, s20
	s_mul_i32 s23, s12, s14
	s_mul_i32 s21, s14, s15
	s_mul_hi_u32 s24, s14, s23
	s_mul_hi_u32 s20, s14, s15
	s_add_u32 s21, s24, s21
	s_addc_u32 s20, 0, s20
	s_mul_hi_u32 s25, s19, s23
	s_mul_i32 s23, s19, s23
	s_add_u32 s21, s21, s23
	s_mul_hi_u32 s24, s19, s15
	s_addc_u32 s20, s20, s25
	s_addc_u32 s21, s24, 0
	s_mul_i32 s15, s19, s15
	s_add_u32 s15, s20, s15
	s_addc_u32 s20, 0, s21
	s_add_u32 s21, s14, s15
	s_cselect_b64 s[14:15], -1, 0
	s_cmp_lg_u64 s[14:15], 0
	s_addc_u32 s19, s19, s20
	s_mul_i32 s14, s12, s19
	s_mul_hi_u32 s15, s12, s21
	s_add_i32 s14, s15, s14
	s_mul_i32 s18, s18, s21
	s_add_i32 s14, s14, s18
	s_mul_i32 s12, s12, s21
	s_mul_hi_u32 s18, s19, s12
	s_mul_i32 s20, s19, s12
	s_mul_i32 s24, s21, s14
	s_mul_hi_u32 s12, s21, s12
	s_mul_hi_u32 s23, s21, s14
	s_add_u32 s12, s12, s24
	s_addc_u32 s23, 0, s23
	s_add_u32 s12, s12, s20
	s_mul_hi_u32 s15, s19, s14
	s_addc_u32 s12, s23, s18
	s_addc_u32 s15, s15, 0
	s_mul_i32 s14, s19, s14
	s_add_u32 s12, s12, s14
	s_addc_u32 s18, 0, s15
	s_add_u32 s20, s21, s12
	s_cselect_b64 s[14:15], -1, 0
	s_cmp_lg_u64 s[14:15], 0
	s_addc_u32 s18, s19, s18
	s_ashr_i32 s14, s13, 31
	s_add_u32 s12, s5, s14
	s_mov_b32 s15, s14
	s_addc_u32 s13, s13, s14
	s_xor_b64 s[12:13], s[12:13], s[14:15]
	s_mul_i32 s21, s12, s18
	s_mul_hi_u32 s23, s12, s20
	s_mul_hi_u32 s19, s12, s18
	s_add_u32 s21, s23, s21
	s_addc_u32 s19, 0, s19
	s_mul_hi_u32 s24, s13, s20
	s_mul_i32 s20, s13, s20
	s_add_u32 s20, s21, s20
	s_mul_hi_u32 s23, s13, s18
	s_addc_u32 s19, s19, s24
	s_addc_u32 s20, s23, 0
	s_mul_i32 s18, s13, s18
	s_add_u32 s23, s19, s18
	s_addc_u32 s24, 0, s20
	s_mul_i32 s18, s6, s24
	s_mul_hi_u32 s19, s6, s23
	s_add_i32 s18, s19, s18
	s_mul_i32 s19, s7, s23
	s_add_i32 s25, s18, s19
	s_sub_i32 s20, s13, s25
	s_mul_i32 s18, s6, s23
	s_sub_u32 s12, s12, s18
	s_cselect_b64 s[18:19], -1, 0
	s_cmp_lg_u64 s[18:19], 0
	s_subb_u32 s26, s20, s7
	s_sub_u32 s27, s12, s6
	s_cselect_b64 s[20:21], -1, 0
	s_cmp_lg_u64 s[20:21], 0
	s_subb_u32 s20, s26, 0
	s_cmp_ge_u32 s20, s7
	s_cselect_b32 s21, -1, 0
	s_cmp_ge_u32 s27, s6
	s_cselect_b32 s26, -1, 0
	s_cmp_eq_u32 s20, s7
	s_cselect_b32 s20, s26, s21
	s_add_u32 s21, s23, 1
	s_addc_u32 s26, s24, 0
	s_add_u32 s27, s23, 2
	s_addc_u32 s28, s24, 0
	s_cmp_lg_u32 s20, 0
	s_cselect_b32 s20, s27, s21
	s_cselect_b32 s21, s28, s26
	s_cmp_lg_u64 s[18:19], 0
	s_subb_u32 s13, s13, s25
	s_cmp_ge_u32 s13, s7
	s_cselect_b32 s18, -1, 0
	s_cmp_ge_u32 s12, s6
	s_cselect_b32 s6, -1, 0
	s_cmp_eq_u32 s13, s7
	s_cselect_b32 s6, s6, s18
	s_cmp_lg_u32 s6, 0
	s_cselect_b32 s7, s21, s24
	s_cselect_b32 s6, s20, s23
	s_xor_b64 s[12:13], s[14:15], 0
	s_xor_b64 s[6:7], s[6:7], s[12:13]
	s_sub_u32 s6, s6, s12
	s_load_dwordx4 s[12:15], s[0:1], 0x44
	s_cbranch_execnz .LBB48_3
.LBB48_2:
	v_cvt_f32_u32_e32 v1, s22
	s_sub_i32 s6, 0, s22
	v_rcp_iflag_f32_e32 v1, v1
	s_nop 0
	v_mul_f32_e32 v1, 0x4f7ffffe, v1
	v_cvt_u32_f32_e32 v1, v1
	s_nop 0
	v_readfirstlane_b32 s7, v1
	s_mul_i32 s6, s6, s7
	s_mul_hi_u32 s6, s7, s6
	s_add_i32 s7, s7, s6
	s_mul_hi_u32 s6, s5, s7
	s_waitcnt lgkmcnt(0)
	s_mul_i32 s15, s6, s22
	s_sub_i32 s5, s5, s15
	s_add_i32 s7, s6, 1
	s_sub_i32 s15, s5, s22
	s_cmp_ge_u32 s5, s22
	s_cselect_b32 s6, s7, s6
	s_cselect_b32 s5, s15, s5
	s_add_i32 s7, s6, 1
	s_cmp_ge_u32 s5, s22
	s_cselect_b32 s6, s7, s6
.LBB48_3:
	s_add_i32 s5, s2, 1
	s_mul_hi_i32 s21, s11, s5
	s_mov_b32 s20, 0
	s_cmp_lg_u64 s[20:21], 0
	s_mul_i32 s5, s11, s5
	s_cbranch_scc0 .LBB48_21
; %bb.4:
	s_add_u32 s16, s22, 0
	s_addc_u32 s17, 0, 0
	s_xor_b64 s[18:19], s[16:17], 0
	v_cvt_f32_u32_e32 v1, s18
	v_cvt_f32_u32_e32 v2, s19
	s_sub_u32 s7, 0, s18
	s_waitcnt lgkmcnt(0)
	s_subb_u32 s15, 0, s19
	v_fmamk_f32 v1, v2, 0x4f800000, v1
	v_rcp_f32_e32 v1, v1
	s_nop 0
	v_mul_f32_e32 v1, 0x5f7ffffc, v1
	v_mul_f32_e32 v2, 0x2f800000, v1
	v_trunc_f32_e32 v2, v2
	v_fmamk_f32 v1, v2, 0xcf800000, v1
	v_cvt_u32_f32_e32 v2, v2
	v_cvt_u32_f32_e32 v1, v1
	v_readfirstlane_b32 s20, v2
	v_readfirstlane_b32 s23, v1
	s_mul_i32 s24, s7, s20
	s_mul_hi_u32 s26, s7, s23
	s_mul_i32 s25, s15, s23
	s_add_i32 s24, s26, s24
	s_add_i32 s24, s24, s25
	s_mul_i32 s27, s7, s23
	s_mul_i32 s26, s23, s24
	s_mul_hi_u32 s28, s23, s27
	s_mul_hi_u32 s25, s23, s24
	s_add_u32 s26, s28, s26
	s_addc_u32 s25, 0, s25
	s_mul_hi_u32 s29, s20, s27
	s_mul_i32 s27, s20, s27
	s_add_u32 s26, s26, s27
	s_mul_hi_u32 s28, s20, s24
	s_addc_u32 s25, s25, s29
	s_addc_u32 s26, s28, 0
	s_mul_i32 s24, s20, s24
	s_add_u32 s24, s25, s24
	s_addc_u32 s26, 0, s26
	s_add_u32 s23, s23, s24
	s_cselect_b64 s[24:25], -1, 0
	s_cmp_lg_u64 s[24:25], 0
	s_addc_u32 s20, s20, s26
	s_mul_i32 s24, s7, s20
	s_mul_hi_u32 s25, s7, s23
	s_add_i32 s24, s25, s24
	s_mul_i32 s15, s15, s23
	s_add_i32 s24, s24, s15
	s_mul_i32 s7, s7, s23
	s_mul_hi_u32 s25, s20, s7
	s_mul_i32 s26, s20, s7
	s_mul_i32 s28, s23, s24
	s_mul_hi_u32 s7, s23, s7
	s_mul_hi_u32 s27, s23, s24
	s_add_u32 s7, s7, s28
	s_addc_u32 s27, 0, s27
	s_add_u32 s7, s7, s26
	s_mul_hi_u32 s15, s20, s24
	s_addc_u32 s7, s27, s25
	s_addc_u32 s15, s15, 0
	s_mul_i32 s24, s20, s24
	s_add_u32 s7, s7, s24
	s_addc_u32 s15, 0, s15
	s_add_u32 s7, s23, s7
	s_cselect_b64 s[24:25], -1, 0
	s_cmp_lg_u64 s[24:25], 0
	s_addc_u32 s15, s20, s15
	s_ashr_i32 s24, s21, 31
	s_add_u32 s20, s5, s24
	s_mov_b32 s25, s24
	s_addc_u32 s21, s21, s24
	s_xor_b64 s[20:21], s[20:21], s[24:25]
	s_mul_i32 s26, s20, s15
	s_mul_hi_u32 s27, s20, s7
	s_mul_hi_u32 s23, s20, s15
	s_add_u32 s26, s27, s26
	s_addc_u32 s23, 0, s23
	s_mul_hi_u32 s28, s21, s7
	s_mul_i32 s7, s21, s7
	s_add_u32 s7, s26, s7
	s_mul_hi_u32 s27, s21, s15
	s_addc_u32 s7, s23, s28
	s_addc_u32 s23, s27, 0
	s_mul_i32 s15, s21, s15
	s_add_u32 s7, s7, s15
	s_addc_u32 s15, 0, s23
	s_mul_i32 s23, s18, s15
	s_mul_hi_u32 s26, s18, s7
	s_add_i32 s23, s26, s23
	s_mul_i32 s26, s19, s7
	s_add_i32 s23, s23, s26
	s_sub_i32 s28, s21, s23
	s_mul_i32 s26, s18, s7
	s_sub_u32 s20, s20, s26
	s_cselect_b64 s[26:27], -1, 0
	s_cmp_lg_u64 s[26:27], 0
	s_subb_u32 s30, s28, s19
	s_sub_u32 s31, s20, s18
	s_cselect_b64 s[28:29], -1, 0
	s_cmp_lg_u64 s[28:29], 0
	s_subb_u32 s28, s30, 0
	s_cmp_ge_u32 s28, s19
	s_cselect_b32 s29, -1, 0
	s_cmp_ge_u32 s31, s18
	s_cselect_b32 s30, -1, 0
	s_cmp_eq_u32 s28, s19
	s_cselect_b32 s28, s30, s29
	s_add_u32 s29, s7, 1
	s_addc_u32 s30, s15, 0
	s_add_u32 s31, s7, 2
	s_addc_u32 s33, s15, 0
	s_cmp_lg_u32 s28, 0
	s_cselect_b32 s28, s31, s29
	s_cselect_b32 s29, s33, s30
	s_cmp_lg_u64 s[26:27], 0
	s_subb_u32 s21, s21, s23
	s_cmp_ge_u32 s21, s19
	s_cselect_b32 s23, -1, 0
	s_cmp_ge_u32 s20, s18
	s_cselect_b32 s18, -1, 0
	s_cmp_eq_u32 s21, s19
	s_cselect_b32 s18, s18, s23
	s_cmp_lg_u32 s18, 0
	s_cselect_b32 s19, s29, s15
	s_cselect_b32 s18, s28, s7
	s_xor_b64 s[20:21], s[24:25], 0
	s_xor_b64 s[18:19], s[18:19], s[20:21]
	s_sub_u32 s18, s18, s20
	s_cbranch_execnz .LBB48_6
.LBB48_5:
	v_cvt_f32_u32_e32 v1, s22
	s_sub_i32 s7, 0, s22
	v_rcp_iflag_f32_e32 v1, v1
	s_nop 0
	v_mul_f32_e32 v1, 0x4f7ffffe, v1
	v_cvt_u32_f32_e32 v1, v1
	s_waitcnt lgkmcnt(0)
	v_readfirstlane_b32 s15, v1
	s_mul_i32 s7, s7, s15
	s_mul_hi_u32 s7, s15, s7
	s_add_i32 s15, s15, s7
	s_mul_hi_u32 s7, s5, s15
	s_mul_i32 s16, s7, s22
	s_sub_i32 s5, s5, s16
	s_add_i32 s15, s7, 1
	s_sub_i32 s16, s5, s22
	s_cmp_ge_u32 s5, s22
	s_cselect_b32 s7, s15, s7
	s_cselect_b32 s5, s16, s5
	s_add_i32 s15, s7, 1
	s_cmp_ge_u32 s5, s22
	s_cselect_b32 s18, s15, s7
.LBB48_6:
	s_cmp_eq_u32 s6, s18
	s_waitcnt lgkmcnt(0)
	s_mul_hi_u32 s5, s6, s12
	s_cselect_b64 s[16:17], -1, 0
	s_add_i32 s5, s5, s6
	s_lshr_b32 s7, s5, s13
	s_mul_i32 s5, s7, s14
	s_cmp_eq_u32 s5, s6
	s_mul_hi_u32 s5, s18, s12
	s_cselect_b64 s[20:21], -1, 0
	s_add_i32 s5, s5, s18
	s_lshr_b32 s5, s5, s13
	s_cmp_eq_u32 s7, s5
	s_mul_i32 s5, s5, s14
	s_cselect_b64 s[24:25], -1, 0
	s_cmp_lg_u32 s5, s18
	s_cselect_b64 s[18:19], -1, 0
	s_and_b64 s[18:19], s[24:25], s[18:19]
	s_or_b64 s[16:17], s[16:17], s[20:21]
	s_or_b64 s[16:17], s[16:17], s[18:19]
	s_and_b64 vcc, exec, s[16:17]
	s_cbranch_vccnz .LBB48_23
; %bb.7:
	s_load_dwordx8 s[24:31], s[0:1], 0x20
	s_load_dword s15, s[0:1], 0x40
	s_waitcnt lgkmcnt(0)
	s_mul_hi_u32 s5, s6, s24
	s_add_i32 s5, s5, s6
	s_lshr_b32 s5, s5, s25
	s_mul_i32 s16, s5, s26
	s_sub_i32 s16, s6, s16
	s_mul_hi_u32 s17, s16, s27
	s_add_i32 s17, s16, s17
	s_lshr_b32 s20, s17, s28
	s_mul_i32 s17, s20, s29
	s_sub_i32 s16, s16, s17
	s_mul_hi_u32 s17, s16, s30
	s_add_i32 s17, s16, s17
	s_lshr_b32 s17, s17, s31
	s_mul_i32 s15, s17, s15
	s_sub_i32 s15, s16, s15
	s_mul_hi_u32 s16, s15, s12
	s_add_i32 s15, s15, s16
	s_lshr_b32 s23, s15, s13
	s_lshl_b32 s15, s23, 1
	s_lshl_b32 s21, s17, 1
	s_add_i32 s15, s15, s3
	s_cmp_lt_i32 s15, s8
	s_cselect_b64 s[16:17], -1, 0
	s_add_i32 s15, s21, s4
	s_cmp_lt_i32 s15, s10
	s_cselect_b64 s[18:19], -1, 0
	s_and_b64 s[16:17], s[16:17], s[18:19]
	s_andn2_b64 vcc, exec, s[16:17]
	s_cbranch_vccnz .LBB48_23
; %bb.8:
	s_load_dwordx4 s[16:19], s[0:1], 0x0
	s_mov_b32 s0, 0
	s_lshl_b32 s15, s3, 1
	s_lshl_b32 s24, s22, 4
	s_mov_b32 s25, s0
	s_add_i32 s15, s15, s4
	s_waitcnt lgkmcnt(0)
	v_mov_b32_e32 v2, s16
	v_mov_b32_e32 v3, s17
	s_lshl_b64 s[16:17], s[24:25], 2
	s_add_u32 s16, s18, s16
	s_mul_i32 s1, s5, s8
	s_addc_u32 s17, s19, s17
	s_add_i32 s1, s1, s3
	s_mul_i32 s1, s1, s9
	s_mul_i32 s20, s20, s10
	s_add_i32 s1, s1, s4
	s_add_i32 s1, s1, s20
	s_mul_i32 s5, s9, s23
	s_add_i32 s1, s1, s21
	s_lshl_b32 s5, s5, 7
	s_lshl_b32 s1, s1, 6
	s_add_i32 s5, s5, s1
	v_or_b32_e32 v4, s5, v0
	v_ashrrev_i32_e32 v5, 31, v4
	v_lshl_add_u64 v[2:3], v[4:5], 2, v[2:3]
	global_load_dword v1, v[2:3], off
	v_cvt_f32_u32_e32 v4, s22
	s_lshl_b32 s1, s2, 2
	s_add_i32 s4, s15, s1
	s_ashr_i32 s5, s4, 31
	s_lshl_b64 s[4:5], s[4:5], 3
	v_rcp_iflag_f32_e32 v4, v4
	s_add_u32 s4, s18, s4
	s_addc_u32 s5, s19, s5
	s_load_dwordx2 s[4:5], s[4:5], 0x0
	v_mul_f32_e32 v4, 0x4f7ffffe, v4
	v_cvt_u32_f32_e32 v7, v4
	s_add_i32 s24, s2, -1
	v_lshl_or_b32 v6, s15, 6, v0
	s_waitcnt lgkmcnt(0)
	v_mov_b32_e32 v0, s5
	v_mov_b32_e32 v9, s4
	s_mov_b32 s10, 0x3fb8aa3b
	s_mov_b32 s20, 0xc2ce8ed0
	;; [unrolled: 1-line block ×4, first 2 shown]
	v_mov_b32_e32 v8, 0x7f800000
	s_mul_hi_i32 s1, s24, s11
	s_cmp_lg_u64 s[0:1], 0
	s_mul_i32 s8, s24, s11
	s_cbranch_scc0 .LBB48_19
.LBB48_9:
	s_add_u32 s2, s22, 0
	s_addc_u32 s3, 0, 0
	s_xor_b64 s[2:3], s[2:3], 0
	v_cvt_f32_u32_e32 v4, s2
	v_cvt_f32_u32_e32 v5, s3
	s_sub_u32 s9, 0, s2
	s_subb_u32 s25, 0, s3
	v_fmac_f32_e32 v4, 0x4f800000, v5
	v_rcp_f32_e32 v4, v4
	s_nop 0
	v_mul_f32_e32 v4, 0x5f7ffffc, v4
	v_mul_f32_e32 v5, 0x2f800000, v4
	v_trunc_f32_e32 v5, v5
	v_fmac_f32_e32 v4, 0xcf800000, v5
	v_cvt_u32_f32_e32 v5, v5
	v_cvt_u32_f32_e32 v4, v4
	v_readfirstlane_b32 s26, v5
	v_readfirstlane_b32 s4, v4
	s_mul_i32 s5, s9, s26
	s_mul_hi_u32 s28, s9, s4
	s_mul_i32 s27, s25, s4
	s_add_i32 s5, s28, s5
	s_mul_i32 s29, s9, s4
	s_add_i32 s5, s5, s27
	s_mul_i32 s28, s4, s5
	s_mul_hi_u32 s30, s4, s29
	s_mul_hi_u32 s27, s4, s5
	s_add_u32 s28, s30, s28
	s_addc_u32 s27, 0, s27
	s_mul_hi_u32 s31, s26, s29
	s_mul_i32 s29, s26, s29
	s_add_u32 s28, s28, s29
	s_mul_hi_u32 s30, s26, s5
	s_addc_u32 s27, s27, s31
	s_addc_u32 s28, s30, 0
	s_mul_i32 s5, s26, s5
	s_add_u32 s5, s27, s5
	s_addc_u32 s27, 0, s28
	s_add_u32 s28, s4, s5
	s_cselect_b64 s[4:5], -1, 0
	s_cmp_lg_u64 s[4:5], 0
	s_addc_u32 s26, s26, s27
	s_mul_i32 s4, s9, s26
	s_mul_hi_u32 s5, s9, s28
	s_add_i32 s4, s5, s4
	s_mul_i32 s25, s25, s28
	s_add_i32 s4, s4, s25
	s_mul_i32 s9, s9, s28
	s_mul_hi_u32 s25, s26, s9
	s_mul_i32 s27, s26, s9
	s_mul_i32 s30, s28, s4
	s_mul_hi_u32 s9, s28, s9
	s_mul_hi_u32 s29, s28, s4
	s_add_u32 s9, s9, s30
	s_addc_u32 s29, 0, s29
	s_add_u32 s9, s9, s27
	s_mul_hi_u32 s5, s26, s4
	s_addc_u32 s9, s29, s25
	s_addc_u32 s5, s5, 0
	s_mul_i32 s4, s26, s4
	s_add_u32 s4, s9, s4
	s_addc_u32 s9, 0, s5
	s_add_u32 s25, s28, s4
	s_cselect_b64 s[4:5], -1, 0
	s_cmp_lg_u64 s[4:5], 0
	s_addc_u32 s9, s26, s9
	s_ashr_i32 s4, s1, 31
	s_add_u32 s26, s8, s4
	s_mov_b32 s5, s4
	s_addc_u32 s27, s1, s4
	s_xor_b64 s[26:27], s[26:27], s[4:5]
	s_mul_i32 s28, s26, s9
	s_mul_hi_u32 s29, s26, s25
	s_mul_hi_u32 s1, s26, s9
	s_add_u32 s28, s29, s28
	s_addc_u32 s1, 0, s1
	s_mul_hi_u32 s30, s27, s25
	s_mul_i32 s25, s27, s25
	s_add_u32 s25, s28, s25
	s_mul_hi_u32 s29, s27, s9
	s_addc_u32 s1, s1, s30
	s_addc_u32 s25, s29, 0
	s_mul_i32 s9, s27, s9
	s_add_u32 s1, s1, s9
	s_addc_u32 s9, 0, s25
	s_mul_i32 s25, s2, s9
	s_mul_hi_u32 s28, s2, s1
	s_add_i32 s25, s28, s25
	s_mul_i32 s28, s3, s1
	s_add_i32 s25, s25, s28
	s_sub_i32 s30, s27, s25
	s_mul_i32 s28, s2, s1
	s_sub_u32 s26, s26, s28
	s_cselect_b64 s[28:29], -1, 0
	s_cmp_lg_u64 s[28:29], 0
	s_subb_u32 s33, s30, s3
	s_sub_u32 s34, s26, s2
	s_cselect_b64 s[30:31], -1, 0
	s_cmp_lg_u64 s[30:31], 0
	s_subb_u32 s30, s33, 0
	s_cmp_ge_u32 s30, s3
	s_cselect_b32 s31, -1, 0
	s_cmp_ge_u32 s34, s2
	s_cselect_b32 s33, -1, 0
	s_cmp_eq_u32 s30, s3
	s_cselect_b32 s30, s33, s31
	s_add_u32 s31, s1, 1
	s_addc_u32 s33, s9, 0
	s_add_u32 s34, s1, 2
	s_addc_u32 s35, s9, 0
	s_cmp_lg_u32 s30, 0
	s_cselect_b32 s30, s34, s31
	s_cselect_b32 s31, s35, s33
	s_cmp_lg_u64 s[28:29], 0
	s_subb_u32 s25, s27, s25
	s_cmp_ge_u32 s25, s3
	s_cselect_b32 s27, -1, 0
	s_cmp_ge_u32 s26, s2
	s_cselect_b32 s2, -1, 0
	s_cmp_eq_u32 s25, s3
	s_cselect_b32 s2, s2, s27
	s_cmp_lg_u32 s2, 0
	s_cselect_b32 s3, s31, s9
	s_cselect_b32 s2, s30, s1
	s_xor_b64 s[4:5], s[4:5], 0
	s_xor_b64 s[2:3], s[2:3], s[4:5]
	s_sub_u32 s4, s2, s4
	s_cbranch_execnz .LBB48_11
.LBB48_10:
	s_sub_i32 s1, 0, s22
	v_readfirstlane_b32 s2, v7
	s_mul_i32 s1, s1, s2
	s_mul_hi_u32 s1, s2, s1
	s_add_i32 s2, s2, s1
	s_mul_hi_u32 s1, s8, s2
	s_mul_i32 s3, s1, s22
	s_sub_i32 s3, s8, s3
	s_add_i32 s2, s1, 1
	s_sub_i32 s4, s3, s22
	s_cmp_ge_u32 s3, s22
	s_cselect_b32 s1, s2, s1
	s_cselect_b32 s3, s4, s3
	s_add_i32 s2, s1, 1
	s_cmp_ge_u32 s3, s22
	s_cselect_b32 s4, s2, s1
.LBB48_11:
	s_cmp_lg_u32 s6, s4
	s_cbranch_scc0 .LBB48_15
; %bb.12:
	s_add_i32 s1, s24, s22
	s_lshl_b32 s1, s1, 2
	s_add_i32 s2, s1, s15
	s_mov_b32 s3, s0
	s_lshl_b64 s[2:3], s[2:3], 3
	s_add_u32 s8, s18, s2
	s_mul_hi_u32 s1, s4, s12
	s_addc_u32 s9, s19, s3
	s_add_i32 s1, s1, s4
	s_lshr_b32 s1, s1, s13
	s_mul_i32 s2, s1, s14
	s_cmp_eq_u32 s2, s4
	s_cselect_b64 s[2:3], -1, 0
	s_cmp_lt_u32 s1, s7
	s_cselect_b64 s[26:27], -1, 0
	s_or_b64 s[26:27], s[26:27], s[2:3]
	s_mov_b64 s[2:3], -1
	s_and_b64 vcc, exec, s[26:27]
	s_mov_b32 s1, s24
	s_mov_b32 s25, s6
	s_cbranch_vccnz .LBB48_14
; %bb.13:
	s_add_i32 s1, s24, -1
	s_mov_b64 s[2:3], 0
	s_mov_b32 s25, s4
.LBB48_14:
	v_lshl_add_u32 v4, s24, 8, v6
	v_ashrrev_i32_e32 v5, 31, v4
	v_lshl_add_u64 v[4:5], v[4:5], 2, s[16:17]
	global_load_dword v5, v[4:5], off
	s_load_dwordx2 s[4:5], s[8:9], 0x0
	v_max_f32_e32 v4, v9, v9
	s_waitcnt lgkmcnt(0)
	v_max_f32_e64 v10, s4, s4
	v_max_f32_e32 v10, v4, v10
	v_sub_f32_e32 v11, v9, v10
	v_sub_f32_e32 v13, s4, v10
	v_mul_f32_e32 v4, 0x3fb8aa3b, v11
	v_mul_f32_e32 v12, 0x3fb8aa3b, v13
	v_fma_f32 v14, v11, s10, -v4
	v_rndne_f32_e32 v15, v4
	v_fma_f32 v16, v13, s10, -v12
	v_rndne_f32_e32 v17, v12
	v_fmac_f32_e32 v14, 0x32a5705f, v11
	v_sub_f32_e32 v4, v4, v15
	v_fmac_f32_e32 v16, 0x32a5705f, v13
	v_sub_f32_e32 v12, v12, v17
	v_add_f32_e32 v4, v4, v14
	v_cvt_i32_f32_e32 v15, v15
	v_add_f32_e32 v12, v12, v16
	v_exp_f32_e32 v14, v4
	v_cvt_i32_f32_e32 v17, v17
	v_exp_f32_e32 v12, v12
	v_cmp_ngt_f32_e32 vcc, s20, v11
	v_ldexp_f32 v14, v14, v15
	v_mov_b32_e32 v4, s5
	v_ldexp_f32 v12, v12, v17
	v_cndmask_b32_e32 v14, 0, v14, vcc
	v_cmp_ngt_f32_e32 vcc, s20, v13
	s_nop 1
	v_cndmask_b32_e32 v12, 0, v12, vcc
	v_cmp_nlt_f32_e32 vcc, s21, v11
	s_nop 1
	v_cndmask_b32_e32 v14, v8, v14, vcc
	v_cmp_nlt_f32_e32 vcc, s21, v13
	s_nop 1
	v_cndmask_b32_e32 v15, v8, v12, vcc
	v_cmp_le_f32_e32 vcc, s23, v11
	s_nop 1
	v_cndmask_b32_e32 v12, 0, v14, vcc
	v_cmp_le_f32_e32 vcc, s23, v13
	s_nop 1
	v_cndmask_b32_e32 v14, 0, v15, vcc
	s_waitcnt vmcnt(0)
	v_pk_mul_f32 v[4:5], v[4:5], v[14:15] op_sel_hi:[1,0]
	s_nop 0
	v_pk_fma_f32 v[4:5], v[0:1], v[12:13], v[4:5] op_sel_hi:[1,0,1]
	s_cbranch_execz .LBB48_16
	s_branch .LBB48_17
.LBB48_15:
                                        ; implicit-def: $vgpr4_vgpr5
                                        ; implicit-def: $sgpr2_sgpr3
                                        ; implicit-def: $vgpr10
                                        ; implicit-def: $sgpr1
                                        ; implicit-def: $sgpr25
.LBB48_16:
	s_add_i32 s1, s24, -1
	s_mov_b64 s[2:3], 0
	s_mov_b32 s25, s6
	v_mov_b32_e32 v10, v9
	s_waitcnt vmcnt(0)
	v_mov_b64_e32 v[4:5], v[0:1]
.LBB48_17:
	s_andn2_b64 vcc, exec, s[2:3]
	s_cbranch_vccz .LBB48_22
; %bb.18:
	s_mov_b32 s6, s25
	s_mov_b32 s24, s1
	v_mov_b32_e32 v9, v10
	s_waitcnt vmcnt(0)
	v_mov_b64_e32 v[0:1], v[4:5]
	s_mul_hi_i32 s1, s24, s11
	s_cmp_lg_u64 s[0:1], 0
	s_mul_i32 s8, s24, s11
	s_cbranch_scc1 .LBB48_9
.LBB48_19:
                                        ; implicit-def: $sgpr4_sgpr5
	s_branch .LBB48_10
.LBB48_20:
                                        ; implicit-def: $sgpr6_sgpr7
	s_load_dwordx4 s[12:15], s[0:1], 0x44
	s_branch .LBB48_2
.LBB48_21:
                                        ; implicit-def: $sgpr18_sgpr19
	s_branch .LBB48_5
.LBB48_22:
	v_div_scale_f32 v0, s[0:1], v4, v4, v5
	s_waitcnt vmcnt(0)
	v_rcp_f32_e32 v1, v0
	v_div_scale_f32 v6, vcc, v5, v4, v5
	v_fma_f32 v7, -v0, v1, 1.0
	v_fmac_f32_e32 v1, v7, v1
	v_mul_f32_e32 v7, v6, v1
	v_fma_f32 v8, -v0, v7, v6
	v_fmac_f32_e32 v7, v8, v1
	v_fma_f32 v0, -v0, v7, v6
	v_div_fmas_f32 v0, v0, v1, v7
	v_div_fixup_f32 v0, v0, v4, v5
	global_store_dword v[2:3], v0, off
.LBB48_23:
	s_endpgm
	.section	.rodata,"a",@progbits
	.p2align	6, 0x0
	.amdhsa_kernel _ZL33flash_attn_stream_k_fixup_generalILi64ELi2ELi2EEvPfPK15HIP_vector_typeIfLj2EEiiiiS1_IjLj3EES5_S5_S5_
		.amdhsa_group_segment_fixed_size 0
		.amdhsa_private_segment_fixed_size 0
		.amdhsa_kernarg_size 336
		.amdhsa_user_sgpr_count 2
		.amdhsa_user_sgpr_dispatch_ptr 0
		.amdhsa_user_sgpr_queue_ptr 0
		.amdhsa_user_sgpr_kernarg_segment_ptr 1
		.amdhsa_user_sgpr_dispatch_id 0
		.amdhsa_user_sgpr_kernarg_preload_length 0
		.amdhsa_user_sgpr_kernarg_preload_offset 0
		.amdhsa_user_sgpr_private_segment_size 0
		.amdhsa_uses_dynamic_stack 0
		.amdhsa_enable_private_segment 0
		.amdhsa_system_sgpr_workgroup_id_x 1
		.amdhsa_system_sgpr_workgroup_id_y 1
		.amdhsa_system_sgpr_workgroup_id_z 1
		.amdhsa_system_sgpr_workgroup_info 0
		.amdhsa_system_vgpr_workitem_id 0
		.amdhsa_next_free_vgpr 18
		.amdhsa_next_free_sgpr 36
		.amdhsa_accum_offset 20
		.amdhsa_reserve_vcc 1
		.amdhsa_float_round_mode_32 0
		.amdhsa_float_round_mode_16_64 0
		.amdhsa_float_denorm_mode_32 3
		.amdhsa_float_denorm_mode_16_64 3
		.amdhsa_dx10_clamp 1
		.amdhsa_ieee_mode 1
		.amdhsa_fp16_overflow 0
		.amdhsa_tg_split 0
		.amdhsa_exception_fp_ieee_invalid_op 0
		.amdhsa_exception_fp_denorm_src 0
		.amdhsa_exception_fp_ieee_div_zero 0
		.amdhsa_exception_fp_ieee_overflow 0
		.amdhsa_exception_fp_ieee_underflow 0
		.amdhsa_exception_fp_ieee_inexact 0
		.amdhsa_exception_int_div_zero 0
	.end_amdhsa_kernel
	.section	.text._ZL33flash_attn_stream_k_fixup_generalILi64ELi2ELi2EEvPfPK15HIP_vector_typeIfLj2EEiiiiS1_IjLj3EES5_S5_S5_,"axG",@progbits,_ZL33flash_attn_stream_k_fixup_generalILi64ELi2ELi2EEvPfPK15HIP_vector_typeIfLj2EEiiiiS1_IjLj3EES5_S5_S5_,comdat
.Lfunc_end48:
	.size	_ZL33flash_attn_stream_k_fixup_generalILi64ELi2ELi2EEvPfPK15HIP_vector_typeIfLj2EEiiiiS1_IjLj3EES5_S5_S5_, .Lfunc_end48-_ZL33flash_attn_stream_k_fixup_generalILi64ELi2ELi2EEvPfPK15HIP_vector_typeIfLj2EEiiiiS1_IjLj3EES5_S5_S5_
                                        ; -- End function
	.set _ZL33flash_attn_stream_k_fixup_generalILi64ELi2ELi2EEvPfPK15HIP_vector_typeIfLj2EEiiiiS1_IjLj3EES5_S5_S5_.num_vgpr, 18
	.set _ZL33flash_attn_stream_k_fixup_generalILi64ELi2ELi2EEvPfPK15HIP_vector_typeIfLj2EEiiiiS1_IjLj3EES5_S5_S5_.num_agpr, 0
	.set _ZL33flash_attn_stream_k_fixup_generalILi64ELi2ELi2EEvPfPK15HIP_vector_typeIfLj2EEiiiiS1_IjLj3EES5_S5_S5_.numbered_sgpr, 36
	.set _ZL33flash_attn_stream_k_fixup_generalILi64ELi2ELi2EEvPfPK15HIP_vector_typeIfLj2EEiiiiS1_IjLj3EES5_S5_S5_.num_named_barrier, 0
	.set _ZL33flash_attn_stream_k_fixup_generalILi64ELi2ELi2EEvPfPK15HIP_vector_typeIfLj2EEiiiiS1_IjLj3EES5_S5_S5_.private_seg_size, 0
	.set _ZL33flash_attn_stream_k_fixup_generalILi64ELi2ELi2EEvPfPK15HIP_vector_typeIfLj2EEiiiiS1_IjLj3EES5_S5_S5_.uses_vcc, 1
	.set _ZL33flash_attn_stream_k_fixup_generalILi64ELi2ELi2EEvPfPK15HIP_vector_typeIfLj2EEiiiiS1_IjLj3EES5_S5_S5_.uses_flat_scratch, 0
	.set _ZL33flash_attn_stream_k_fixup_generalILi64ELi2ELi2EEvPfPK15HIP_vector_typeIfLj2EEiiiiS1_IjLj3EES5_S5_S5_.has_dyn_sized_stack, 0
	.set _ZL33flash_attn_stream_k_fixup_generalILi64ELi2ELi2EEvPfPK15HIP_vector_typeIfLj2EEiiiiS1_IjLj3EES5_S5_S5_.has_recursion, 0
	.set _ZL33flash_attn_stream_k_fixup_generalILi64ELi2ELi2EEvPfPK15HIP_vector_typeIfLj2EEiiiiS1_IjLj3EES5_S5_S5_.has_indirect_call, 0
	.section	.AMDGPU.csdata,"",@progbits
; Kernel info:
; codeLenInByte = 2940
; TotalNumSgprs: 42
; NumVgprs: 18
; NumAgprs: 0
; TotalNumVgprs: 18
; ScratchSize: 0
; MemoryBound: 0
; FloatMode: 240
; IeeeMode: 1
; LDSByteSize: 0 bytes/workgroup (compile time only)
; SGPRBlocks: 5
; VGPRBlocks: 2
; NumSGPRsForWavesPerEU: 42
; NumVGPRsForWavesPerEU: 18
; AccumOffset: 20
; Occupancy: 8
; WaveLimiterHint : 0
; COMPUTE_PGM_RSRC2:SCRATCH_EN: 0
; COMPUTE_PGM_RSRC2:USER_SGPR: 2
; COMPUTE_PGM_RSRC2:TRAP_HANDLER: 0
; COMPUTE_PGM_RSRC2:TGID_X_EN: 1
; COMPUTE_PGM_RSRC2:TGID_Y_EN: 1
; COMPUTE_PGM_RSRC2:TGID_Z_EN: 1
; COMPUTE_PGM_RSRC2:TIDIG_COMP_CNT: 0
; COMPUTE_PGM_RSRC3_GFX90A:ACCUM_OFFSET: 4
; COMPUTE_PGM_RSRC3_GFX90A:TG_SPLIT: 0
	.section	.text._ZL15flash_attn_tileILi64ELi64ELi1ELi2ELb0EEvPKcS1_S1_S1_S1_PKiPfP15HIP_vector_typeIfLj2EEffffjfiS5_IjLj3EEiiiiiiiiiiiliiliiiiil,"axG",@progbits,_ZL15flash_attn_tileILi64ELi64ELi1ELi2ELb0EEvPKcS1_S1_S1_S1_PKiPfP15HIP_vector_typeIfLj2EEffffjfiS5_IjLj3EEiiiiiiiiiiiliiliiiiil,comdat
	.globl	_ZL15flash_attn_tileILi64ELi64ELi1ELi2ELb0EEvPKcS1_S1_S1_S1_PKiPfP15HIP_vector_typeIfLj2EEffffjfiS5_IjLj3EEiiiiiiiiiiiliiliiiiil ; -- Begin function _ZL15flash_attn_tileILi64ELi64ELi1ELi2ELb0EEvPKcS1_S1_S1_S1_PKiPfP15HIP_vector_typeIfLj2EEffffjfiS5_IjLj3EEiiiiiiiiiiiliiliiiiil
	.p2align	8
	.type	_ZL15flash_attn_tileILi64ELi64ELi1ELi2ELb0EEvPKcS1_S1_S1_S1_PKiPfP15HIP_vector_typeIfLj2EEffffjfiS5_IjLj3EEiiiiiiiiiiiliiliiiiil,@function
_ZL15flash_attn_tileILi64ELi64ELi1ELi2ELb0EEvPKcS1_S1_S1_S1_PKiPfP15HIP_vector_typeIfLj2EEffffjfiS5_IjLj3EEiiiiiiiiiiiliiliiiiil: ; @_ZL15flash_attn_tileILi64ELi64ELi1ELi2ELb0EEvPKcS1_S1_S1_S1_PKiPfP15HIP_vector_typeIfLj2EEffffjfiS5_IjLj3EEiiiiiiiiiiiliiliiiiil
; %bb.0:
	s_load_dwordx4 s[20:23], s[0:1], 0x5c
	s_load_dwordx2 s[24:25], s[0:1], 0x80
	s_load_dwordx2 s[28:29], s[0:1], 0xb8
	s_mov_b64 s[26:27], 0
	s_waitcnt lgkmcnt(0)
	s_lshr_b32 s5, s23, 31
	s_add_i32 s5, s23, s5
	s_ashr_i32 s5, s5, 1
	v_cvt_f32_u32_e32 v1, s5
	s_sub_i32 s6, 0, s5
	v_rcp_iflag_f32_e32 v1, v1
	s_nop 0
	v_mul_f32_e32 v1, 0x4f7ffffe, v1
	v_cvt_u32_f32_e32 v1, v1
	s_nop 0
	v_readfirstlane_b32 s7, v1
	s_mul_i32 s6, s6, s7
	s_mul_hi_u32 s6, s7, s6
	s_add_i32 s7, s7, s6
	s_mul_hi_u32 s6, s4, s7
	s_mul_i32 s7, s6, s5
	s_sub_i32 s7, s4, s7
	s_add_i32 s8, s6, 1
	s_sub_i32 s9, s7, s5
	s_cmp_ge_u32 s7, s5
	s_cselect_b32 s6, s8, s6
	s_cselect_b32 s7, s9, s7
	s_add_i32 s8, s6, 1
	s_cmp_ge_u32 s7, s5
	s_cselect_b32 s30, s8, s6
	s_abs_i32 s5, s25
	v_cvt_f32_u32_e32 v1, s5
	s_lshl_b32 s4, s4, 1
	s_mul_i32 s8, s30, s23
	s_xor_b32 s6, s23, s25
	v_rcp_iflag_f32_e32 v1, v1
	s_sub_i32 s9, 0, s5
	s_sub_i32 s25, s4, s8
	s_abs_i32 s7, s23
	v_mul_f32_e32 v1, 0x4f7ffffe, v1
	v_cvt_u32_f32_e32 v1, v1
	s_ashr_i32 s6, s6, 31
	v_readfirstlane_b32 s4, v1
	s_mul_i32 s9, s9, s4
	s_mul_hi_u32 s8, s4, s9
	s_add_i32 s4, s4, s8
	s_mul_hi_u32 s4, s7, s4
	s_mul_i32 s8, s4, s5
	s_sub_i32 s7, s7, s8
	s_add_i32 s9, s4, 1
	s_sub_i32 s8, s7, s5
	s_cmp_ge_u32 s7, s5
	s_cselect_b32 s4, s9, s4
	s_cselect_b32 s7, s8, s7
	s_add_i32 s8, s4, 1
	s_cmp_ge_u32 s7, s5
	s_cselect_b32 s4, s8, s4
	s_xor_b32 s4, s4, s6
	s_sub_i32 s33, s4, s6
	s_abs_i32 s31, s33
	v_cvt_f32_u32_e32 v1, s31
	s_load_dwordx16 s[4:19], s[0:1], 0x0
	v_rcp_iflag_f32_e32 v1, v1
	s_waitcnt lgkmcnt(0)
	s_cmp_eq_u64 s[10:11], 0
	v_mul_f32_e32 v1, 0x4f7ffffe, v1
	v_cvt_u32_f32_e32 v1, v1
	s_nop 0
	v_readfirstlane_b32 s34, v1
	s_cbranch_scc1 .LBB49_2
; %bb.1:
	s_abs_i32 s28, s28
	v_cvt_f32_u32_e32 v1, s28
	s_sub_i32 s37, 0, s28
	s_abs_i32 s36, s30
	s_ashr_i32 s35, s30, 31
	v_rcp_iflag_f32_e32 v1, v1
	s_load_dwordx2 s[26:27], s[0:1], 0xc8
	v_mul_f32_e32 v1, 0x4f7ffffe, v1
	v_cvt_u32_f32_e32 v1, v1
	s_nop 0
	v_readfirstlane_b32 s38, v1
	s_mul_i32 s37, s37, s38
	s_mul_hi_u32 s37, s38, s37
	s_add_i32 s38, s38, s37
	s_mul_hi_u32 s37, s36, s38
	s_mul_i32 s37, s37, s28
	s_sub_i32 s36, s36, s37
	s_sub_i32 s37, s36, s28
	s_cmp_ge_u32 s36, s28
	s_cselect_b32 s36, s37, s36
	s_sub_i32 s37, s36, s28
	s_cmp_ge_u32 s36, s28
	s_cselect_b32 s28, s37, s36
	s_xor_b32 s28, s28, s35
	s_sub_i32 s28, s28, s35
	s_ashr_i32 s35, s28, 31
	s_waitcnt lgkmcnt(0)
	s_mul_hi_u32 s36, s26, s28
	s_mul_i32 s35, s26, s35
	s_mul_i32 s27, s27, s28
	s_add_i32 s35, s36, s35
	s_add_i32 s35, s35, s27
	s_mul_i32 s26, s26, s28
	s_add_u32 s26, s10, s26
	s_addc_u32 s27, s11, s35
.LBB49_2:
	s_load_dwordx4 s[36:39], s[0:1], 0x70
	v_lshrrev_b32_e32 v1, 10, v0
	v_bfe_u32 v1, v1, 1, 9
	v_add_u32_e32 v3, s2, v1
	v_mul_hi_u32 v1, s20, v3
	s_waitcnt lgkmcnt(0)
	s_mul_i32 s10, s30, s38
	s_ashr_i32 s28, s10, 31
	s_mul_i32 s11, s25, s37
	s_add_u32 s4, s4, s10
	s_addc_u32 s5, s5, s28
	s_ashr_i32 s10, s11, 31
	s_add_u32 s4, s4, s11
	v_add_u32_e32 v1, v3, v1
	s_addc_u32 s5, s5, s10
	s_ashr_i32 s11, s37, 31
	s_mov_b32 s10, s37
	v_lshrrev_b32_e32 v1, s21, v1
	v_bfe_u32 v24, v0, 10, 1
	s_lshr_b64 s[38:39], s[10:11], 2
	s_lshr_b32 s10, s11, 2
	v_mul_lo_u32 v1, v1, s22
	s_ashr_i32 s37, s36, 31
	v_mul_lo_u32 v5, s10, v24
	v_sub_u32_e32 v12, v3, v1
	s_lshr_b64 s[10:11], s[36:37], 2
	v_mad_u64_u32 v[6:7], s[10:11], s10, v12, 0
	v_mov_b32_e32 v2, v7
	s_lshr_b32 s10, s37, 2
	v_mul_lo_u32 v4, s38, v24
	v_mad_u64_u32 v[8:9], s[10:11], s10, v12, v[2:3]
	v_mov_b32_e32 v7, v8
	v_and_b32_e32 v2, 0x3ff, v0
	v_lshl_add_u64 v[4:5], v[4:5], 2, s[4:5]
	v_lshl_add_u64 v[4:5], v[6:7], 2, v[4:5]
	v_lshlrev_b32_e32 v6, 3, v2
	v_mov_b32_e32 v7, 0
	v_lshl_add_u64 v[4:5], v[4:5], 0, v[6:7]
	global_load_dwordx2 v[4:5], v[4:5], off
	s_load_dword s4, s[0:1], 0x40
	v_bfe_u32 v0, v0, 10, 10
	v_mov_b32_e32 v1, 0x1200
	v_lshl_add_u32 v25, v0, 7, v1
	v_lshl_add_u32 v1, v2, 2, v25
	s_cmp_eq_u64 s[14:15], 0
	s_waitcnt vmcnt(0) lgkmcnt(0)
	v_fma_mixlo_f16 v5, s4, v5, 0
	v_fma_mixlo_f16 v4, s4, v4, 0
	v_lshlrev_b32_e32 v5, 16, v5
	v_or_b32_sdwa v4, v5, v4 dst_sel:DWORD dst_unused:UNUSED_PAD src0_sel:DWORD src1_sel:WORD_0
	ds_write_b32 v1, v4
	s_waitcnt lgkmcnt(0)
	; wave barrier
	s_cbranch_scc1 .LBB49_4
; %bb.3:
	s_load_dword s4, s[0:1], 0xd0
	s_mov_b32 s5, 0
	s_waitcnt lgkmcnt(0)
	s_mul_i32 s4, s4, s30
	s_add_i32 s4, s4, s2
	s_lshl_b64 s[4:5], s[4:5], 2
	s_add_u32 s4, s14, s4
	s_addc_u32 s5, s15, s5
	s_load_dword s24, s[4:5], 0x0
.LBB49_4:
	s_lshl_b32 s2, s3, 5
	s_waitcnt lgkmcnt(0)
	s_cmp_lt_i32 s2, s24
	v_mbcnt_lo_u32_b32 v23, -1, 0
	s_cbranch_scc1 .LBB49_7
; %bb.5:
	v_mbcnt_hi_u32_b32 v26, -1, v23
	v_and_b32_e32 v1, 0x60, v26
	v_add_u32_e32 v47, 32, v1
	v_xor_b32_e32 v44, 16, v26
	v_xor_b32_e32 v40, 8, v26
	;; [unrolled: 1-line block ×5, first 2 shown]
	s_cbranch_execz .LBB49_8
; %bb.6:
	v_mov_b32_e32 v23, 0
	v_mov_b32_e32 v22, 0xfeffffff
	;; [unrolled: 1-line block ×3, first 2 shown]
	s_branch .LBB49_10
.LBB49_7:
                                        ; implicit-def: $vgpr26
                                        ; implicit-def: $vgpr47
                                        ; implicit-def: $vgpr44
                                        ; implicit-def: $vgpr40
                                        ; implicit-def: $vgpr41
                                        ; implicit-def: $vgpr42
                                        ; implicit-def: $vgpr43
.LBB49_8:
	s_sub_i32 s4, 0, s31
	s_mul_i32 s4, s4, s34
	s_mul_hi_u32 s4, s34, s4
	s_add_i32 s34, s34, s4
	s_load_dwordx2 s[4:5], s[0:1], 0x8c
	s_load_dwordx4 s[36:39], s[0:1], 0x98
	s_abs_i32 s14, s25
	s_mul_hi_u32 s15, s14, s34
	s_ashr_i32 s28, s25, 31
	s_waitcnt lgkmcnt(0)
	s_ashr_i32 s11, s4, 2
	s_ashr_i32 s4, s29, 1
	;; [unrolled: 1-line block ×3, first 2 shown]
	s_mul_hi_u32 s34, s36, s30
	s_mul_i32 s35, s36, s29
	s_add_i32 s34, s34, s35
	s_mul_i32 s35, s37, s30
	s_ashr_i32 s33, s33, 31
	s_ashr_i32 s10, s38, 2
	s_add_i32 s34, s34, s35
	s_mul_i32 s35, s36, s30
	s_add_u32 s6, s6, s35
	s_addc_u32 s7, s7, s34
	s_xor_b32 s28, s28, s33
	s_mul_i32 s33, s15, s31
	s_sub_i32 s14, s14, s33
	s_add_i32 s33, s15, 1
	s_sub_i32 s34, s14, s31
	s_cmp_ge_u32 s14, s31
	s_cselect_b32 s15, s33, s15
	s_cselect_b32 s14, s34, s14
	s_add_i32 s33, s15, 1
	s_cmp_ge_u32 s14, s31
	s_load_dwordx2 s[20:21], s[0:1], 0xa8
	s_cselect_b32 s14, s33, s15
	s_xor_b32 s14, s14, s28
	s_sub_i32 s28, s14, s28
	s_mul_i32 s5, s28, s5
	s_ashr_i32 s15, s5, 31
	s_add_u32 s14, s6, s5
	s_waitcnt lgkmcnt(0)
	s_mul_hi_u32 s5, s20, s30
	s_mul_i32 s6, s20, s29
	s_addc_u32 s15, s7, s15
	s_add_i32 s5, s5, s6
	s_mul_i32 s6, s21, s30
	s_add_i32 s5, s5, s6
	s_mul_i32 s6, s20, s30
	s_add_u32 s6, s8, s6
	s_mul_i32 s28, s28, s39
	s_addc_u32 s5, s9, s5
	s_ashr_i32 s7, s28, 31
	v_lshlrev_b32_e32 v27, 2, v2
	s_add_u32 s20, s6, s28
	v_lshrrev_b32_e32 v1, 3, v2
	v_and_b32_e32 v26, 28, v27
	s_addc_u32 s21, s5, s7
	v_lshl_add_u32 v14, v0, 2, v1
	v_lshlrev_b32_e32 v15, 2, v26
	s_movk_i32 s5, 0x90
	v_mad_u32_u24 v28, v14, s5, v15
	v_mul_lo_u32 v4, s11, v14
	s_lshl_b32 s5, s11, 3
	v_add_u32_e32 v6, s5, v4
	v_add_u32_e32 v8, s5, v6
	;; [unrolled: 1-line block ×3, first 2 shown]
	v_mad_u64_u32 v[12:13], s[4:5], v12, s4, v[2:3]
	v_lshl_or_b32 v35, v14, 7, v15
	v_mul_lo_u32 v14, s10, v14
	s_lshl_b32 s4, s10, 3
	v_add_u32_e32 v16, s4, v14
	v_mov_b32_e32 v13, 0x1300
	v_add_u32_e32 v18, s4, v16
	v_mov_b32_e32 v1, 0
	v_lshl_add_u32 v33, v0, 6, v13
	v_add_u32_e32 v20, s4, v18
	s_add_u32 s6, s0, 0xd0
	v_ashrrev_i32_e32 v5, 31, v4
	v_add_u32_e32 v29, 0x480, v28
	v_ashrrev_i32_e32 v7, 31, v6
	v_add_u32_e32 v30, 0x900, v28
	;; [unrolled: 2-line block ×3, first 2 shown]
	v_ashrrev_i32_e32 v11, 31, v10
	v_mul_u32_u24_e32 v32, 0x90, v2
	v_lshl_add_u32 v34, v2, 1, v33
	v_ashrrev_i32_e32 v15, 31, v14
	v_add_u32_e32 v36, 0x400, v35
	v_ashrrev_i32_e32 v17, 31, v16
	v_add_u32_e32 v37, 0x800, v35
	;; [unrolled: 2-line block ×3, first 2 shown]
	v_ashrrev_i32_e32 v21, 31, v20
	s_addc_u32 s7, s1, 0
	v_mov_b32_e32 v22, 0xfeffffff
	v_lshlrev_b32_e32 v0, 2, v26
	s_mov_b32 s28, 0x3fb8aa3b
	s_mov_b32 s29, 0xc2ce8ed0
	;; [unrolled: 1-line block ×4, first 2 shown]
	v_mbcnt_hi_u32_b32 v26, -1, v23
	v_mov_b32_e32 v39, 0x7f800000
	v_mov_b32_e32 v13, v1
	;; [unrolled: 1-line block ×3, first 2 shown]
.LBB49_9:                               ; =>This Inner Loop Header: Depth=1
	v_and_b32_e32 v47, 0x60, v26
	v_xor_b32_e32 v44, 16, v26
	v_add_u32_e32 v47, 32, v47
	v_xor_b32_e32 v40, 8, v26
	v_cmp_lt_i32_e32 vcc, v44, v47
	s_mul_hi_i32 s5, s2, s11
	s_mul_i32 s4, s2, s11
	v_xor_b32_e32 v41, 4, v26
	v_cndmask_b32_e32 v48, v26, v44, vcc
	v_cmp_lt_i32_e32 vcc, v40, v47
	v_xor_b32_e32 v42, 2, v26
	s_lshl_b64 s[4:5], s[4:5], 2
	v_cndmask_b32_e32 v49, v26, v40, vcc
	v_cmp_lt_i32_e32 vcc, v41, v47
	v_xor_b32_e32 v43, 1, v26
	s_add_u32 s4, s14, s4
	v_cndmask_b32_e32 v50, v26, v41, vcc
	v_cmp_lt_i32_e32 vcc, v42, v47
	s_addc_u32 s5, s15, s5
	v_lshlrev_b32_e32 v77, 2, v48
	v_cndmask_b32_e32 v51, v26, v42, vcc
	v_cmp_lt_i32_e32 vcc, v43, v47
	v_lshlrev_b32_e32 v78, 2, v49
	v_lshl_add_u64 v[48:49], v[4:5], 2, s[4:5]
	v_cndmask_b32_e32 v52, v26, v43, vcc
	v_lshlrev_b32_e32 v79, 2, v50
	v_lshlrev_b32_e32 v80, 2, v51
	;; [unrolled: 1-line block ×3, first 2 shown]
	v_lshl_add_u64 v[50:51], v[6:7], 2, s[4:5]
	v_lshl_add_u64 v[52:53], v[8:9], 2, s[4:5]
	;; [unrolled: 1-line block ×7, first 2 shown]
	global_load_dwordx4 v[48:51], v[64:65], off
	global_load_dwordx4 v[52:55], v[66:67], off
	;; [unrolled: 1-line block ×4, first 2 shown]
	v_mov_b32_e32 v46, v1
	v_mov_b32_e32 v45, v22
	v_add_u32_e32 v22, s2, v12
	v_mov_b32_e32 v74, v23
	v_ashrrev_i32_e32 v23, 31, v22
	v_lshl_add_u64 v[22:23], v[22:23], 1, s[26:27]
	s_mul_hi_i32 s9, s2, s10
	s_mul_i32 s8, s2, s10
	s_lshl_b64 s[8:9], s[8:9], 2
	s_add_u32 s4, s20, s8
	s_addc_u32 s5, s21, s9
	v_lshl_add_u64 v[64:65], v[14:15], 2, s[4:5]
	v_lshl_add_u64 v[66:67], v[16:17], 2, s[4:5]
	v_lshl_add_u64 v[68:69], v[18:19], 2, s[4:5]
	v_lshl_add_u64 v[70:71], v[20:21], 2, s[4:5]
	v_lshl_add_u64 v[64:65], v[64:65], 0, v[0:1]
	v_lshl_add_u64 v[66:67], v[66:67], 0, v[0:1]
	v_lshl_add_u64 v[68:69], v[68:69], 0, v[0:1]
	v_lshl_add_u64 v[70:71], v[70:71], 0, v[0:1]
	v_max_f32_e32 v76, v45, v45
	v_add_u32_e32 v72, 0x400, v27
	v_add_u32_e32 v73, 0x800, v27
	;; [unrolled: 1-line block ×3, first 2 shown]
	s_waitcnt vmcnt(3)
	ds_write_b128 v28, v[48:51]
	s_waitcnt vmcnt(2)
	ds_write_b128 v29, v[52:55]
	;; [unrolled: 2-line block ×4, first 2 shown]
	s_waitcnt lgkmcnt(0)
	; wave barrier
	ds_read_b128 v[48:51], v32
	ds_read_b128 v[52:55], v25
	s_waitcnt lgkmcnt(0)
	;;#ASMSTART
	v_dot2_f32_f16 v46, v48, v52, v46
	;;#ASMEND
	s_nop 0
	;;#ASMSTART
	v_dot2_f32_f16 v46, v49, v53, v46
	;;#ASMEND
	s_nop 0
	;;#ASMSTART
	v_dot2_f32_f16 v46, v50, v54, v46
	;;#ASMEND
	s_nop 0
	;;#ASMSTART
	v_dot2_f32_f16 v46, v51, v55, v46
	;;#ASMEND
	ds_read_b128 v[48:51], v32 offset:16
	ds_read_b128 v[52:55], v25 offset:16
	s_waitcnt lgkmcnt(0)
	;;#ASMSTART
	v_dot2_f32_f16 v46, v48, v52, v46
	;;#ASMEND
	s_nop 0
	;;#ASMSTART
	v_dot2_f32_f16 v46, v49, v53, v46
	;;#ASMEND
	s_nop 0
	;;#ASMSTART
	v_dot2_f32_f16 v46, v50, v54, v46
	;;#ASMEND
	s_nop 0
	;;#ASMSTART
	v_dot2_f32_f16 v46, v51, v55, v46
	;;#ASMEND
	ds_read_b128 v[48:51], v32 offset:32
	ds_read_b128 v[52:55], v25 offset:32
	s_waitcnt lgkmcnt(0)
	;;#ASMSTART
	v_dot2_f32_f16 v46, v48, v52, v46
	;;#ASMEND
	s_nop 0
	;;#ASMSTART
	v_dot2_f32_f16 v46, v49, v53, v46
	;;#ASMEND
	s_nop 0
	;;#ASMSTART
	v_dot2_f32_f16 v46, v50, v54, v46
	;;#ASMEND
	s_nop 0
	;;#ASMSTART
	v_dot2_f32_f16 v46, v51, v55, v46
	;;#ASMEND
	ds_read_b128 v[48:51], v32 offset:48
	ds_read_b128 v[52:55], v25 offset:48
	s_waitcnt lgkmcnt(0)
	;;#ASMSTART
	v_dot2_f32_f16 v46, v48, v52, v46
	;;#ASMEND
	s_nop 0
	;;#ASMSTART
	v_dot2_f32_f16 v46, v49, v53, v46
	;;#ASMEND
	s_nop 0
	;;#ASMSTART
	v_dot2_f32_f16 v46, v50, v54, v46
	;;#ASMEND
	s_nop 0
	;;#ASMSTART
	v_dot2_f32_f16 v46, v51, v55, v46
	;;#ASMEND
	ds_read_b128 v[48:51], v32 offset:64
	ds_read_b128 v[52:55], v25 offset:64
	s_waitcnt lgkmcnt(0)
	;;#ASMSTART
	v_dot2_f32_f16 v46, v48, v52, v46
	;;#ASMEND
	s_nop 0
	;;#ASMSTART
	v_dot2_f32_f16 v46, v49, v53, v46
	;;#ASMEND
	s_nop 0
	;;#ASMSTART
	v_dot2_f32_f16 v46, v50, v54, v46
	;;#ASMEND
	s_nop 0
	;;#ASMSTART
	v_dot2_f32_f16 v46, v51, v55, v46
	;;#ASMEND
	ds_read_b128 v[48:51], v32 offset:80
	ds_read_b128 v[52:55], v25 offset:80
	s_waitcnt lgkmcnt(0)
	;;#ASMSTART
	v_dot2_f32_f16 v46, v48, v52, v46
	;;#ASMEND
	s_nop 0
	;;#ASMSTART
	v_dot2_f32_f16 v46, v49, v53, v46
	;;#ASMEND
	s_nop 0
	;;#ASMSTART
	v_dot2_f32_f16 v46, v50, v54, v46
	;;#ASMEND
	s_nop 0
	;;#ASMSTART
	v_dot2_f32_f16 v46, v51, v55, v46
	;;#ASMEND
	ds_read_b128 v[48:51], v32 offset:96
	ds_read_b128 v[52:55], v25 offset:96
	s_waitcnt lgkmcnt(0)
	;;#ASMSTART
	v_dot2_f32_f16 v46, v48, v52, v46
	;;#ASMEND
	s_nop 0
	;;#ASMSTART
	v_dot2_f32_f16 v46, v49, v53, v46
	;;#ASMEND
	s_nop 0
	;;#ASMSTART
	v_dot2_f32_f16 v46, v50, v54, v46
	;;#ASMEND
	s_nop 0
	;;#ASMSTART
	v_dot2_f32_f16 v46, v51, v55, v46
	;;#ASMEND
	ds_read_b128 v[48:51], v32 offset:112
	ds_read_b128 v[52:55], v25 offset:112
	s_waitcnt lgkmcnt(0)
	;;#ASMSTART
	v_dot2_f32_f16 v46, v48, v52, v46
	;;#ASMEND
	s_nop 0
	;;#ASMSTART
	v_dot2_f32_f16 v46, v49, v53, v46
	;;#ASMEND
	s_nop 0
	;; [unrolled: 4-line block ×3, first 2 shown]
	;;#ASMSTART
	v_dot2_f32_f16 v46, v51, v55, v46
	;;#ASMEND
	global_load_ushort v22, v[22:23], off
	; wave barrier
	s_nop 0
	global_load_dwordx4 v[48:51], v[64:65], off
	global_load_dwordx4 v[52:55], v[66:67], off
	;; [unrolled: 1-line block ×4, first 2 shown]
	s_waitcnt vmcnt(4)
	v_cvt_f32_f16_e32 v22, v22
	v_add_f32_e32 v23, v46, v22
	v_add_f32_e32 v22, 0x40051340, v23
	v_max_f32_e32 v22, v76, v22
	ds_bpermute_b32 v46, v77, v22
	s_waitcnt lgkmcnt(0)
	v_max_f32_e32 v46, v46, v46
	v_max_f32_e32 v22, v22, v46
	ds_bpermute_b32 v46, v78, v22
	s_waitcnt lgkmcnt(0)
	v_max_f32_e32 v46, v46, v46
	v_max_f32_e32 v22, v22, v46
	ds_bpermute_b32 v46, v79, v22
	s_waitcnt lgkmcnt(0)
	v_max_f32_e32 v46, v46, v46
	v_max_f32_e32 v22, v22, v46
	ds_bpermute_b32 v46, v80, v22
	s_waitcnt lgkmcnt(0)
	v_max_f32_e32 v46, v46, v46
	v_max_f32_e32 v22, v22, v46
	ds_bpermute_b32 v46, v81, v22
	s_waitcnt lgkmcnt(0)
	v_max_f32_e32 v46, v46, v46
	v_max_f32_e32 v22, v22, v46
	v_sub_f32_e32 v23, v23, v22
	v_sub_f32_e32 v45, v45, v22
	v_mul_f32_e32 v46, 0x3fb8aa3b, v23
	v_mul_f32_e32 v64, 0x3fb8aa3b, v45
	v_fma_f32 v65, v23, s28, -v46
	v_rndne_f32_e32 v66, v46
	v_fma_f32 v67, v45, s28, -v64
	v_rndne_f32_e32 v68, v64
	v_fmac_f32_e32 v65, 0x32a5705f, v23
	v_sub_f32_e32 v46, v46, v66
	v_fmac_f32_e32 v67, 0x32a5705f, v45
	v_sub_f32_e32 v64, v64, v68
	v_add_f32_e32 v46, v46, v65
	v_cvt_i32_f32_e32 v66, v66
	v_add_f32_e32 v64, v64, v67
	v_exp_f32_e32 v46, v46
	v_cvt_i32_f32_e32 v68, v68
	v_exp_f32_e32 v64, v64
	v_cmp_ngt_f32_e64 s[4:5], s29, v23
	v_ldexp_f32 v46, v46, v66
	v_cmp_ngt_f32_e32 vcc, s29, v45
	v_ldexp_f32 v64, v64, v68
	v_cndmask_b32_e64 v46, 0, v46, s[4:5]
	v_cmp_nlt_f32_e64 s[4:5], s31, v23
	v_cndmask_b32_e32 v64, 0, v64, vcc
	v_cmp_nlt_f32_e32 vcc, s31, v45
	v_cndmask_b32_e64 v23, v39, v46, s[4:5]
	v_cvt_f16_f32_e32 v46, v23
	v_cndmask_b32_e32 v45, v39, v64, vcc
	v_cvt_f16_f32_e32 v64, v45
	ds_write_b16 v34, v46
	s_waitcnt vmcnt(3)
	ds_write_b128 v35, v[48:51]
	s_waitcnt vmcnt(2)
	ds_write_b128 v36, v[52:55]
	;; [unrolled: 2-line block ×4, first 2 shown]
	s_waitcnt lgkmcnt(0)
	; wave barrier
	ds_read_b128 v[48:51], v33
	ds_read_b128 v[52:55], v33 offset:16
	ds_read_b128 v[56:59], v33 offset:32
	ds_read_b128 v[60:63], v33 offset:48
	v_fmac_f32_e32 v23, v74, v45
	v_mul_u32_u24_e32 v45, 0x10001, v64
	ds_read2_b32 v[64:65], v27 offset1:32
	ds_read2_b32 v[66:67], v27 offset0:64 offset1:96
	ds_read2_b32 v[68:69], v27 offset0:128 offset1:160
	;; [unrolled: 1-line block ×3, first 2 shown]
	s_waitcnt lgkmcnt(7)
	v_mul_u32_u24_sdwa v46, v48, s33 dst_sel:DWORD dst_unused:UNUSED_PAD src0_sel:WORD_0 src1_sel:DWORD
	s_waitcnt lgkmcnt(3)
	v_pk_mul_f16 v46, v64, v46
	v_mul_u32_u24_sdwa v74, v48, s33 dst_sel:DWORD dst_unused:UNUSED_PAD src0_sel:WORD_1 src1_sel:DWORD
	v_pk_fma_f16 v13, v13, v45, v46
	v_mul_u32_u24_sdwa v76, v49, s33 dst_sel:DWORD dst_unused:UNUSED_PAD src0_sel:WORD_0 src1_sel:DWORD
	v_pk_fma_f16 v13, v65, v74, v13
	v_mul_u32_u24_sdwa v77, v49, s33 dst_sel:DWORD dst_unused:UNUSED_PAD src0_sel:WORD_1 src1_sel:DWORD
	s_waitcnt lgkmcnt(2)
	v_pk_fma_f16 v13, v66, v76, v13
	v_mul_u32_u24_sdwa v78, v50, s33 dst_sel:DWORD dst_unused:UNUSED_PAD src0_sel:WORD_0 src1_sel:DWORD
	ds_read2_b32 v[48:49], v72 offset1:32
	v_pk_fma_f16 v13, v67, v77, v13
	v_mul_u32_u24_sdwa v79, v50, s33 dst_sel:DWORD dst_unused:UNUSED_PAD src0_sel:WORD_1 src1_sel:DWORD
	s_waitcnt lgkmcnt(2)
	v_pk_fma_f16 v13, v68, v78, v13
	v_mul_u32_u24_sdwa v80, v51, s33 dst_sel:DWORD dst_unused:UNUSED_PAD src0_sel:WORD_0 src1_sel:DWORD
	v_mul_u32_u24_sdwa v81, v51, s33 dst_sel:DWORD dst_unused:UNUSED_PAD src0_sel:WORD_1 src1_sel:DWORD
	ds_read2_b32 v[50:51], v72 offset0:64 offset1:96
	v_pk_fma_f16 v13, v69, v79, v13
	v_mul_u32_u24_sdwa v82, v52, s33 dst_sel:DWORD dst_unused:UNUSED_PAD src0_sel:WORD_0 src1_sel:DWORD
	s_waitcnt lgkmcnt(2)
	v_pk_fma_f16 v13, v70, v80, v13
	v_mul_u32_u24_sdwa v83, v52, s33 dst_sel:DWORD dst_unused:UNUSED_PAD src0_sel:WORD_1 src1_sel:DWORD
	v_pk_fma_f16 v13, v71, v81, v13
	v_mul_u32_u24_sdwa v84, v53, s33 dst_sel:DWORD dst_unused:UNUSED_PAD src0_sel:WORD_0 src1_sel:DWORD
	v_mul_u32_u24_sdwa v85, v53, s33 dst_sel:DWORD dst_unused:UNUSED_PAD src0_sel:WORD_1 src1_sel:DWORD
	v_mul_u32_u24_sdwa v86, v54, s33 dst_sel:DWORD dst_unused:UNUSED_PAD src0_sel:WORD_0 src1_sel:DWORD
	v_mul_u32_u24_sdwa v87, v54, s33 dst_sel:DWORD dst_unused:UNUSED_PAD src0_sel:WORD_1 src1_sel:DWORD
	;; [unrolled: 2-line block ×3, first 2 shown]
	ds_read2_b32 v[52:53], v72 offset0:128 offset1:160
	ds_read2_b32 v[54:55], v72 offset0:192 offset1:224
	s_waitcnt lgkmcnt(3)
	v_pk_fma_f16 v13, v48, v82, v13
	v_mul_u32_u24_sdwa v90, v56, s33 dst_sel:DWORD dst_unused:UNUSED_PAD src0_sel:WORD_0 src1_sel:DWORD
	v_pk_fma_f16 v13, v49, v83, v13
	v_mul_u32_u24_sdwa v91, v56, s33 dst_sel:DWORD dst_unused:UNUSED_PAD src0_sel:WORD_1 src1_sel:DWORD
	s_waitcnt lgkmcnt(2)
	v_pk_fma_f16 v13, v50, v84, v13
	v_mul_u32_u24_sdwa v92, v57, s33 dst_sel:DWORD dst_unused:UNUSED_PAD src0_sel:WORD_0 src1_sel:DWORD
	v_mul_u32_u24_sdwa v93, v57, s33 dst_sel:DWORD dst_unused:UNUSED_PAD src0_sel:WORD_1 src1_sel:DWORD
	ds_read2_b32 v[56:57], v73 offset1:32
	v_pk_fma_f16 v13, v51, v85, v13
	v_mul_u32_u24_sdwa v94, v58, s33 dst_sel:DWORD dst_unused:UNUSED_PAD src0_sel:WORD_0 src1_sel:DWORD
	s_waitcnt lgkmcnt(2)
	v_pk_fma_f16 v13, v52, v86, v13
	v_mul_u32_u24_sdwa v95, v58, s33 dst_sel:DWORD dst_unused:UNUSED_PAD src0_sel:WORD_1 src1_sel:DWORD
	v_mul_u32_u24_sdwa v96, v59, s33 dst_sel:DWORD dst_unused:UNUSED_PAD src0_sel:WORD_0 src1_sel:DWORD
	v_mul_u32_u24_sdwa v97, v59, s33 dst_sel:DWORD dst_unused:UNUSED_PAD src0_sel:WORD_1 src1_sel:DWORD
	ds_read2_b32 v[58:59], v73 offset0:64 offset1:96
	v_pk_fma_f16 v13, v53, v87, v13
	v_mul_u32_u24_sdwa v98, v60, s33 dst_sel:DWORD dst_unused:UNUSED_PAD src0_sel:WORD_0 src1_sel:DWORD
	s_waitcnt lgkmcnt(2)
	v_pk_fma_f16 v13, v54, v88, v13
	v_mul_u32_u24_sdwa v99, v60, s33 dst_sel:DWORD dst_unused:UNUSED_PAD src0_sel:WORD_1 src1_sel:DWORD
	v_mul_u32_u24_sdwa v100, v61, s33 dst_sel:DWORD dst_unused:UNUSED_PAD src0_sel:WORD_0 src1_sel:DWORD
	v_mul_u32_u24_sdwa v101, v61, s33 dst_sel:DWORD dst_unused:UNUSED_PAD src0_sel:WORD_1 src1_sel:DWORD
	ds_read2_b32 v[60:61], v73 offset0:128 offset1:160
	v_pk_fma_f16 v13, v55, v89, v13
	v_mul_u32_u24_sdwa v102, v62, s33 dst_sel:DWORD dst_unused:UNUSED_PAD src0_sel:WORD_0 src1_sel:DWORD
	s_waitcnt lgkmcnt(2)
	v_pk_fma_f16 v13, v56, v90, v13
	v_mul_u32_u24_sdwa v103, v62, s33 dst_sel:DWORD dst_unused:UNUSED_PAD src0_sel:WORD_1 src1_sel:DWORD
	v_pk_fma_f16 v13, v57, v91, v13
	v_mul_u32_u24_sdwa v104, v63, s33 dst_sel:DWORD dst_unused:UNUSED_PAD src0_sel:WORD_0 src1_sel:DWORD
	v_mul_u32_u24_sdwa v105, v63, s33 dst_sel:DWORD dst_unused:UNUSED_PAD src0_sel:WORD_1 src1_sel:DWORD
	ds_read2_b32 v[62:63], v73 offset0:192 offset1:224
	ds_read2_b32 v[64:65], v75 offset1:32
	s_waitcnt lgkmcnt(3)
	v_pk_fma_f16 v13, v58, v92, v13
	ds_read2_b32 v[66:67], v75 offset0:64 offset1:96
	ds_read2_b32 v[68:69], v75 offset0:128 offset1:160
	v_pk_fma_f16 v13, v59, v93, v13
	ds_read2_b32 v[70:71], v75 offset0:192 offset1:224
	s_waitcnt lgkmcnt(5)
	v_pk_fma_f16 v13, v60, v94, v13
	s_waitcnt lgkmcnt(0)
	v_pk_fma_f16 v13, v61, v95, v13
	; wave barrier
	s_nop 0
	v_pk_fma_f16 v13, v62, v96, v13
	s_load_dword s4, s[6:7], 0x4
	v_pk_fma_f16 v13, v63, v97, v13
	s_waitcnt lgkmcnt(0)
	s_lshl_b32 s4, s4, 5
	v_pk_fma_f16 v13, v64, v98, v13
	s_add_i32 s2, s4, s2
	v_pk_fma_f16 v13, v65, v99, v13
	s_cmp_ge_i32 s2, s24
	v_pk_fma_f16 v13, v66, v100, v13
	s_nop 0
	v_pk_fma_f16 v13, v67, v101, v13
	s_nop 0
	v_pk_fma_f16 v13, v68, v102, v13
	s_nop 0
	v_pk_fma_f16 v13, v69, v103, v13
	s_nop 0
	v_pk_fma_f16 v13, v70, v104, v13
	s_nop 0
	v_pk_fma_f16 v13, v71, v105, v13
	s_cbranch_scc0 .LBB49_9
.LBB49_10:
	v_cmp_lt_i32_e32 vcc, v44, v47
	s_cmp_lg_u64 s[12:13], 0
	s_cselect_b64 s[4:5], -1, 0
	v_cndmask_b32_e32 v0, v26, v44, vcc
	v_lshlrev_b32_e32 v0, 2, v0
	ds_bpermute_b32 v0, v0, v23
	v_cmp_lt_i32_e32 vcc, v40, v47
	s_cmp_eq_u32 s3, 0
	s_cselect_b64 s[6:7], -1, 0
	v_cndmask_b32_e32 v1, v26, v40, vcc
	v_lshlrev_b32_e32 v1, 2, v1
	s_waitcnt lgkmcnt(0)
	v_add_f32_e32 v0, v23, v0
	ds_bpermute_b32 v1, v1, v0
	v_cmp_lt_i32_e32 vcc, v41, v47
	s_and_b64 s[4:5], s[6:7], s[4:5]
	v_lshlrev_b32_e32 v6, 1, v2
	v_cndmask_b32_e32 v4, v26, v41, vcc
	v_lshlrev_b32_e32 v4, 2, v4
	s_waitcnt lgkmcnt(0)
	v_add_f32_e32 v0, v0, v1
	ds_bpermute_b32 v1, v4, v0
	v_cmp_lt_i32_e32 vcc, v42, v47
	s_waitcnt lgkmcnt(0)
	v_add_f32_e32 v1, v0, v1
	v_cndmask_b32_e32 v4, v26, v42, vcc
	v_lshlrev_b32_e32 v4, 2, v4
	ds_bpermute_b32 v4, v4, v1
	v_cmp_lt_i32_e32 vcc, v43, v47
	v_add_u32_e32 v0, s25, v24
	s_waitcnt lgkmcnt(0)
	v_add_f32_e32 v1, v1, v4
	v_cndmask_b32_e32 v5, v26, v43, vcc
	v_lshlrev_b32_e32 v5, 2, v5
	ds_bpermute_b32 v4, v5, v1
	s_and_b64 vcc, exec, s[4:5]
	s_waitcnt lgkmcnt(0)
	v_add_f32_e32 v23, v1, v4
	s_cbranch_vccz .LBB49_12
; %bb.11:
	v_ashrrev_i32_e32 v1, 31, v0
	v_lshl_add_u64 v[4:5], v[0:1], 2, s[12:13]
	global_load_dword v1, v[4:5], off
	v_max_f32_e32 v4, v22, v22
	s_mov_b32 s2, 0x3fb8aa3b
	s_mov_b32 s4, 0xc2ce8ed0
	s_waitcnt vmcnt(0)
	v_max_f32_e32 v5, v1, v1
	v_max_f32_e32 v4, v4, v5
	v_sub_f32_e32 v5, v22, v4
	v_sub_f32_e32 v1, v1, v4
	v_mul_f32_e32 v7, 0x3fb8aa3b, v5
	v_mul_f32_e32 v8, 0x3fb8aa3b, v1
	v_fma_f32 v9, v5, s2, -v7
	v_rndne_f32_e32 v10, v7
	v_fma_f32 v11, v1, s2, -v8
	v_rndne_f32_e32 v12, v8
	v_fmac_f32_e32 v9, 0x32a5705f, v5
	v_sub_f32_e32 v7, v7, v10
	v_fmac_f32_e32 v11, 0x32a5705f, v1
	v_sub_f32_e32 v8, v8, v12
	v_add_f32_e32 v7, v7, v9
	v_cvt_i32_f32_e32 v10, v10
	v_add_f32_e32 v8, v8, v11
	v_exp_f32_e32 v7, v7
	v_cvt_i32_f32_e32 v12, v12
	v_exp_f32_e32 v8, v8
	v_cmp_ngt_f32_e32 vcc, s4, v5
	v_ldexp_f32 v7, v7, v10
	s_mov_b32 s2, 0x42b17218
	v_ldexp_f32 v8, v8, v12
	v_cndmask_b32_e32 v7, 0, v7, vcc
	v_cmp_ngt_f32_e32 vcc, s4, v1
	v_mov_b32_e32 v9, 0x7f800000
	s_nop 0
	v_cndmask_b32_e32 v8, 0, v8, vcc
	v_cmp_nlt_f32_e32 vcc, s2, v5
	s_nop 1
	v_cndmask_b32_e32 v7, v9, v7, vcc
	v_cvt_f16_f32_e32 v10, v7
	v_cmp_nlt_f32_e32 vcc, s2, v1
	v_mul_u32_u24_e32 v1, 0x10001, v10
	s_nop 0
	v_cndmask_b32_e32 v5, v9, v8, vcc
	v_fmac_f32_e32 v5, v23, v7
	v_pk_mul_f16 v13, v13, v1
	v_mov_b64_e32 v[22:23], v[4:5]
	s_branch .LBB49_13
.LBB49_12:
	v_mov_b32_e32 v5, v23
.LBB49_13:
	s_load_dword s2, s[0:1], 0xd4
	v_div_scale_f32 v1, s[0:1], v5, v5, 1.0
	v_rcp_f32_e32 v4, v1
	s_mul_i32 s30, s30, s22
	s_waitcnt lgkmcnt(0)
	s_cmp_lg_u32 s2, 1
	s_cselect_b64 s[0:1], -1, 0
	v_fma_f32 v7, -v1, v4, 1.0
	v_fmac_f32_e32 v4, v7, v4
	v_div_scale_f32 v7, vcc, 1.0, v5, 1.0
	v_mul_f32_e32 v10, v7, v4
	v_fma_f32 v11, -v1, v10, v7
	v_fmac_f32_e32 v10, v11, v4
	v_fma_f32 v1, -v1, v10, v7
	v_div_fmas_f32 v1, v1, v4, v10
	v_div_fixup_f32 v1, v1, v5, 1.0
	v_cndmask_b32_e64 v4, v1, 1.0, s[0:1]
	v_add_u32_e32 v1, s30, v3
	v_mad_u64_u32 v[0:1], s[4:5], v1, s23, v[0:1]
	v_cvt_f32_f16_sdwa v11, v13 dst_sel:DWORD dst_unused:UNUSED_PAD src0_sel:WORD_1
	v_cvt_f32_f16_e32 v10, v13
	v_mul_lo_u32 v0, s2, v0
	v_add_u32_e32 v0, s3, v0
	v_mov_b32_e32 v8, s16
	v_mov_b32_e32 v9, s17
	v_lshl_add_u32 v6, v0, 6, v6
	v_mov_b32_e32 v7, 0
	v_cmp_eq_u32_e32 vcc, 0, v2
	v_lshl_add_u64 v[6:7], v[6:7], 2, v[8:9]
	s_and_b64 s[0:1], vcc, s[0:1]
	v_pk_mul_f32 v[2:3], v[4:5], v[10:11] op_sel_hi:[0,1]
	global_store_dwordx2 v[6:7], v[2:3], off
	s_and_saveexec_b64 s[2:3], s[0:1]
	s_cbranch_execz .LBB49_15
; %bb.14:
	v_mov_b32_e32 v2, s18
	v_mov_b32_e32 v3, s19
	v_ashrrev_i32_e32 v1, 31, v0
	v_lshl_add_u64 v[0:1], v[0:1], 3, v[2:3]
	global_store_dwordx2 v[0:1], v[22:23], off
.LBB49_15:
	s_endpgm
	.section	.rodata,"a",@progbits
	.p2align	6, 0x0
	.amdhsa_kernel _ZL15flash_attn_tileILi64ELi64ELi1ELi2ELb0EEvPKcS1_S1_S1_S1_PKiPfP15HIP_vector_typeIfLj2EEffffjfiS5_IjLj3EEiiiiiiiiiiiliiliiiiil
		.amdhsa_group_segment_fixed_size 4992
		.amdhsa_private_segment_fixed_size 0
		.amdhsa_kernarg_size 464
		.amdhsa_user_sgpr_count 2
		.amdhsa_user_sgpr_dispatch_ptr 0
		.amdhsa_user_sgpr_queue_ptr 0
		.amdhsa_user_sgpr_kernarg_segment_ptr 1
		.amdhsa_user_sgpr_dispatch_id 0
		.amdhsa_user_sgpr_kernarg_preload_length 0
		.amdhsa_user_sgpr_kernarg_preload_offset 0
		.amdhsa_user_sgpr_private_segment_size 0
		.amdhsa_uses_dynamic_stack 0
		.amdhsa_enable_private_segment 0
		.amdhsa_system_sgpr_workgroup_id_x 1
		.amdhsa_system_sgpr_workgroup_id_y 1
		.amdhsa_system_sgpr_workgroup_id_z 1
		.amdhsa_system_sgpr_workgroup_info 0
		.amdhsa_system_vgpr_workitem_id 1
		.amdhsa_next_free_vgpr 106
		.amdhsa_next_free_sgpr 40
		.amdhsa_accum_offset 108
		.amdhsa_reserve_vcc 1
		.amdhsa_float_round_mode_32 0
		.amdhsa_float_round_mode_16_64 0
		.amdhsa_float_denorm_mode_32 3
		.amdhsa_float_denorm_mode_16_64 3
		.amdhsa_dx10_clamp 1
		.amdhsa_ieee_mode 1
		.amdhsa_fp16_overflow 0
		.amdhsa_tg_split 0
		.amdhsa_exception_fp_ieee_invalid_op 0
		.amdhsa_exception_fp_denorm_src 0
		.amdhsa_exception_fp_ieee_div_zero 0
		.amdhsa_exception_fp_ieee_overflow 0
		.amdhsa_exception_fp_ieee_underflow 0
		.amdhsa_exception_fp_ieee_inexact 0
		.amdhsa_exception_int_div_zero 0
	.end_amdhsa_kernel
	.section	.text._ZL15flash_attn_tileILi64ELi64ELi1ELi2ELb0EEvPKcS1_S1_S1_S1_PKiPfP15HIP_vector_typeIfLj2EEffffjfiS5_IjLj3EEiiiiiiiiiiiliiliiiiil,"axG",@progbits,_ZL15flash_attn_tileILi64ELi64ELi1ELi2ELb0EEvPKcS1_S1_S1_S1_PKiPfP15HIP_vector_typeIfLj2EEffffjfiS5_IjLj3EEiiiiiiiiiiiliiliiiiil,comdat
.Lfunc_end49:
	.size	_ZL15flash_attn_tileILi64ELi64ELi1ELi2ELb0EEvPKcS1_S1_S1_S1_PKiPfP15HIP_vector_typeIfLj2EEffffjfiS5_IjLj3EEiiiiiiiiiiiliiliiiiil, .Lfunc_end49-_ZL15flash_attn_tileILi64ELi64ELi1ELi2ELb0EEvPKcS1_S1_S1_S1_PKiPfP15HIP_vector_typeIfLj2EEffffjfiS5_IjLj3EEiiiiiiiiiiiliiliiiiil
                                        ; -- End function
	.set _ZL15flash_attn_tileILi64ELi64ELi1ELi2ELb0EEvPKcS1_S1_S1_S1_PKiPfP15HIP_vector_typeIfLj2EEffffjfiS5_IjLj3EEiiiiiiiiiiiliiliiiiil.num_vgpr, 106
	.set _ZL15flash_attn_tileILi64ELi64ELi1ELi2ELb0EEvPKcS1_S1_S1_S1_PKiPfP15HIP_vector_typeIfLj2EEffffjfiS5_IjLj3EEiiiiiiiiiiiliiliiiiil.num_agpr, 0
	.set _ZL15flash_attn_tileILi64ELi64ELi1ELi2ELb0EEvPKcS1_S1_S1_S1_PKiPfP15HIP_vector_typeIfLj2EEffffjfiS5_IjLj3EEiiiiiiiiiiiliiliiiiil.numbered_sgpr, 40
	.set _ZL15flash_attn_tileILi64ELi64ELi1ELi2ELb0EEvPKcS1_S1_S1_S1_PKiPfP15HIP_vector_typeIfLj2EEffffjfiS5_IjLj3EEiiiiiiiiiiiliiliiiiil.num_named_barrier, 0
	.set _ZL15flash_attn_tileILi64ELi64ELi1ELi2ELb0EEvPKcS1_S1_S1_S1_PKiPfP15HIP_vector_typeIfLj2EEffffjfiS5_IjLj3EEiiiiiiiiiiiliiliiiiil.private_seg_size, 0
	.set _ZL15flash_attn_tileILi64ELi64ELi1ELi2ELb0EEvPKcS1_S1_S1_S1_PKiPfP15HIP_vector_typeIfLj2EEffffjfiS5_IjLj3EEiiiiiiiiiiiliiliiiiil.uses_vcc, 1
	.set _ZL15flash_attn_tileILi64ELi64ELi1ELi2ELb0EEvPKcS1_S1_S1_S1_PKiPfP15HIP_vector_typeIfLj2EEffffjfiS5_IjLj3EEiiiiiiiiiiiliiliiiiil.uses_flat_scratch, 0
	.set _ZL15flash_attn_tileILi64ELi64ELi1ELi2ELb0EEvPKcS1_S1_S1_S1_PKiPfP15HIP_vector_typeIfLj2EEffffjfiS5_IjLj3EEiiiiiiiiiiiliiliiiiil.has_dyn_sized_stack, 0
	.set _ZL15flash_attn_tileILi64ELi64ELi1ELi2ELb0EEvPKcS1_S1_S1_S1_PKiPfP15HIP_vector_typeIfLj2EEffffjfiS5_IjLj3EEiiiiiiiiiiiliiliiiiil.has_recursion, 0
	.set _ZL15flash_attn_tileILi64ELi64ELi1ELi2ELb0EEvPKcS1_S1_S1_S1_PKiPfP15HIP_vector_typeIfLj2EEffffjfiS5_IjLj3EEiiiiiiiiiiiliiliiiiil.has_indirect_call, 0
	.section	.AMDGPU.csdata,"",@progbits
; Kernel info:
; codeLenInByte = 4444
; TotalNumSgprs: 46
; NumVgprs: 106
; NumAgprs: 0
; TotalNumVgprs: 106
; ScratchSize: 0
; MemoryBound: 0
; FloatMode: 240
; IeeeMode: 1
; LDSByteSize: 4992 bytes/workgroup (compile time only)
; SGPRBlocks: 5
; VGPRBlocks: 13
; NumSGPRsForWavesPerEU: 46
; NumVGPRsForWavesPerEU: 106
; AccumOffset: 108
; Occupancy: 4
; WaveLimiterHint : 1
; COMPUTE_PGM_RSRC2:SCRATCH_EN: 0
; COMPUTE_PGM_RSRC2:USER_SGPR: 2
; COMPUTE_PGM_RSRC2:TRAP_HANDLER: 0
; COMPUTE_PGM_RSRC2:TGID_X_EN: 1
; COMPUTE_PGM_RSRC2:TGID_Y_EN: 1
; COMPUTE_PGM_RSRC2:TGID_Z_EN: 1
; COMPUTE_PGM_RSRC2:TIDIG_COMP_CNT: 1
; COMPUTE_PGM_RSRC3_GFX90A:ACCUM_OFFSET: 26
; COMPUTE_PGM_RSRC3_GFX90A:TG_SPLIT: 0
	.section	.text._ZL33flash_attn_stream_k_fixup_uniformILi64ELi1ELi2EEvPfPK15HIP_vector_typeIfLj2EEiiiiiiS1_IjLj3EES5_S5_,"axG",@progbits,_ZL33flash_attn_stream_k_fixup_uniformILi64ELi1ELi2EEvPfPK15HIP_vector_typeIfLj2EEiiiiiiS1_IjLj3EES5_S5_,comdat
	.globl	_ZL33flash_attn_stream_k_fixup_uniformILi64ELi1ELi2EEvPfPK15HIP_vector_typeIfLj2EEiiiiiiS1_IjLj3EES5_S5_ ; -- Begin function _ZL33flash_attn_stream_k_fixup_uniformILi64ELi1ELi2EEvPfPK15HIP_vector_typeIfLj2EEiiiiiiS1_IjLj3EES5_S5_
	.p2align	8
	.type	_ZL33flash_attn_stream_k_fixup_uniformILi64ELi1ELi2EEvPfPK15HIP_vector_typeIfLj2EEiiiiiiS1_IjLj3EES5_S5_,@function
_ZL33flash_attn_stream_k_fixup_uniformILi64ELi1ELi2EEvPfPK15HIP_vector_typeIfLj2EEiiiiiiS1_IjLj3EES5_S5_: ; @_ZL33flash_attn_stream_k_fixup_uniformILi64ELi1ELi2EEvPfPK15HIP_vector_typeIfLj2EEiiiiiiS1_IjLj3EES5_S5_
; %bb.0:
	s_load_dwordx8 s[8:15], s[0:1], 0x1c
	s_load_dwordx2 s[6:7], s[0:1], 0x10
	s_load_dwordx4 s[16:19], s[0:1], 0x3c
	s_waitcnt lgkmcnt(0)
	s_mul_hi_u32 s5, s11, s2
	s_add_i32 s5, s2, s5
	s_lshr_b32 s5, s5, s12
	s_mul_i32 s11, s5, s13
	s_sub_i32 s12, s2, s11
	s_mul_hi_u32 s11, s12, s14
	s_add_i32 s11, s12, s11
	s_lshr_b32 s11, s11, s15
	s_mul_i32 s13, s11, s16
	s_sub_i32 s12, s12, s13
	;; [unrolled: 5-line block ×3, first 2 shown]
	s_lshl_b32 s16, s13, 1
	s_add_i32 s17, s17, s3
	s_cmp_lt_i32 s17, s6
	s_cselect_b64 s[12:13], -1, 0
	s_add_i32 s16, s16, s4
	s_cmp_lt_i32 s16, s9
	s_cselect_b64 s[14:15], -1, 0
	s_and_b64 s[12:13], s[12:13], s[14:15]
	s_andn2_b64 vcc, exec, s[12:13]
	s_cbranch_vccnz .LBB50_6
; %bb.1:
	s_load_dwordx4 s[12:15], s[0:1], 0x0
	s_mul_i32 s5, s5, s6
	s_mul_i32 s11, s11, s9
	s_add_i32 s0, s17, s5
	s_mul_i32 s0, s0, s7
	s_add_i32 s1, s16, s11
	s_add_i32 s1, s1, s0
	v_lshl_or_b32 v4, s1, 6, v0
	s_waitcnt lgkmcnt(0)
	v_mov_b32_e32 v2, s12
	v_mov_b32_e32 v3, s13
	v_ashrrev_i32_e32 v5, 31, v4
	v_lshl_add_u64 v[2:3], v[4:5], 2, v[2:3]
	global_load_dword v5, v[2:3], off
	s_mul_i32 s9, s10, s2
	s_add_i32 s5, s9, s10
	s_add_i32 s0, s3, s5
	s_lshl_b32 s0, s0, 1
	s_add_i32 s0, s0, s4
	s_add_i32 s0, s0, -2
	s_ashr_i32 s1, s0, 31
	s_lshl_b64 s[0:1], s[0:1], 3
	s_add_u32 s0, s14, s0
	s_addc_u32 s1, s15, s1
	s_load_dword s12, s[0:1], 0x4
	s_add_i32 s6, s5, -2
	s_cmp_lt_i32 s6, s9
	s_cbranch_scc1 .LBB50_4
; %bb.2:
	s_lshl_b32 s6, s8, 3
	s_ashr_i32 s7, s6, 31
	s_lshl_b64 s[6:7], s[6:7], 2
	s_add_u32 s6, s14, s6
	s_addc_u32 s7, s15, s7
	s_load_dword s0, s[0:1], 0x0
	s_add_i32 s2, s2, 1
	s_lshl_b32 s1, s4, 6
	s_add_i32 s8, s3, s8
	s_mul_i32 s2, s10, s2
	s_lshl_b32 s3, s3, 7
	s_add_i32 s8, s8, s5
	s_lshl_b32 s2, s2, 7
	s_add_i32 s1, s1, s3
	s_add_i32 s11, s5, -1
	s_lshl_b32 s5, s8, 1
	s_add_i32 s1, s1, s2
	s_add_i32 s4, s4, s5
	v_or_b32_e32 v0, s1, v0
	s_add_i32 s4, s4, -4
	v_add_u32_e32 v0, 0xffffff00, v0
	s_waitcnt lgkmcnt(0)
	v_mov_b32_e32 v7, s0
	v_mov_b32_e32 v4, s12
	s_mov_b32 s2, 0x3fb8aa3b
	s_mov_b32 s3, 0xc2ce8ed0
	;; [unrolled: 1-line block ×3, first 2 shown]
	v_mov_b32_e32 v6, 0x7f800000
	s_mov_b32 s10, 0xc1a00000
.LBB50_3:                               ; =>This Inner Loop Header: Depth=1
	v_ashrrev_i32_e32 v1, 31, v0
	v_lshl_add_u64 v[8:9], v[0:1], 2, s[6:7]
	global_load_dword v9, v[8:9], off
	s_ashr_i32 s5, s4, 31
	s_lshl_b64 s[0:1], s[4:5], 3
	s_add_u32 s0, s14, s0
	s_addc_u32 s1, s15, s1
	s_load_dwordx2 s[0:1], s[0:1], 0x0
	v_max_f32_e32 v1, v7, v7
	s_add_i32 s11, s11, -1
	s_add_i32 s4, s4, -2
	v_add_u32_e32 v0, 0xffffff80, v0
	s_waitcnt lgkmcnt(0)
	v_max_f32_e64 v10, s0, s0
	v_max_f32_e32 v1, v1, v10
	v_sub_f32_e32 v11, s0, v1
	v_sub_f32_e32 v10, v7, v1
	v_mul_f32_e32 v12, 0x3fb8aa3b, v11
	v_mov_b32_e32 v7, v1
	v_mul_f32_e32 v1, 0x3fb8aa3b, v10
	v_fma_f32 v15, v11, s2, -v12
	v_rndne_f32_e32 v16, v12
	v_fma_f32 v13, v10, s2, -v1
	v_rndne_f32_e32 v14, v1
	v_fmac_f32_e32 v15, 0x32a5705f, v11
	v_sub_f32_e32 v12, v12, v16
	v_fmac_f32_e32 v13, 0x32a5705f, v10
	v_sub_f32_e32 v1, v1, v14
	v_add_f32_e32 v12, v12, v15
	v_cvt_i32_f32_e32 v16, v16
	v_add_f32_e32 v1, v1, v13
	v_exp_f32_e32 v12, v12
	v_cvt_i32_f32_e32 v14, v14
	v_exp_f32_e32 v1, v1
	v_cmp_ngt_f32_e32 vcc, s3, v11
	v_ldexp_f32 v12, v12, v16
	v_mov_b32_e32 v8, s1
	v_ldexp_f32 v1, v1, v14
	v_cmp_ngt_f32_e64 s[0:1], s3, v10
	v_cndmask_b32_e32 v12, 0, v12, vcc
	v_cmp_nlt_f32_e32 vcc, s8, v11
	v_cndmask_b32_e64 v1, 0, v1, s[0:1]
	v_cmp_nlt_f32_e64 s[0:1], s8, v10
	v_cndmask_b32_e32 v12, v6, v12, vcc
	v_cmp_le_f32_e32 vcc, s10, v11
	v_cndmask_b32_e64 v1, v6, v1, s[0:1]
	v_cmp_le_f32_e64 s[0:1], s10, v10
	v_cndmask_b32_e32 v12, 0, v12, vcc
	s_cmp_le_i32 s11, s9
	v_cndmask_b32_e64 v10, 0, v1, s[0:1]
	s_waitcnt vmcnt(0)
	v_pk_mul_f32 v[8:9], v[8:9], v[12:13] op_sel_hi:[1,0]
	s_nop 0
	v_pk_fma_f32 v[4:5], v[4:5], v[10:11], v[8:9] op_sel_hi:[1,0,1]
	s_cbranch_scc0 .LBB50_3
	s_branch .LBB50_5
.LBB50_4:
	s_waitcnt lgkmcnt(0)
	v_mov_b32_e32 v4, s12
.LBB50_5:
	s_waitcnt vmcnt(0)
	v_div_scale_f32 v0, s[0:1], v4, v4, v5
	v_rcp_f32_e32 v1, v0
	v_div_scale_f32 v6, vcc, v5, v4, v5
	v_fma_f32 v7, -v0, v1, 1.0
	v_fmac_f32_e32 v1, v7, v1
	v_mul_f32_e32 v7, v6, v1
	v_fma_f32 v8, -v0, v7, v6
	v_fmac_f32_e32 v7, v8, v1
	v_fma_f32 v0, -v0, v7, v6
	v_div_fmas_f32 v0, v0, v1, v7
	v_div_fixup_f32 v0, v0, v4, v5
	global_store_dword v[2:3], v0, off
.LBB50_6:
	s_endpgm
	.section	.rodata,"a",@progbits
	.p2align	6, 0x0
	.amdhsa_kernel _ZL33flash_attn_stream_k_fixup_uniformILi64ELi1ELi2EEvPfPK15HIP_vector_typeIfLj2EEiiiiiiS1_IjLj3EES5_S5_
		.amdhsa_group_segment_fixed_size 0
		.amdhsa_private_segment_fixed_size 0
		.amdhsa_kernarg_size 76
		.amdhsa_user_sgpr_count 2
		.amdhsa_user_sgpr_dispatch_ptr 0
		.amdhsa_user_sgpr_queue_ptr 0
		.amdhsa_user_sgpr_kernarg_segment_ptr 1
		.amdhsa_user_sgpr_dispatch_id 0
		.amdhsa_user_sgpr_kernarg_preload_length 0
		.amdhsa_user_sgpr_kernarg_preload_offset 0
		.amdhsa_user_sgpr_private_segment_size 0
		.amdhsa_uses_dynamic_stack 0
		.amdhsa_enable_private_segment 0
		.amdhsa_system_sgpr_workgroup_id_x 1
		.amdhsa_system_sgpr_workgroup_id_y 1
		.amdhsa_system_sgpr_workgroup_id_z 1
		.amdhsa_system_sgpr_workgroup_info 0
		.amdhsa_system_vgpr_workitem_id 0
		.amdhsa_next_free_vgpr 17
		.amdhsa_next_free_sgpr 20
		.amdhsa_accum_offset 20
		.amdhsa_reserve_vcc 1
		.amdhsa_float_round_mode_32 0
		.amdhsa_float_round_mode_16_64 0
		.amdhsa_float_denorm_mode_32 3
		.amdhsa_float_denorm_mode_16_64 3
		.amdhsa_dx10_clamp 1
		.amdhsa_ieee_mode 1
		.amdhsa_fp16_overflow 0
		.amdhsa_tg_split 0
		.amdhsa_exception_fp_ieee_invalid_op 0
		.amdhsa_exception_fp_denorm_src 0
		.amdhsa_exception_fp_ieee_div_zero 0
		.amdhsa_exception_fp_ieee_overflow 0
		.amdhsa_exception_fp_ieee_underflow 0
		.amdhsa_exception_fp_ieee_inexact 0
		.amdhsa_exception_int_div_zero 0
	.end_amdhsa_kernel
	.section	.text._ZL33flash_attn_stream_k_fixup_uniformILi64ELi1ELi2EEvPfPK15HIP_vector_typeIfLj2EEiiiiiiS1_IjLj3EES5_S5_,"axG",@progbits,_ZL33flash_attn_stream_k_fixup_uniformILi64ELi1ELi2EEvPfPK15HIP_vector_typeIfLj2EEiiiiiiS1_IjLj3EES5_S5_,comdat
.Lfunc_end50:
	.size	_ZL33flash_attn_stream_k_fixup_uniformILi64ELi1ELi2EEvPfPK15HIP_vector_typeIfLj2EEiiiiiiS1_IjLj3EES5_S5_, .Lfunc_end50-_ZL33flash_attn_stream_k_fixup_uniformILi64ELi1ELi2EEvPfPK15HIP_vector_typeIfLj2EEiiiiiiS1_IjLj3EES5_S5_
                                        ; -- End function
	.set _ZL33flash_attn_stream_k_fixup_uniformILi64ELi1ELi2EEvPfPK15HIP_vector_typeIfLj2EEiiiiiiS1_IjLj3EES5_S5_.num_vgpr, 17
	.set _ZL33flash_attn_stream_k_fixup_uniformILi64ELi1ELi2EEvPfPK15HIP_vector_typeIfLj2EEiiiiiiS1_IjLj3EES5_S5_.num_agpr, 0
	.set _ZL33flash_attn_stream_k_fixup_uniformILi64ELi1ELi2EEvPfPK15HIP_vector_typeIfLj2EEiiiiiiS1_IjLj3EES5_S5_.numbered_sgpr, 20
	.set _ZL33flash_attn_stream_k_fixup_uniformILi64ELi1ELi2EEvPfPK15HIP_vector_typeIfLj2EEiiiiiiS1_IjLj3EES5_S5_.num_named_barrier, 0
	.set _ZL33flash_attn_stream_k_fixup_uniformILi64ELi1ELi2EEvPfPK15HIP_vector_typeIfLj2EEiiiiiiS1_IjLj3EES5_S5_.private_seg_size, 0
	.set _ZL33flash_attn_stream_k_fixup_uniformILi64ELi1ELi2EEvPfPK15HIP_vector_typeIfLj2EEiiiiiiS1_IjLj3EES5_S5_.uses_vcc, 1
	.set _ZL33flash_attn_stream_k_fixup_uniformILi64ELi1ELi2EEvPfPK15HIP_vector_typeIfLj2EEiiiiiiS1_IjLj3EES5_S5_.uses_flat_scratch, 0
	.set _ZL33flash_attn_stream_k_fixup_uniformILi64ELi1ELi2EEvPfPK15HIP_vector_typeIfLj2EEiiiiiiS1_IjLj3EES5_S5_.has_dyn_sized_stack, 0
	.set _ZL33flash_attn_stream_k_fixup_uniformILi64ELi1ELi2EEvPfPK15HIP_vector_typeIfLj2EEiiiiiiS1_IjLj3EES5_S5_.has_recursion, 0
	.set _ZL33flash_attn_stream_k_fixup_uniformILi64ELi1ELi2EEvPfPK15HIP_vector_typeIfLj2EEiiiiiiS1_IjLj3EES5_S5_.has_indirect_call, 0
	.section	.AMDGPU.csdata,"",@progbits
; Kernel info:
; codeLenInByte = 808
; TotalNumSgprs: 26
; NumVgprs: 17
; NumAgprs: 0
; TotalNumVgprs: 17
; ScratchSize: 0
; MemoryBound: 0
; FloatMode: 240
; IeeeMode: 1
; LDSByteSize: 0 bytes/workgroup (compile time only)
; SGPRBlocks: 3
; VGPRBlocks: 2
; NumSGPRsForWavesPerEU: 26
; NumVGPRsForWavesPerEU: 17
; AccumOffset: 20
; Occupancy: 8
; WaveLimiterHint : 0
; COMPUTE_PGM_RSRC2:SCRATCH_EN: 0
; COMPUTE_PGM_RSRC2:USER_SGPR: 2
; COMPUTE_PGM_RSRC2:TRAP_HANDLER: 0
; COMPUTE_PGM_RSRC2:TGID_X_EN: 1
; COMPUTE_PGM_RSRC2:TGID_Y_EN: 1
; COMPUTE_PGM_RSRC2:TGID_Z_EN: 1
; COMPUTE_PGM_RSRC2:TIDIG_COMP_CNT: 0
; COMPUTE_PGM_RSRC3_GFX90A:ACCUM_OFFSET: 4
; COMPUTE_PGM_RSRC3_GFX90A:TG_SPLIT: 0
	.section	.text._ZL33flash_attn_stream_k_fixup_generalILi64ELi1ELi2EEvPfPK15HIP_vector_typeIfLj2EEiiiiS1_IjLj3EES5_S5_S5_,"axG",@progbits,_ZL33flash_attn_stream_k_fixup_generalILi64ELi1ELi2EEvPfPK15HIP_vector_typeIfLj2EEiiiiS1_IjLj3EES5_S5_S5_,comdat
	.globl	_ZL33flash_attn_stream_k_fixup_generalILi64ELi1ELi2EEvPfPK15HIP_vector_typeIfLj2EEiiiiS1_IjLj3EES5_S5_S5_ ; -- Begin function _ZL33flash_attn_stream_k_fixup_generalILi64ELi1ELi2EEvPfPK15HIP_vector_typeIfLj2EEiiiiS1_IjLj3EES5_S5_S5_
	.p2align	8
	.type	_ZL33flash_attn_stream_k_fixup_generalILi64ELi1ELi2EEvPfPK15HIP_vector_typeIfLj2EEiiiiS1_IjLj3EES5_S5_S5_,@function
_ZL33flash_attn_stream_k_fixup_generalILi64ELi1ELi2EEvPfPK15HIP_vector_typeIfLj2EEiiiiS1_IjLj3EES5_S5_S5_: ; @_ZL33flash_attn_stream_k_fixup_generalILi64ELi1ELi2EEvPfPK15HIP_vector_typeIfLj2EEiiiiS1_IjLj3EES5_S5_S5_
; %bb.0:
	s_load_dwordx4 s[8:11], s[0:1], 0x10
	s_load_dword s5, s[0:1], 0x50
	s_mov_b32 s12, 0
	s_waitcnt lgkmcnt(0)
	s_mul_hi_i32 s13, s11, s2
	s_cmp_lg_u64 s[12:13], 0
	s_mul_i32 s18, s11, s2
	s_cbranch_scc0 .LBB51_20
; %bb.1:
	s_add_u32 s6, s5, 0
	s_addc_u32 s7, 0, 0
	s_xor_b64 s[6:7], s[6:7], 0
	v_cvt_f32_u32_e32 v1, s6
	v_cvt_f32_u32_e32 v2, s7
	s_sub_u32 s12, 0, s6
	s_subb_u32 s19, 0, s7
	v_fmamk_f32 v1, v2, 0x4f800000, v1
	v_rcp_f32_e32 v1, v1
	s_nop 0
	v_mul_f32_e32 v1, 0x5f7ffffc, v1
	v_mul_f32_e32 v2, 0x2f800000, v1
	v_trunc_f32_e32 v2, v2
	v_fmamk_f32 v1, v2, 0xcf800000, v1
	v_cvt_u32_f32_e32 v2, v2
	v_cvt_u32_f32_e32 v1, v1
	v_readfirstlane_b32 s20, v2
	v_readfirstlane_b32 s14, v1
	s_mul_i32 s15, s12, s20
	s_mul_hi_u32 s22, s12, s14
	s_mul_i32 s21, s19, s14
	s_add_i32 s15, s22, s15
	s_add_i32 s15, s15, s21
	s_mul_i32 s23, s12, s14
	s_mul_i32 s22, s14, s15
	s_mul_hi_u32 s24, s14, s23
	s_mul_hi_u32 s21, s14, s15
	s_add_u32 s22, s24, s22
	s_addc_u32 s21, 0, s21
	s_mul_hi_u32 s25, s20, s23
	s_mul_i32 s23, s20, s23
	s_add_u32 s22, s22, s23
	s_mul_hi_u32 s24, s20, s15
	s_addc_u32 s21, s21, s25
	s_addc_u32 s22, s24, 0
	s_mul_i32 s15, s20, s15
	s_add_u32 s15, s21, s15
	s_addc_u32 s21, 0, s22
	s_add_u32 s22, s14, s15
	s_cselect_b64 s[14:15], -1, 0
	s_cmp_lg_u64 s[14:15], 0
	s_addc_u32 s20, s20, s21
	s_mul_i32 s14, s12, s20
	s_mul_hi_u32 s15, s12, s22
	s_add_i32 s14, s15, s14
	s_mul_i32 s19, s19, s22
	s_add_i32 s14, s14, s19
	s_mul_i32 s12, s12, s22
	s_mul_hi_u32 s19, s20, s12
	s_mul_i32 s21, s20, s12
	s_mul_i32 s24, s22, s14
	s_mul_hi_u32 s12, s22, s12
	s_mul_hi_u32 s23, s22, s14
	s_add_u32 s12, s12, s24
	s_addc_u32 s23, 0, s23
	s_add_u32 s12, s12, s21
	s_mul_hi_u32 s15, s20, s14
	s_addc_u32 s12, s23, s19
	s_addc_u32 s15, s15, 0
	s_mul_i32 s14, s20, s14
	s_add_u32 s12, s12, s14
	s_addc_u32 s19, 0, s15
	s_add_u32 s21, s22, s12
	s_cselect_b64 s[14:15], -1, 0
	s_cmp_lg_u64 s[14:15], 0
	s_addc_u32 s19, s20, s19
	s_ashr_i32 s14, s13, 31
	s_add_u32 s12, s18, s14
	s_mov_b32 s15, s14
	s_addc_u32 s13, s13, s14
	s_xor_b64 s[12:13], s[12:13], s[14:15]
	s_mul_i32 s22, s12, s19
	s_mul_hi_u32 s23, s12, s21
	s_mul_hi_u32 s20, s12, s19
	s_add_u32 s22, s23, s22
	s_addc_u32 s20, 0, s20
	s_mul_hi_u32 s24, s13, s21
	s_mul_i32 s21, s13, s21
	s_add_u32 s21, s22, s21
	s_mul_hi_u32 s23, s13, s19
	s_addc_u32 s20, s20, s24
	s_addc_u32 s21, s23, 0
	s_mul_i32 s19, s13, s19
	s_add_u32 s19, s20, s19
	s_addc_u32 s24, 0, s21
	s_mul_i32 s20, s6, s24
	s_mul_hi_u32 s21, s6, s19
	s_add_i32 s20, s21, s20
	s_mul_i32 s21, s7, s19
	s_add_i32 s25, s20, s21
	s_sub_i32 s22, s13, s25
	s_mul_i32 s20, s6, s19
	s_sub_u32 s12, s12, s20
	s_cselect_b64 s[20:21], -1, 0
	s_cmp_lg_u64 s[20:21], 0
	s_subb_u32 s26, s22, s7
	s_sub_u32 s27, s12, s6
	s_cselect_b64 s[22:23], -1, 0
	s_cmp_lg_u64 s[22:23], 0
	s_subb_u32 s22, s26, 0
	s_cmp_ge_u32 s22, s7
	s_cselect_b32 s23, -1, 0
	s_cmp_ge_u32 s27, s6
	s_cselect_b32 s26, -1, 0
	s_cmp_eq_u32 s22, s7
	s_cselect_b32 s22, s26, s23
	s_add_u32 s23, s19, 1
	s_addc_u32 s26, s24, 0
	s_add_u32 s27, s19, 2
	s_addc_u32 s28, s24, 0
	s_cmp_lg_u32 s22, 0
	s_cselect_b32 s22, s27, s23
	s_cselect_b32 s23, s28, s26
	s_cmp_lg_u64 s[20:21], 0
	s_subb_u32 s13, s13, s25
	s_cmp_ge_u32 s13, s7
	s_cselect_b32 s20, -1, 0
	s_cmp_ge_u32 s12, s6
	s_cselect_b32 s6, -1, 0
	s_cmp_eq_u32 s13, s7
	s_cselect_b32 s6, s6, s20
	s_cmp_lg_u32 s6, 0
	s_cselect_b32 s7, s23, s24
	s_cselect_b32 s6, s22, s19
	s_xor_b64 s[12:13], s[14:15], 0
	s_xor_b64 s[6:7], s[6:7], s[12:13]
	s_sub_u32 s6, s6, s12
	s_load_dwordx4 s[12:15], s[0:1], 0x44
	s_cbranch_execnz .LBB51_3
.LBB51_2:
	v_cvt_f32_u32_e32 v1, s5
	s_sub_i32 s6, 0, s5
	v_rcp_iflag_f32_e32 v1, v1
	s_nop 0
	v_mul_f32_e32 v1, 0x4f7ffffe, v1
	v_cvt_u32_f32_e32 v1, v1
	s_nop 0
	v_readfirstlane_b32 s7, v1
	s_mul_i32 s6, s6, s7
	s_mul_hi_u32 s6, s7, s6
	s_add_i32 s7, s7, s6
	s_mul_hi_u32 s6, s18, s7
	s_waitcnt lgkmcnt(0)
	s_mul_i32 s15, s6, s5
	s_sub_i32 s15, s18, s15
	s_add_i32 s7, s6, 1
	s_sub_i32 s16, s15, s5
	s_cmp_ge_u32 s15, s5
	s_cselect_b32 s6, s7, s6
	s_cselect_b32 s15, s16, s15
	s_add_i32 s7, s6, 1
	s_cmp_ge_u32 s15, s5
	s_cselect_b32 s6, s7, s6
.LBB51_3:
	s_add_i32 s7, s2, 1
	s_mul_hi_i32 s21, s11, s7
	s_mov_b32 s20, 0
	s_cmp_lg_u64 s[20:21], 0
	s_mul_i32 s7, s11, s7
	s_cbranch_scc0 .LBB51_21
; %bb.4:
	s_add_u32 s16, s5, 0
	s_addc_u32 s17, 0, 0
	s_xor_b64 s[18:19], s[16:17], 0
	v_cvt_f32_u32_e32 v1, s18
	v_cvt_f32_u32_e32 v2, s19
	s_waitcnt lgkmcnt(0)
	s_sub_u32 s15, 0, s18
	s_subb_u32 s20, 0, s19
	v_fmamk_f32 v1, v2, 0x4f800000, v1
	v_rcp_f32_e32 v1, v1
	s_nop 0
	v_mul_f32_e32 v1, 0x5f7ffffc, v1
	v_mul_f32_e32 v2, 0x2f800000, v1
	v_trunc_f32_e32 v2, v2
	v_fmamk_f32 v1, v2, 0xcf800000, v1
	v_cvt_u32_f32_e32 v2, v2
	v_cvt_u32_f32_e32 v1, v1
	v_readfirstlane_b32 s24, v2
	v_readfirstlane_b32 s22, v1
	s_mul_i32 s23, s15, s24
	s_mul_hi_u32 s26, s15, s22
	s_mul_i32 s25, s20, s22
	s_add_i32 s23, s26, s23
	s_add_i32 s23, s23, s25
	s_mul_i32 s27, s15, s22
	s_mul_i32 s26, s22, s23
	s_mul_hi_u32 s28, s22, s27
	s_mul_hi_u32 s25, s22, s23
	s_add_u32 s26, s28, s26
	s_addc_u32 s25, 0, s25
	s_mul_hi_u32 s29, s24, s27
	s_mul_i32 s27, s24, s27
	s_add_u32 s26, s26, s27
	s_mul_hi_u32 s28, s24, s23
	s_addc_u32 s25, s25, s29
	s_addc_u32 s26, s28, 0
	s_mul_i32 s23, s24, s23
	s_add_u32 s23, s25, s23
	s_addc_u32 s25, 0, s26
	s_add_u32 s26, s22, s23
	s_cselect_b64 s[22:23], -1, 0
	s_cmp_lg_u64 s[22:23], 0
	s_addc_u32 s24, s24, s25
	s_mul_i32 s22, s15, s24
	s_mul_hi_u32 s23, s15, s26
	s_add_i32 s22, s23, s22
	s_mul_i32 s20, s20, s26
	s_add_i32 s22, s22, s20
	s_mul_i32 s15, s15, s26
	s_mul_hi_u32 s23, s24, s15
	s_mul_i32 s25, s24, s15
	s_mul_i32 s28, s26, s22
	s_mul_hi_u32 s15, s26, s15
	s_mul_hi_u32 s27, s26, s22
	s_add_u32 s15, s15, s28
	s_addc_u32 s27, 0, s27
	s_add_u32 s15, s15, s25
	s_mul_hi_u32 s20, s24, s22
	s_addc_u32 s15, s27, s23
	s_addc_u32 s20, s20, 0
	s_mul_i32 s22, s24, s22
	s_add_u32 s15, s15, s22
	s_addc_u32 s20, 0, s20
	s_add_u32 s15, s26, s15
	s_cselect_b64 s[22:23], -1, 0
	s_cmp_lg_u64 s[22:23], 0
	s_addc_u32 s24, s24, s20
	s_ashr_i32 s22, s21, 31
	s_add_u32 s20, s7, s22
	s_mov_b32 s23, s22
	s_addc_u32 s21, s21, s22
	s_xor_b64 s[20:21], s[20:21], s[22:23]
	s_mul_i32 s26, s20, s24
	s_mul_hi_u32 s27, s20, s15
	s_mul_hi_u32 s25, s20, s24
	s_add_u32 s26, s27, s26
	s_addc_u32 s25, 0, s25
	s_mul_hi_u32 s28, s21, s15
	s_mul_i32 s15, s21, s15
	s_add_u32 s15, s26, s15
	s_mul_hi_u32 s27, s21, s24
	s_addc_u32 s15, s25, s28
	s_addc_u32 s25, s27, 0
	s_mul_i32 s24, s21, s24
	s_add_u32 s15, s15, s24
	s_addc_u32 s28, 0, s25
	s_mul_i32 s24, s18, s28
	s_mul_hi_u32 s25, s18, s15
	s_add_i32 s24, s25, s24
	s_mul_i32 s25, s19, s15
	s_add_i32 s29, s24, s25
	s_sub_i32 s26, s21, s29
	s_mul_i32 s24, s18, s15
	s_sub_u32 s20, s20, s24
	s_cselect_b64 s[24:25], -1, 0
	s_cmp_lg_u64 s[24:25], 0
	s_subb_u32 s30, s26, s19
	s_sub_u32 s31, s20, s18
	s_cselect_b64 s[26:27], -1, 0
	s_cmp_lg_u64 s[26:27], 0
	s_subb_u32 s26, s30, 0
	s_cmp_ge_u32 s26, s19
	s_cselect_b32 s27, -1, 0
	s_cmp_ge_u32 s31, s18
	s_cselect_b32 s30, -1, 0
	s_cmp_eq_u32 s26, s19
	s_cselect_b32 s26, s30, s27
	s_add_u32 s27, s15, 1
	s_addc_u32 s30, s28, 0
	s_add_u32 s31, s15, 2
	s_addc_u32 s33, s28, 0
	s_cmp_lg_u32 s26, 0
	s_cselect_b32 s26, s31, s27
	s_cselect_b32 s27, s33, s30
	s_cmp_lg_u64 s[24:25], 0
	s_subb_u32 s21, s21, s29
	s_cmp_ge_u32 s21, s19
	s_cselect_b32 s24, -1, 0
	s_cmp_ge_u32 s20, s18
	s_cselect_b32 s18, -1, 0
	s_cmp_eq_u32 s21, s19
	s_cselect_b32 s18, s18, s24
	s_cmp_lg_u32 s18, 0
	s_cselect_b32 s19, s27, s28
	s_cselect_b32 s18, s26, s15
	s_xor_b64 s[20:21], s[22:23], 0
	s_xor_b64 s[18:19], s[18:19], s[20:21]
	s_sub_u32 s18, s18, s20
	s_cbranch_execnz .LBB51_6
.LBB51_5:
	v_cvt_f32_u32_e32 v1, s5
	s_waitcnt lgkmcnt(0)
	s_sub_i32 s15, 0, s5
	v_rcp_iflag_f32_e32 v1, v1
	s_nop 0
	v_mul_f32_e32 v1, 0x4f7ffffe, v1
	v_cvt_u32_f32_e32 v1, v1
	s_nop 0
	v_readfirstlane_b32 s16, v1
	s_mul_i32 s15, s15, s16
	s_mul_hi_u32 s15, s16, s15
	s_add_i32 s16, s16, s15
	s_mul_hi_u32 s15, s7, s16
	s_mul_i32 s17, s15, s5
	s_sub_i32 s7, s7, s17
	s_add_i32 s16, s15, 1
	s_sub_i32 s17, s7, s5
	s_cmp_ge_u32 s7, s5
	s_cselect_b32 s15, s16, s15
	s_cselect_b32 s7, s17, s7
	s_add_i32 s16, s15, 1
	s_cmp_ge_u32 s7, s5
	s_cselect_b32 s18, s16, s15
.LBB51_6:
	s_cmp_eq_u32 s6, s18
	s_waitcnt lgkmcnt(0)
	s_mul_hi_u32 s7, s6, s12
	s_cselect_b64 s[16:17], -1, 0
	s_add_i32 s7, s7, s6
	s_lshr_b32 s7, s7, s13
	s_mul_i32 s15, s7, s14
	s_cmp_eq_u32 s15, s6
	s_mul_hi_u32 s15, s18, s12
	s_cselect_b64 s[20:21], -1, 0
	s_add_i32 s15, s15, s18
	s_lshr_b32 s15, s15, s13
	s_cmp_eq_u32 s7, s15
	s_mul_i32 s15, s15, s14
	s_cselect_b64 s[22:23], -1, 0
	s_cmp_lg_u32 s15, s18
	s_cselect_b64 s[18:19], -1, 0
	s_and_b64 s[18:19], s[22:23], s[18:19]
	s_or_b64 s[16:17], s[16:17], s[20:21]
	s_or_b64 s[16:17], s[16:17], s[18:19]
	s_and_b64 vcc, exec, s[16:17]
	s_cbranch_vccnz .LBB51_23
; %bb.7:
	s_load_dwordx8 s[16:23], s[0:1], 0x20
	s_load_dword s24, s[0:1], 0x40
	s_waitcnt lgkmcnt(0)
	s_mul_hi_u32 s15, s6, s16
	s_add_i32 s15, s15, s6
	s_lshr_b32 s15, s15, s17
	s_mul_i32 s16, s15, s18
	s_sub_i32 s16, s6, s16
	s_mul_hi_u32 s17, s16, s19
	s_add_i32 s17, s16, s17
	s_lshr_b32 s20, s17, s20
	s_mul_i32 s17, s20, s21
	s_sub_i32 s16, s16, s17
	;; [unrolled: 5-line block ×3, first 2 shown]
	s_lshl_b32 s22, s17, 1
	s_mul_hi_u32 s17, s16, s12
	s_add_i32 s16, s16, s17
	s_lshr_b32 s21, s16, s13
	s_add_i32 s21, s21, s3
	s_cmp_lt_i32 s21, s8
	s_cselect_b64 s[16:17], -1, 0
	s_add_i32 s22, s22, s4
	s_cmp_lt_i32 s22, s10
	s_cselect_b64 s[18:19], -1, 0
	s_and_b64 s[16:17], s[16:17], s[18:19]
	s_andn2_b64 vcc, exec, s[16:17]
	s_cbranch_vccnz .LBB51_23
; %bb.8:
	s_load_dwordx4 s[16:19], s[0:1], 0x0
	s_mov_b32 s0, 0
	s_lshl_b32 s24, s5, 3
	s_mov_b32 s25, s0
	s_mul_i32 s15, s15, s8
	s_waitcnt lgkmcnt(0)
	v_mov_b32_e32 v2, s16
	v_mov_b32_e32 v3, s17
	s_lshl_b64 s[16:17], s[24:25], 2
	s_add_u32 s16, s18, s16
	s_addc_u32 s17, s19, s17
	s_mul_i32 s20, s20, s10
	s_add_i32 s1, s21, s15
	s_mul_i32 s1, s1, s9
	s_add_i32 s8, s22, s20
	s_add_i32 s8, s8, s1
	v_lshl_or_b32 v4, s8, 6, v0
	v_ashrrev_i32_e32 v5, 31, v4
	v_lshl_add_u64 v[2:3], v[4:5], 2, v[2:3]
	global_load_dword v1, v[2:3], off
	s_add_i32 s1, s3, s2
	v_cvt_f32_u32_e32 v4, s5
	s_lshl_b32 s1, s1, 1
	s_add_i32 s8, s1, s4
	s_ashr_i32 s9, s8, 31
	s_lshl_b64 s[8:9], s[8:9], 3
	v_rcp_iflag_f32_e32 v4, v4
	s_add_u32 s8, s18, s8
	s_addc_u32 s9, s19, s9
	s_load_dwordx2 s[8:9], s[8:9], 0x0
	v_mul_f32_e32 v4, 0x4f7ffffe, v4
	v_cvt_u32_f32_e32 v7, v4
	s_add_i32 s25, s2, -1
	v_lshl_or_b32 v6, s4, 6, v0
	s_waitcnt lgkmcnt(0)
	v_mov_b32_e32 v0, s9
	v_mov_b32_e32 v9, s8
	s_mov_b32 s2, 0x3fb8aa3b
	s_mov_b32 s10, 0xc2ce8ed0
	;; [unrolled: 1-line block ×4, first 2 shown]
	v_mov_b32_e32 v8, 0x7f800000
	s_mul_hi_i32 s1, s25, s11
	s_cmp_lg_u64 s[0:1], 0
	s_mul_i32 s22, s25, s11
	s_cbranch_scc0 .LBB51_19
.LBB51_9:
	s_add_u32 s8, s5, 0
	s_addc_u32 s9, 0, 0
	s_xor_b64 s[8:9], s[8:9], 0
	v_cvt_f32_u32_e32 v4, s8
	v_cvt_f32_u32_e32 v5, s9
	s_sub_u32 s23, 0, s8
	s_subb_u32 s26, 0, s9
	v_fmac_f32_e32 v4, 0x4f800000, v5
	v_rcp_f32_e32 v4, v4
	s_nop 0
	v_mul_f32_e32 v4, 0x5f7ffffc, v4
	v_mul_f32_e32 v5, 0x2f800000, v4
	v_trunc_f32_e32 v5, v5
	v_fmac_f32_e32 v4, 0xcf800000, v5
	v_cvt_u32_f32_e32 v5, v5
	v_cvt_u32_f32_e32 v4, v4
	v_readfirstlane_b32 s27, v5
	v_readfirstlane_b32 s20, v4
	s_mul_i32 s21, s23, s27
	s_mul_hi_u32 s29, s23, s20
	s_mul_i32 s28, s26, s20
	s_add_i32 s21, s29, s21
	s_mul_i32 s30, s23, s20
	s_add_i32 s21, s21, s28
	s_mul_i32 s29, s20, s21
	s_mul_hi_u32 s31, s20, s30
	s_mul_hi_u32 s28, s20, s21
	s_add_u32 s29, s31, s29
	s_addc_u32 s28, 0, s28
	s_mul_hi_u32 s33, s27, s30
	s_mul_i32 s30, s27, s30
	s_add_u32 s29, s29, s30
	s_mul_hi_u32 s31, s27, s21
	s_addc_u32 s28, s28, s33
	s_addc_u32 s29, s31, 0
	s_mul_i32 s21, s27, s21
	s_add_u32 s21, s28, s21
	s_addc_u32 s28, 0, s29
	s_add_u32 s29, s20, s21
	s_cselect_b64 s[20:21], -1, 0
	s_cmp_lg_u64 s[20:21], 0
	s_addc_u32 s27, s27, s28
	s_mul_i32 s20, s23, s27
	s_mul_hi_u32 s21, s23, s29
	s_add_i32 s20, s21, s20
	s_mul_i32 s26, s26, s29
	s_add_i32 s20, s20, s26
	s_mul_i32 s23, s23, s29
	s_mul_hi_u32 s26, s27, s23
	s_mul_i32 s28, s27, s23
	s_mul_i32 s31, s29, s20
	s_mul_hi_u32 s23, s29, s23
	s_mul_hi_u32 s30, s29, s20
	s_add_u32 s23, s23, s31
	s_addc_u32 s30, 0, s30
	s_add_u32 s23, s23, s28
	s_mul_hi_u32 s21, s27, s20
	s_addc_u32 s23, s30, s26
	s_addc_u32 s21, s21, 0
	s_mul_i32 s20, s27, s20
	s_add_u32 s20, s23, s20
	s_addc_u32 s23, 0, s21
	s_add_u32 s28, s29, s20
	s_cselect_b64 s[20:21], -1, 0
	s_cmp_lg_u64 s[20:21], 0
	s_addc_u32 s23, s27, s23
	s_ashr_i32 s20, s1, 31
	s_add_u32 s26, s22, s20
	s_mov_b32 s21, s20
	s_addc_u32 s27, s1, s20
	s_xor_b64 s[26:27], s[26:27], s[20:21]
	s_mul_i32 s29, s26, s23
	s_mul_hi_u32 s30, s26, s28
	s_mul_hi_u32 s1, s26, s23
	s_add_u32 s29, s30, s29
	s_addc_u32 s1, 0, s1
	s_mul_hi_u32 s31, s27, s28
	s_mul_i32 s28, s27, s28
	s_add_u32 s28, s29, s28
	s_mul_hi_u32 s30, s27, s23
	s_addc_u32 s1, s1, s31
	s_addc_u32 s28, s30, 0
	s_mul_i32 s23, s27, s23
	s_add_u32 s1, s1, s23
	s_addc_u32 s23, 0, s28
	s_mul_i32 s28, s8, s23
	s_mul_hi_u32 s29, s8, s1
	s_add_i32 s28, s29, s28
	s_mul_i32 s29, s9, s1
	s_add_i32 s33, s28, s29
	s_sub_i32 s30, s27, s33
	s_mul_i32 s28, s8, s1
	s_sub_u32 s26, s26, s28
	s_cselect_b64 s[28:29], -1, 0
	s_cmp_lg_u64 s[28:29], 0
	s_subb_u32 s34, s30, s9
	s_sub_u32 s35, s26, s8
	s_cselect_b64 s[30:31], -1, 0
	s_cmp_lg_u64 s[30:31], 0
	s_subb_u32 s30, s34, 0
	s_cmp_ge_u32 s30, s9
	s_cselect_b32 s31, -1, 0
	s_cmp_ge_u32 s35, s8
	s_cselect_b32 s34, -1, 0
	s_cmp_eq_u32 s30, s9
	s_cselect_b32 s30, s34, s31
	s_add_u32 s31, s1, 1
	s_addc_u32 s34, s23, 0
	s_add_u32 s35, s1, 2
	s_addc_u32 s36, s23, 0
	s_cmp_lg_u32 s30, 0
	s_cselect_b32 s30, s35, s31
	s_cselect_b32 s31, s36, s34
	s_cmp_lg_u64 s[28:29], 0
	s_subb_u32 s27, s27, s33
	s_cmp_ge_u32 s27, s9
	s_cselect_b32 s28, -1, 0
	s_cmp_ge_u32 s26, s8
	s_cselect_b32 s8, -1, 0
	s_cmp_eq_u32 s27, s9
	s_cselect_b32 s8, s8, s28
	s_cmp_lg_u32 s8, 0
	s_cselect_b32 s9, s31, s23
	s_cselect_b32 s8, s30, s1
	s_xor_b64 s[20:21], s[20:21], 0
	s_xor_b64 s[8:9], s[8:9], s[20:21]
	s_sub_u32 s20, s8, s20
	s_cbranch_execnz .LBB51_11
.LBB51_10:
	s_sub_i32 s1, 0, s5
	v_readfirstlane_b32 s8, v7
	s_mul_i32 s1, s1, s8
	s_mul_hi_u32 s1, s8, s1
	s_add_i32 s8, s8, s1
	s_mul_hi_u32 s1, s22, s8
	s_mul_i32 s9, s1, s5
	s_sub_i32 s9, s22, s9
	s_add_i32 s8, s1, 1
	s_sub_i32 s20, s9, s5
	s_cmp_ge_u32 s9, s5
	s_cselect_b32 s1, s8, s1
	s_cselect_b32 s9, s20, s9
	s_add_i32 s8, s1, 1
	s_cmp_ge_u32 s9, s5
	s_cselect_b32 s20, s8, s1
.LBB51_11:
	s_cmp_lg_u32 s6, s20
	s_cbranch_scc0 .LBB51_15
; %bb.12:
	s_add_i32 s21, s25, s3
	s_add_i32 s1, s21, s5
	s_lshl_b32 s1, s1, 1
	s_add_i32 s8, s1, s4
	s_mov_b32 s9, s0
	s_lshl_b64 s[8:9], s[8:9], 3
	s_add_u32 s22, s18, s8
	s_mul_hi_u32 s1, s20, s12
	s_addc_u32 s23, s19, s9
	s_add_i32 s1, s1, s20
	s_lshr_b32 s1, s1, s13
	s_mul_i32 s8, s1, s14
	s_cmp_eq_u32 s8, s20
	s_cselect_b64 s[8:9], -1, 0
	s_cmp_lt_u32 s1, s7
	s_cselect_b64 s[26:27], -1, 0
	s_or_b64 s[26:27], s[26:27], s[8:9]
	s_mov_b64 s[8:9], -1
	s_and_b64 vcc, exec, s[26:27]
	s_mov_b32 s1, s25
	s_mov_b32 s26, s6
	s_cbranch_vccnz .LBB51_14
; %bb.13:
	s_add_i32 s1, s25, -1
	s_mov_b64 s[8:9], 0
	s_mov_b32 s26, s20
.LBB51_14:
	v_lshl_add_u32 v4, s21, 7, v6
	v_ashrrev_i32_e32 v5, 31, v4
	v_lshl_add_u64 v[4:5], v[4:5], 2, s[16:17]
	global_load_dword v5, v[4:5], off
	s_load_dwordx2 s[20:21], s[22:23], 0x0
	v_max_f32_e32 v4, v9, v9
	s_waitcnt lgkmcnt(0)
	v_max_f32_e64 v10, s20, s20
	v_max_f32_e32 v10, v4, v10
	v_sub_f32_e32 v11, v9, v10
	v_sub_f32_e32 v13, s20, v10
	v_mul_f32_e32 v4, 0x3fb8aa3b, v11
	v_mul_f32_e32 v12, 0x3fb8aa3b, v13
	v_fma_f32 v14, v11, s2, -v4
	v_rndne_f32_e32 v15, v4
	v_fma_f32 v16, v13, s2, -v12
	v_rndne_f32_e32 v17, v12
	v_fmac_f32_e32 v14, 0x32a5705f, v11
	v_sub_f32_e32 v4, v4, v15
	v_fmac_f32_e32 v16, 0x32a5705f, v13
	v_sub_f32_e32 v12, v12, v17
	v_add_f32_e32 v4, v4, v14
	v_cvt_i32_f32_e32 v15, v15
	v_add_f32_e32 v12, v12, v16
	v_exp_f32_e32 v14, v4
	v_cvt_i32_f32_e32 v17, v17
	v_exp_f32_e32 v12, v12
	v_cmp_ngt_f32_e32 vcc, s10, v11
	v_ldexp_f32 v14, v14, v15
	v_mov_b32_e32 v4, s21
	v_ldexp_f32 v12, v12, v17
	v_cndmask_b32_e32 v14, 0, v14, vcc
	v_cmp_ngt_f32_e32 vcc, s10, v13
	s_nop 1
	v_cndmask_b32_e32 v12, 0, v12, vcc
	v_cmp_nlt_f32_e32 vcc, s15, v11
	s_nop 1
	v_cndmask_b32_e32 v14, v8, v14, vcc
	v_cmp_nlt_f32_e32 vcc, s15, v13
	s_nop 1
	v_cndmask_b32_e32 v15, v8, v12, vcc
	v_cmp_le_f32_e32 vcc, s24, v11
	s_nop 1
	v_cndmask_b32_e32 v12, 0, v14, vcc
	v_cmp_le_f32_e32 vcc, s24, v13
	s_nop 1
	v_cndmask_b32_e32 v14, 0, v15, vcc
	s_waitcnt vmcnt(0)
	v_pk_mul_f32 v[4:5], v[4:5], v[14:15] op_sel_hi:[1,0]
	s_nop 0
	v_pk_fma_f32 v[4:5], v[0:1], v[12:13], v[4:5] op_sel_hi:[1,0,1]
	s_cbranch_execz .LBB51_16
	s_branch .LBB51_17
.LBB51_15:
                                        ; implicit-def: $vgpr4_vgpr5
                                        ; implicit-def: $sgpr8_sgpr9
                                        ; implicit-def: $vgpr10
                                        ; implicit-def: $sgpr1
                                        ; implicit-def: $sgpr26
.LBB51_16:
	s_add_i32 s1, s25, -1
	s_mov_b64 s[8:9], 0
	s_mov_b32 s26, s6
	v_mov_b32_e32 v10, v9
	s_waitcnt vmcnt(0)
	v_mov_b64_e32 v[4:5], v[0:1]
.LBB51_17:
	s_andn2_b64 vcc, exec, s[8:9]
	s_cbranch_vccz .LBB51_22
; %bb.18:
	s_mov_b32 s6, s26
	s_mov_b32 s25, s1
	v_mov_b32_e32 v9, v10
	s_waitcnt vmcnt(0)
	v_mov_b64_e32 v[0:1], v[4:5]
	s_mul_hi_i32 s1, s25, s11
	s_cmp_lg_u64 s[0:1], 0
	s_mul_i32 s22, s25, s11
	s_cbranch_scc1 .LBB51_9
.LBB51_19:
                                        ; implicit-def: $sgpr20_sgpr21
	s_branch .LBB51_10
.LBB51_20:
                                        ; implicit-def: $sgpr6_sgpr7
	s_load_dwordx4 s[12:15], s[0:1], 0x44
	s_branch .LBB51_2
.LBB51_21:
                                        ; implicit-def: $sgpr18_sgpr19
	s_branch .LBB51_5
.LBB51_22:
	v_div_scale_f32 v0, s[0:1], v4, v4, v5
	s_waitcnt vmcnt(0)
	v_rcp_f32_e32 v1, v0
	v_div_scale_f32 v6, vcc, v5, v4, v5
	v_fma_f32 v7, -v0, v1, 1.0
	v_fmac_f32_e32 v1, v7, v1
	v_mul_f32_e32 v7, v6, v1
	v_fma_f32 v8, -v0, v7, v6
	v_fmac_f32_e32 v7, v8, v1
	v_fma_f32 v0, -v0, v7, v6
	v_div_fmas_f32 v0, v0, v1, v7
	v_div_fixup_f32 v0, v0, v4, v5
	global_store_dword v[2:3], v0, off
.LBB51_23:
	s_endpgm
	.section	.rodata,"a",@progbits
	.p2align	6, 0x0
	.amdhsa_kernel _ZL33flash_attn_stream_k_fixup_generalILi64ELi1ELi2EEvPfPK15HIP_vector_typeIfLj2EEiiiiS1_IjLj3EES5_S5_S5_
		.amdhsa_group_segment_fixed_size 0
		.amdhsa_private_segment_fixed_size 0
		.amdhsa_kernarg_size 336
		.amdhsa_user_sgpr_count 2
		.amdhsa_user_sgpr_dispatch_ptr 0
		.amdhsa_user_sgpr_queue_ptr 0
		.amdhsa_user_sgpr_kernarg_segment_ptr 1
		.amdhsa_user_sgpr_dispatch_id 0
		.amdhsa_user_sgpr_kernarg_preload_length 0
		.amdhsa_user_sgpr_kernarg_preload_offset 0
		.amdhsa_user_sgpr_private_segment_size 0
		.amdhsa_uses_dynamic_stack 0
		.amdhsa_enable_private_segment 0
		.amdhsa_system_sgpr_workgroup_id_x 1
		.amdhsa_system_sgpr_workgroup_id_y 1
		.amdhsa_system_sgpr_workgroup_id_z 1
		.amdhsa_system_sgpr_workgroup_info 0
		.amdhsa_system_vgpr_workitem_id 0
		.amdhsa_next_free_vgpr 18
		.amdhsa_next_free_sgpr 37
		.amdhsa_accum_offset 20
		.amdhsa_reserve_vcc 1
		.amdhsa_float_round_mode_32 0
		.amdhsa_float_round_mode_16_64 0
		.amdhsa_float_denorm_mode_32 3
		.amdhsa_float_denorm_mode_16_64 3
		.amdhsa_dx10_clamp 1
		.amdhsa_ieee_mode 1
		.amdhsa_fp16_overflow 0
		.amdhsa_tg_split 0
		.amdhsa_exception_fp_ieee_invalid_op 0
		.amdhsa_exception_fp_denorm_src 0
		.amdhsa_exception_fp_ieee_div_zero 0
		.amdhsa_exception_fp_ieee_overflow 0
		.amdhsa_exception_fp_ieee_underflow 0
		.amdhsa_exception_fp_ieee_inexact 0
		.amdhsa_exception_int_div_zero 0
	.end_amdhsa_kernel
	.section	.text._ZL33flash_attn_stream_k_fixup_generalILi64ELi1ELi2EEvPfPK15HIP_vector_typeIfLj2EEiiiiS1_IjLj3EES5_S5_S5_,"axG",@progbits,_ZL33flash_attn_stream_k_fixup_generalILi64ELi1ELi2EEvPfPK15HIP_vector_typeIfLj2EEiiiiS1_IjLj3EES5_S5_S5_,comdat
.Lfunc_end51:
	.size	_ZL33flash_attn_stream_k_fixup_generalILi64ELi1ELi2EEvPfPK15HIP_vector_typeIfLj2EEiiiiS1_IjLj3EES5_S5_S5_, .Lfunc_end51-_ZL33flash_attn_stream_k_fixup_generalILi64ELi1ELi2EEvPfPK15HIP_vector_typeIfLj2EEiiiiS1_IjLj3EES5_S5_S5_
                                        ; -- End function
	.set _ZL33flash_attn_stream_k_fixup_generalILi64ELi1ELi2EEvPfPK15HIP_vector_typeIfLj2EEiiiiS1_IjLj3EES5_S5_S5_.num_vgpr, 18
	.set _ZL33flash_attn_stream_k_fixup_generalILi64ELi1ELi2EEvPfPK15HIP_vector_typeIfLj2EEiiiiS1_IjLj3EES5_S5_S5_.num_agpr, 0
	.set _ZL33flash_attn_stream_k_fixup_generalILi64ELi1ELi2EEvPfPK15HIP_vector_typeIfLj2EEiiiiS1_IjLj3EES5_S5_S5_.numbered_sgpr, 37
	.set _ZL33flash_attn_stream_k_fixup_generalILi64ELi1ELi2EEvPfPK15HIP_vector_typeIfLj2EEiiiiS1_IjLj3EES5_S5_S5_.num_named_barrier, 0
	.set _ZL33flash_attn_stream_k_fixup_generalILi64ELi1ELi2EEvPfPK15HIP_vector_typeIfLj2EEiiiiS1_IjLj3EES5_S5_S5_.private_seg_size, 0
	.set _ZL33flash_attn_stream_k_fixup_generalILi64ELi1ELi2EEvPfPK15HIP_vector_typeIfLj2EEiiiiS1_IjLj3EES5_S5_S5_.uses_vcc, 1
	.set _ZL33flash_attn_stream_k_fixup_generalILi64ELi1ELi2EEvPfPK15HIP_vector_typeIfLj2EEiiiiS1_IjLj3EES5_S5_S5_.uses_flat_scratch, 0
	.set _ZL33flash_attn_stream_k_fixup_generalILi64ELi1ELi2EEvPfPK15HIP_vector_typeIfLj2EEiiiiS1_IjLj3EES5_S5_S5_.has_dyn_sized_stack, 0
	.set _ZL33flash_attn_stream_k_fixup_generalILi64ELi1ELi2EEvPfPK15HIP_vector_typeIfLj2EEiiiiS1_IjLj3EES5_S5_S5_.has_recursion, 0
	.set _ZL33flash_attn_stream_k_fixup_generalILi64ELi1ELi2EEvPfPK15HIP_vector_typeIfLj2EEiiiiS1_IjLj3EES5_S5_S5_.has_indirect_call, 0
	.section	.AMDGPU.csdata,"",@progbits
; Kernel info:
; codeLenInByte = 2924
; TotalNumSgprs: 43
; NumVgprs: 18
; NumAgprs: 0
; TotalNumVgprs: 18
; ScratchSize: 0
; MemoryBound: 0
; FloatMode: 240
; IeeeMode: 1
; LDSByteSize: 0 bytes/workgroup (compile time only)
; SGPRBlocks: 5
; VGPRBlocks: 2
; NumSGPRsForWavesPerEU: 43
; NumVGPRsForWavesPerEU: 18
; AccumOffset: 20
; Occupancy: 8
; WaveLimiterHint : 0
; COMPUTE_PGM_RSRC2:SCRATCH_EN: 0
; COMPUTE_PGM_RSRC2:USER_SGPR: 2
; COMPUTE_PGM_RSRC2:TRAP_HANDLER: 0
; COMPUTE_PGM_RSRC2:TGID_X_EN: 1
; COMPUTE_PGM_RSRC2:TGID_Y_EN: 1
; COMPUTE_PGM_RSRC2:TGID_Z_EN: 1
; COMPUTE_PGM_RSRC2:TIDIG_COMP_CNT: 0
; COMPUTE_PGM_RSRC3_GFX90A:ACCUM_OFFSET: 4
; COMPUTE_PGM_RSRC3_GFX90A:TG_SPLIT: 0
	.section	.text._ZL15flash_attn_tileILi64ELi64ELi64ELi1ELb0EEvPKcS1_S1_S1_S1_PKiPfP15HIP_vector_typeIfLj2EEffffjfiS5_IjLj3EEiiiiiiiiiiiliiliiiiil,"axG",@progbits,_ZL15flash_attn_tileILi64ELi64ELi64ELi1ELb0EEvPKcS1_S1_S1_S1_PKiPfP15HIP_vector_typeIfLj2EEffffjfiS5_IjLj3EEiiiiiiiiiiiliiliiiiil,comdat
	.globl	_ZL15flash_attn_tileILi64ELi64ELi64ELi1ELb0EEvPKcS1_S1_S1_S1_PKiPfP15HIP_vector_typeIfLj2EEffffjfiS5_IjLj3EEiiiiiiiiiiiliiliiiiil ; -- Begin function _ZL15flash_attn_tileILi64ELi64ELi64ELi1ELb0EEvPKcS1_S1_S1_S1_PKiPfP15HIP_vector_typeIfLj2EEffffjfiS5_IjLj3EEiiiiiiiiiiiliiliiiiil
	.p2align	8
	.type	_ZL15flash_attn_tileILi64ELi64ELi64ELi1ELb0EEvPKcS1_S1_S1_S1_PKiPfP15HIP_vector_typeIfLj2EEffffjfiS5_IjLj3EEiiiiiiiiiiiliiliiiiil,@function
_ZL15flash_attn_tileILi64ELi64ELi64ELi1ELb0EEvPKcS1_S1_S1_S1_PKiPfP15HIP_vector_typeIfLj2EEffffjfiS5_IjLj3EEiiiiiiiiiiiliiliiiiil: ; @_ZL15flash_attn_tileILi64ELi64ELi64ELi1ELb0EEvPKcS1_S1_S1_S1_PKiPfP15HIP_vector_typeIfLj2EEffffjfiS5_IjLj3EEiiiiiiiiiiiliiliiiiil
; %bb.0:
	s_load_dwordx4 s[24:27], s[0:1], 0x5c
	s_load_dwordx2 s[36:37], s[0:1], 0x80
	s_load_dwordx2 s[38:39], s[0:1], 0xb8
	s_waitcnt lgkmcnt(0)
	v_cvt_f32_u32_e32 v1, s27
	s_sub_i32 s5, 0, s27
	v_rcp_iflag_f32_e32 v1, v1
	s_nop 0
	v_mul_f32_e32 v1, 0x4f7ffffe, v1
	v_cvt_u32_f32_e32 v1, v1
	s_nop 0
	v_readfirstlane_b32 s6, v1
	s_mul_i32 s5, s5, s6
	s_mul_hi_u32 s5, s6, s5
	s_add_i32 s6, s6, s5
	s_mul_hi_u32 s5, s4, s6
	s_mul_i32 s6, s5, s27
	s_sub_i32 s6, s4, s6
	s_add_i32 s7, s5, 1
	s_sub_i32 s8, s6, s27
	s_cmp_ge_u32 s6, s27
	s_cselect_b32 s5, s7, s5
	s_cselect_b32 s6, s8, s6
	s_add_i32 s7, s5, 1
	s_cmp_ge_u32 s6, s27
	s_cselect_b32 s33, s7, s5
	s_abs_i32 s5, s37
	v_cvt_f32_u32_e32 v1, s5
	s_mul_i32 s8, s33, s27
	s_sub_i32 s9, 0, s5
	s_sub_i32 s34, s4, s8
	v_rcp_iflag_f32_e32 v1, v1
	s_abs_i32 s7, s27
	s_xor_b32 s6, s27, s37
	s_ashr_i32 s6, s6, 31
	v_mul_f32_e32 v1, 0x4f7ffffe, v1
	v_cvt_u32_f32_e32 v1, v1
	s_nop 0
	v_readfirstlane_b32 s4, v1
	s_mul_i32 s9, s9, s4
	s_mul_hi_u32 s8, s4, s9
	s_add_i32 s4, s4, s8
	s_mul_hi_u32 s4, s7, s4
	s_mul_i32 s8, s4, s5
	s_sub_i32 s7, s7, s8
	s_add_i32 s9, s4, 1
	s_sub_i32 s8, s7, s5
	s_cmp_ge_u32 s7, s5
	s_cselect_b32 s4, s9, s4
	s_cselect_b32 s7, s8, s7
	s_add_i32 s8, s4, 1
	s_cmp_ge_u32 s7, s5
	s_cselect_b32 s4, s8, s4
	s_xor_b32 s4, s4, s6
	s_sub_i32 s41, s4, s6
	s_abs_i32 s37, s41
	v_cvt_f32_u32_e32 v1, s37
	s_load_dwordx16 s[8:23], s[0:1], 0x0
	s_sub_i32 s4, 0, s37
	s_abs_i32 s40, s34
	v_rcp_iflag_f32_e32 v1, v1
	s_nop 0
	v_mul_f32_e32 v1, 0x4f7ffffe, v1
	v_cvt_u32_f32_e32 v1, v1
	s_nop 0
	v_readfirstlane_b32 s5, v1
	s_mul_i32 s4, s4, s5
	s_mul_hi_u32 s4, s5, s4
	s_add_i32 s4, s5, s4
	s_waitcnt lgkmcnt(0)
	s_cmp_eq_u64 s[14:15], 0
	s_cbranch_scc1 .LBB52_2
; %bb.1:
	s_abs_i32 s5, s38
	v_cvt_f32_u32_e32 v1, s5
	s_sub_i32 s30, 0, s5
	s_abs_i32 s29, s33
	s_load_dwordx2 s[6:7], s[0:1], 0xc8
	v_rcp_iflag_f32_e32 v1, v1
	s_ashr_i32 s28, s33, 31
	v_mul_f32_e32 v1, 0x4f7ffffe, v1
	v_cvt_u32_f32_e32 v1, v1
	v_mul_lo_u32 v2, s30, v1
	v_mul_hi_u32 v2, v1, v2
	v_add_u32_e32 v1, v1, v2
	v_mul_hi_u32 v1, s29, v1
	v_mul_lo_u32 v1, v1, s5
	v_sub_u32_e32 v1, s29, v1
	v_subrev_u32_e32 v2, s5, v1
	v_cmp_le_u32_e32 vcc, s5, v1
	s_nop 1
	v_cndmask_b32_e32 v1, v1, v2, vcc
	v_subrev_u32_e32 v2, s5, v1
	v_cmp_le_u32_e32 vcc, s5, v1
	s_nop 1
	v_cndmask_b32_e32 v1, v1, v2, vcc
	v_xor_b32_e32 v1, s28, v1
	v_subrev_u32_e32 v1, s28, v1
	v_ashrrev_i32_e32 v2, 31, v1
	s_waitcnt lgkmcnt(0)
	v_mul_hi_u32 v3, s6, v1
	v_mul_lo_u32 v2, s6, v2
	v_mul_lo_u32 v4, s7, v1
	v_add_u32_e32 v2, v3, v2
	v_add_u32_e32 v3, v2, v4
	v_mul_lo_u32 v2, s6, v1
	v_lshl_add_u64 v[42:43], s[14:15], 0, v[2:3]
	s_branch .LBB52_3
.LBB52_2:
	v_mov_b64_e32 v[42:43], 0
.LBB52_3:
	s_load_dwordx4 s[28:31], s[0:1], 0x40
	s_mul_hi_u32 s14, s40, s4
	s_load_dword s4, s[0:1], 0x50
	v_mov_b32_e32 v66, 1.0
	s_waitcnt lgkmcnt(0)
	v_cmp_le_f32_e64 s[6:7], s29, 0
	s_and_b64 vcc, exec, s[6:7]
	s_cbranch_vccnz .LBB52_5
; %bb.4:
	v_mov_b32_e32 v1, s4
	v_sub_co_u32_e32 v1, vcc, s34, v1
	v_mov_b32_e32 v2, s31
	v_mov_b32_e32 v3, s30
	s_add_i32 s4, s34, 1
	v_lshlrev_b32_e32 v1, 1, v1
	v_cndmask_b32_e32 v2, v2, v3, vcc
	v_or_b32_e32 v1, 1, v1
	v_mov_b32_e32 v3, s4
	v_cndmask_b32_e32 v1, v1, v3, vcc
	v_cvt_f32_i32_e32 v1, v1
	v_cmp_neq_f32_e32 vcc, 1.0, v2
	s_mov_b32 s4, 0x3f2aaaab
	s_movk_i32 s6, 0x204
	v_cndmask_b32_e32 v1, 1.0, v1, vcc
	v_cmp_neq_f32_e32 vcc, 0, v1
	s_mov_b32 s5, 0x42b17218
	s_mov_b32 s7, 0x3fb8aa3b
	v_cndmask_b32_e32 v18, 1.0, v2, vcc
	v_frexp_mant_f32_e64 v2, |v18|
	v_cmp_gt_f32_e32 vcc, s4, v2
	s_mov_b32 s4, 0x3f317218
	s_brev_b32 s15, -2
	v_cndmask_b32_e64 v3, 1.0, 2.0, vcc
	v_mul_f32_e32 v2, v2, v3
	v_add_f32_e32 v5, 1.0, v2
	v_rcp_f32_e32 v10, v5
	v_add_f32_e32 v3, -1.0, v5
	v_sub_f32_e32 v7, v2, v3
	v_add_f32_e32 v3, -1.0, v2
	v_mul_f32_e32 v11, v3, v10
	v_mul_f32_e32 v4, v5, v11
	v_fma_f32 v6, v11, v5, -v4
	v_fmac_f32_e32 v6, v11, v7
	v_add_f32_e32 v2, v4, v6
	v_sub_f32_e32 v5, v3, v2
	v_pk_add_f32 v[8:9], v[2:3], v[4:5] neg_lo:[0,1] neg_hi:[0,1]
	v_mov_b32_e32 v7, v2
	v_pk_add_f32 v[2:3], v[8:9], v[6:7] neg_lo:[0,1] neg_hi:[0,1]
	v_mov_b32_e32 v6, 0x3e91f4c4
	v_add_f32_e32 v2, v2, v3
	v_add_f32_e32 v2, v5, v2
	v_mul_f32_e32 v3, v10, v2
	v_add_f32_e32 v2, v11, v3
	v_sub_f32_e32 v4, v2, v11
	v_sub_f32_e32 v12, v3, v4
	v_mul_f32_e32 v3, v2, v2
	v_fma_f32 v5, v2, v2, -v3
	v_add_f32_e32 v4, v12, v12
	v_fmac_f32_e32 v5, v2, v4
	v_add_f32_e32 v4, v3, v5
	v_fmac_f32_e32 v6, 0x3e76c4e1, v4
	v_fmaak_f32 v6, v4, v6, 0x3ecccdef
	v_sub_f32_e32 v3, v4, v3
	v_sub_f32_e32 v13, v5, v3
	v_mul_f32_e32 v3, v4, v6
	v_fma_f32 v5, v4, v6, -v3
	v_fmac_f32_e32 v5, v13, v6
	v_add_f32_e32 v6, v3, v5
	v_add_f32_e32 v7, 0x3f2aaaaa, v6
	v_sub_f32_e32 v3, v6, v3
	v_sub_f32_e32 v3, v5, v3
	v_add_f32_e32 v5, 0xbf2aaaaa, v7
	v_add_f32_e32 v3, 0x31739010, v3
	v_sub_f32_e32 v5, v6, v5
	v_pk_mul_f32 v[8:9], v[2:3], v[4:5]
	v_pk_add_f32 v[10:11], v[2:3], v[4:5]
	v_fma_f32 v6, v4, v2, -v8
	v_fmac_f32_e32 v6, v4, v12
	v_mov_b32_e32 v9, v11
	v_fmac_f32_e32 v6, v13, v2
	v_pk_add_f32 v[4:5], v[8:9], v[6:7]
	v_ldexp_f32 v14, v12, 1
	v_sub_f32_e32 v3, v4, v8
	v_sub_f32_e32 v3, v6, v3
	;; [unrolled: 1-line block ×3, first 2 shown]
	v_add_f32_e32 v9, v11, v6
	v_pk_mul_f32 v[6:7], v[4:5], v[4:5] op_sel:[0,1] op_sel_hi:[1,0]
	v_cvt_f64_f32_e64 v[10:11], |v18|
	v_frexp_exp_i32_f64_e32 v7, v[10:11]
	v_subbrev_co_u32_e32 v7, vcc, 0, v7, vcc
	v_cvt_f32_i32_e32 v7, v7
	v_fma_f32 v8, v4, v5, -v6
	v_fmac_f32_e32 v8, v4, v9
	v_fmac_f32_e32 v8, v3, v5
	v_mul_f32_e32 v4, 0x3f317218, v7
	v_fma_f32 v3, v7, s4, -v4
	v_fmamk_f32 v10, v7, 0xb102e308, v3
	v_ldexp_f32 v11, v2, 1
	v_add_f32_e32 v5, v6, v8
	v_pk_add_f32 v[2:3], v[4:5], v[10:11]
	v_mov_b32_e32 v12, v5
	v_mov_b32_e32 v13, v3
	;; [unrolled: 1-line block ×3, first 2 shown]
	v_pk_add_f32 v[6:7], v[12:13], v[6:7] neg_lo:[0,1] neg_hi:[0,1]
	v_mov_b32_e32 v9, v5
	v_pk_add_f32 v[6:7], v[8:9], v[6:7] neg_lo:[0,1] neg_hi:[0,1]
	v_mov_b32_e32 v11, v2
	v_add_f32_e32 v5, v14, v6
	v_add_f32_e32 v5, v5, v7
	v_pk_add_f32 v[6:7], v[2:3], v[4:5] neg_lo:[0,1] neg_hi:[0,1]
	v_pk_add_f32 v[8:9], v[2:3], v[4:5]
	v_mov_b32_e32 v16, v3
	v_mov_b32_e32 v7, v9
	v_pk_add_f32 v[12:13], v[10:11], v[6:7] neg_lo:[0,1] neg_hi:[0,1]
	v_pk_add_f32 v[6:7], v[10:11], v[6:7]
	v_mov_b32_e32 v4, v5
	v_pk_add_f32 v[10:11], v[6:7], v[2:3] op_sel:[1,0] op_sel_hi:[0,1] neg_lo:[0,1] neg_hi:[0,1]
	v_pk_add_f32 v[14:15], v[8:9], v[10:11] op_sel_hi:[1,0] neg_lo:[0,1] neg_hi:[0,1]
	v_mov_b32_e32 v8, v9
	v_mov_b32_e32 v9, v7
	;; [unrolled: 1-line block ×3, first 2 shown]
	v_pk_add_f32 v[8:9], v[8:9], v[16:17] neg_lo:[0,1] neg_hi:[0,1]
	v_mov_b32_e32 v5, v2
	v_pk_add_f32 v[2:3], v[4:5], v[8:9] neg_lo:[0,1] neg_hi:[0,1]
	v_mov_b32_e32 v14, v12
	v_pk_add_f32 v[4:5], v[14:15], v[2:3]
	v_mov_b32_e32 v13, v7
	v_pk_add_f32 v[8:9], v[4:5], v[4:5] op_sel:[0,1] op_sel_hi:[1,0]
	s_mov_b32 s4, 0x7f800000
	v_pk_add_f32 v[6:7], v[6:7], v[8:9] op_sel:[1,0] op_sel_hi:[0,1]
	v_mov_b32_e32 v5, v6
	v_pk_add_f32 v[10:11], v[4:5], v[12:13] neg_lo:[0,1] neg_hi:[0,1]
	v_mov_b32_e32 v3, v8
	v_sub_f32_e32 v4, v4, v10
	v_pk_add_f32 v[2:3], v[2:3], v[10:11] neg_lo:[0,1] neg_hi:[0,1]
	v_sub_f32_e32 v4, v12, v4
	v_add_f32_e32 v2, v2, v4
	v_add_f32_e32 v2, v2, v3
	;; [unrolled: 1-line block ×3, first 2 shown]
	v_sub_f32_e32 v4, v3, v6
	v_sub_f32_e32 v2, v2, v4
	v_mul_f32_e32 v4, v1, v3
	v_fma_f32 v3, v1, v3, -v4
	v_fmac_f32_e32 v3, v1, v2
	v_add_f32_e32 v2, v4, v3
	v_cmp_class_f32_e64 vcc, v4, s6
	v_sub_f32_e32 v5, v2, v4
	v_sub_f32_e32 v3, v3, v5
	v_cndmask_b32_e32 v2, v2, v4, vcc
	v_mov_b32_e32 v4, 0x37000000
	v_cmp_eq_f32_e32 vcc, s5, v2
	v_cmp_class_f32_e64 s[30:31], v18, s6
	s_nop 0
	v_cndmask_b32_e32 v4, 0, v4, vcc
	v_sub_f32_e32 v5, v2, v4
	v_mul_f32_e32 v6, 0x3fb8aa3b, v5
	v_fma_f32 v7, v5, s7, -v6
	v_rndne_f32_e32 v8, v6
	v_fmamk_f32 v7, v5, 0x32a5705f, v7
	v_sub_f32_e32 v6, v6, v8
	v_add_f32_e32 v6, v6, v7
	v_exp_f32_e32 v6, v6
	v_cvt_i32_f32_e32 v7, v8
	v_cmp_neq_f32_e64 vcc, |v2|, s4
	s_mov_b32 s4, 0xc2ce8ed0
	s_nop 0
	v_cndmask_b32_e32 v2, 0, v3, vcc
	v_ldexp_f32 v3, v6, v7
	v_cmp_ngt_f32_e32 vcc, s4, v5
	v_add_f32_e32 v2, v4, v2
	v_mov_b32_e32 v4, 0x7f800000
	v_cndmask_b32_e32 v3, 0, v3, vcc
	v_cmp_nlt_f32_e32 vcc, s5, v5
	v_mov_b32_e32 v5, 0x7fc00000
	s_nop 0
	v_cndmask_b32_e32 v3, v4, v3, vcc
	v_fma_f32 v2, v3, v2, v3
	v_cmp_class_f32_e64 vcc, v3, s6
	v_cmp_gt_f32_e64 s[6:7], 0, v1
	s_nop 0
	v_cndmask_b32_e32 v2, v2, v3, vcc
	v_trunc_f32_e32 v3, v1
	v_cmp_eq_f32_e32 vcc, v3, v1
	v_mul_f32_e32 v3, 0.5, v1
	v_trunc_f32_e32 v6, v3
	v_cmp_neq_f32_e64 s[4:5], v6, v3
	s_and_b64 s[4:5], vcc, s[4:5]
	s_nop 0
	v_cndmask_b32_e64 v3, 1.0, v18, s[4:5]
	v_bfi_b32 v2, s15, v2, v3
	v_cndmask_b32_e32 v3, v5, v2, vcc
	v_cmp_gt_f32_e32 vcc, 0, v18
	s_nop 1
	v_cndmask_b32_e32 v2, v2, v3, vcc
	v_cmp_eq_f32_e32 vcc, 0, v18
	s_xor_b64 s[6:7], s[6:7], vcc
	v_cndmask_b32_e64 v1, v4, 0, s[6:7]
	v_cndmask_b32_e64 v3, 0, v18, s[4:5]
	v_bfi_b32 v1, s15, v1, v3
	s_or_b64 vcc, vcc, s[30:31]
	v_cndmask_b32_e32 v1, v2, v1, vcc
	v_cmp_o_f32_e32 vcc, v18, v18
	s_nop 1
	v_cndmask_b32_e32 v66, v5, v1, vcc
.LBB52_5:
	s_load_dwordx4 s[44:47], s[0:1], 0x70
	v_bfe_u32 v84, v0, 10, 10
	s_lshl_b32 s29, s2, 6
	v_lshlrev_b32_e32 v61, 3, v84
	s_ashr_i32 s35, s34, 31
	s_waitcnt lgkmcnt(0)
	s_mul_i32 s4, s33, s46
	s_ashr_i32 s6, s41, 31
	s_ashr_i32 s7, s4, 31
	v_add_u32_e32 v63, s29, v61
	s_mul_i32 s5, s34, s45
	s_add_u32 s4, s8, s4
	v_and_b32_e32 v40, 0x3ff, v0
	v_mul_hi_u32 v0, v63, s24
	s_addc_u32 s7, s9, s7
	s_ashr_i32 s9, s5, 31
	v_add_u32_e32 v0, v63, v0
	v_or_b32_e32 v60, 1, v61
	s_add_u32 s8, s4, s5
	v_lshrrev_b32_e32 v0, s25, v0
	v_add_u32_e32 v62, s29, v60
	s_addc_u32 s9, s7, s9
	s_ashr_i32 s45, s44, 31
	v_mul_lo_u32 v0, v0, s26
	v_mul_hi_u32 v1, v62, s24
	s_lshr_b64 s[4:5], s[44:45], 2
	v_lshlrev_b32_e32 v22, 3, v40
	v_mov_b32_e32 v23, 0
	v_sub_u32_e32 v0, v63, v0
	v_add_u32_e32 v1, v62, v1
	v_lshl_add_u64 v[2:3], s[8:9], 0, v[22:23]
	v_mad_u64_u32 v[4:5], s[8:9], s4, v0, 0
	v_lshrrev_b32_e32 v1, s25, v1
	v_mov_b32_e32 v6, v5
	s_lshr_b32 s7, s45, 2
	v_mul_lo_u32 v1, v1, s26
	v_mad_u64_u32 v[6:7], s[8:9], s7, v0, v[6:7]
	v_sub_u32_e32 v1, v62, v1
	v_mov_b32_e32 v5, v6
	v_mad_u64_u32 v[6:7], s[8:9], s4, v1, 0
	v_or_b32_e32 v58, 2, v61
	v_mov_b32_e32 v8, v7
	v_add_u32_e32 v59, s29, v58
	v_mad_u64_u32 v[8:9], s[8:9], s7, v1, v[8:9]
	v_mul_hi_u32 v1, v59, s24
	v_add_u32_e32 v1, v59, v1
	v_lshrrev_b32_e32 v1, s25, v1
	v_mul_lo_u32 v1, v1, s26
	v_sub_u32_e32 v1, v59, v1
	v_mov_b32_e32 v7, v8
	v_mad_u64_u32 v[8:9], s[8:9], s4, v1, 0
	v_or_b32_e32 v56, 3, v61
	v_mov_b32_e32 v10, v9
	v_add_u32_e32 v57, s29, v56
	v_mad_u64_u32 v[10:11], s[8:9], s7, v1, v[10:11]
	v_mul_hi_u32 v1, v57, s24
	v_add_u32_e32 v1, v57, v1
	v_lshrrev_b32_e32 v1, s25, v1
	v_mul_lo_u32 v1, v1, s26
	;; [unrolled: 11-line block ×3, first 2 shown]
	v_lshl_add_u64 v[4:5], v[4:5], 2, v[2:3]
	v_mov_b32_e32 v11, v12
	v_sub_u32_e32 v1, v55, v1
	v_lshl_add_u64 v[6:7], v[6:7], 2, v[2:3]
	v_lshl_add_u64 v[8:9], v[8:9], 2, v[2:3]
	;; [unrolled: 1-line block ×3, first 2 shown]
	global_load_dwordx2 v[12:13], v[4:5], off
	global_load_dwordx2 v[14:15], v[6:7], off
	;; [unrolled: 1-line block ×4, first 2 shown]
	v_mad_u64_u32 v[4:5], s[8:9], s4, v1, 0
	v_or_b32_e32 v52, 5, v61
	v_mov_b32_e32 v6, v5
	v_add_u32_e32 v53, s29, v52
	v_mad_u64_u32 v[6:7], s[8:9], s7, v1, v[6:7]
	v_mul_hi_u32 v1, v53, s24
	v_add_u32_e32 v1, v53, v1
	v_lshrrev_b32_e32 v1, s25, v1
	v_mul_lo_u32 v1, v1, s26
	v_sub_u32_e32 v1, v53, v1
	v_mov_b32_e32 v5, v6
	v_mad_u64_u32 v[6:7], s[8:9], s4, v1, 0
	v_or_b32_e32 v50, 6, v61
	v_mov_b32_e32 v8, v7
	v_add_u32_e32 v51, s29, v50
	v_mad_u64_u32 v[8:9], s[8:9], s7, v1, v[8:9]
	v_mul_hi_u32 v1, v51, s24
	v_add_u32_e32 v1, v51, v1
	v_lshrrev_b32_e32 v1, s25, v1
	v_mul_lo_u32 v1, v1, s26
	v_sub_u32_e32 v1, v51, v1
	v_mov_b32_e32 v7, v8
	v_mad_u64_u32 v[8:9], s[8:9], s4, v1, 0
	v_or_b32_e32 v48, 7, v61
	v_mov_b32_e32 v10, v9
	v_add_u32_e32 v49, s29, v48
	v_mad_u64_u32 v[10:11], s[8:9], s7, v1, v[10:11]
	v_mul_hi_u32 v1, v49, s24
	v_add_u32_e32 v1, v49, v1
	v_lshrrev_b32_e32 v1, s25, v1
	v_mul_lo_u32 v1, v1, s26
	v_lshl_add_u64 v[4:5], v[4:5], 2, v[2:3]
	v_lshl_add_u64 v[6:7], v[6:7], 2, v[2:3]
	v_mov_b32_e32 v9, v10
	v_sub_u32_e32 v1, v49, v1
	global_load_dwordx2 v[4:5], v[4:5], off
	v_lshl_add_u64 v[8:9], v[8:9], 2, v[2:3]
	global_load_dwordx2 v[10:11], v[6:7], off
	global_load_dwordx2 v[20:21], v[8:9], off
	v_mad_u64_u32 v[6:7], s[4:5], s4, v1, 0
	v_mov_b32_e32 v8, v7
	v_mad_u64_u32 v[8:9], s[4:5], s7, v1, v[8:9]
	v_mov_b32_e32 v7, v8
	v_lshl_add_u64 v[2:3], v[6:7], 2, v[2:3]
	global_load_dwordx2 v[2:3], v[2:3], off
	v_mov_b32_e32 v1, 0x4400
	v_lshl_add_u32 v1, v40, 2, v1
	v_lshlrev_b32_e32 v64, 10, v84
	v_add_u32_e32 v6, v1, v64
	s_cmp_eq_u64 s[18:19], 0
	s_waitcnt vmcnt(7)
	v_fma_mixlo_f16 v8, s28, v13, 0
	v_fma_mixlo_f16 v7, s28, v12, 0
	v_lshlrev_b32_e32 v8, 16, v8
	v_or_b32_sdwa v7, v8, v7 dst_sel:DWORD dst_unused:UNUSED_PAD src0_sel:DWORD src1_sel:WORD_0
	s_waitcnt vmcnt(6)
	v_fma_mixlo_f16 v8, s28, v15, 0
	ds_write_b32 v6, v7
	v_fma_mixlo_f16 v7, s28, v14, 0
	v_lshlrev_b32_e32 v8, 16, v8
	v_lshl_add_u32 v6, v60, 7, v1
	v_or_b32_sdwa v7, v8, v7 dst_sel:DWORD dst_unused:UNUSED_PAD src0_sel:DWORD src1_sel:WORD_0
	s_waitcnt vmcnt(5)
	v_fma_mixlo_f16 v8, s28, v17, 0
	ds_write_b32 v6, v7
	v_fma_mixlo_f16 v7, s28, v16, 0
	v_lshlrev_b32_e32 v8, 16, v8
	v_lshl_add_u32 v6, v58, 7, v1
	;; [unrolled: 7-line block ×3, first 2 shown]
	v_or_b32_sdwa v7, v8, v7 dst_sel:DWORD dst_unused:UNUSED_PAD src0_sel:DWORD src1_sel:WORD_0
	ds_write_b32 v6, v7
	v_lshl_add_u32 v6, v54, 7, v1
	s_waitcnt vmcnt(3)
	v_fma_mixlo_f16 v5, s28, v5, 0
	v_fma_mixlo_f16 v4, s28, v4, 0
	v_lshlrev_b32_e32 v5, 16, v5
	v_or_b32_sdwa v4, v5, v4 dst_sel:DWORD dst_unused:UNUSED_PAD src0_sel:DWORD src1_sel:WORD_0
	ds_write_b32 v6, v4
	s_waitcnt vmcnt(2)
	v_fma_mixlo_f16 v6, s28, v11, 0
	v_fma_mixlo_f16 v5, s28, v10, 0
	v_lshlrev_b32_e32 v6, 16, v6
	v_lshl_add_u32 v4, v52, 7, v1
	v_or_b32_sdwa v5, v6, v5 dst_sel:DWORD dst_unused:UNUSED_PAD src0_sel:DWORD src1_sel:WORD_0
	s_waitcnt vmcnt(1)
	v_fma_mixlo_f16 v6, s28, v21, 0
	s_waitcnt vmcnt(0)
	v_fma_mixlo_f16 v3, s28, v3, 0
	ds_write_b32 v4, v5
	v_fma_mixlo_f16 v5, s28, v20, 0
	v_lshlrev_b32_e32 v6, 16, v6
	v_fma_mixlo_f16 v2, s28, v2, 0
	v_lshlrev_b32_e32 v3, 16, v3
	v_lshl_add_u32 v4, v50, 7, v1
	v_or_b32_sdwa v5, v6, v5 dst_sel:DWORD dst_unused:UNUSED_PAD src0_sel:DWORD src1_sel:WORD_0
	v_lshl_add_u32 v1, v48, 7, v1
	v_or_b32_sdwa v2, v3, v2 dst_sel:DWORD dst_unused:UNUSED_PAD src0_sel:DWORD src1_sel:WORD_0
	ds_write_b32 v4, v5
	ds_write_b32 v1, v2
	s_waitcnt lgkmcnt(0)
	s_barrier
	s_cbranch_scc1 .LBB52_7
; %bb.6:
	s_load_dword s4, s[0:1], 0xd0
	s_mov_b32 s5, 0
	s_waitcnt lgkmcnt(0)
	s_mul_i32 s4, s4, s33
	s_add_i32 s4, s4, s2
	s_lshl_b64 s[4:5], s[4:5], 2
	s_add_u32 s4, s18, s4
	s_addc_u32 s5, s19, s5
	s_load_dword s36, s[4:5], 0x0
.LBB52_7:
	s_nop 0
	s_load_dwordx2 s[4:5], s[0:1], 0x8c
	s_load_dwordx4 s[44:47], s[0:1], 0x98
	s_load_dwordx2 s[18:19], s[0:1], 0xa8
	s_ashr_i32 s30, s39, 1
	v_mul_lo_u32 v41, v0, s30
	s_waitcnt lgkmcnt(0)
	s_ashr_i32 s8, s4, 2
	s_ashr_i32 s4, s33, 31
	s_mul_hi_u32 s7, s44, s33
	s_mul_i32 s9, s44, s4
	s_add_i32 s7, s7, s9
	s_mul_i32 s9, s45, s33
	s_ashr_i32 s2, s46, 2
	s_add_i32 s7, s7, s9
	s_mul_i32 s9, s44, s33
	s_add_u32 s9, s10, s9
	s_mul_i32 s10, s14, s37
	s_addc_u32 s7, s11, s7
	s_sub_i32 s10, s40, s10
	s_xor_b32 s6, s35, s6
	s_add_i32 s11, s14, 1
	s_sub_i32 s15, s10, s37
	s_cmp_ge_u32 s10, s37
	s_cselect_b32 s11, s11, s14
	s_cselect_b32 s10, s15, s10
	s_add_i32 s14, s11, 1
	s_cmp_ge_u32 s10, s37
	s_cselect_b32 s10, s14, s11
	s_xor_b32 s10, s10, s6
	s_sub_i32 s6, s10, s6
	s_mul_i32 s5, s6, s5
	s_ashr_i32 s10, s5, 31
	s_add_u32 s9, s9, s5
	s_mul_hi_u32 s5, s18, s33
	s_mul_i32 s4, s18, s4
	s_addc_u32 s10, s7, s10
	s_add_i32 s4, s5, s4
	s_mul_i32 s5, s19, s33
	s_add_i32 s4, s4, s5
	s_mul_i32 s5, s18, s33
	s_add_u32 s5, s12, s5
	s_mul_i32 s6, s6, s47
	s_addc_u32 s4, s13, s4
	s_ashr_i32 s7, s6, 31
	s_add_u32 s18, s5, s6
	s_addc_u32 s19, s4, s7
	s_lshl_b32 s28, s3, 6
	s_sub_i32 s11, s36, 64
	s_cmp_ge_i32 s28, s11
	v_lshrrev_b32_e32 v85, 3, v40
	v_lshlrev_b32_e32 v65, 2, v40
	v_cmp_ne_u64_e32 vcc, 0, v[42:43]
	v_or_b32_e32 v81, 1, v63
	v_or_b32_e32 v79, 2, v63
	;; [unrolled: 1-line block ×7, first 2 shown]
	v_mbcnt_lo_u32_b32 v82, -1, 0
	s_cbranch_scc1 .LBB52_44
; %bb.8:
	v_mul_hi_u32 v3, s24, v81
	v_add_u32_e32 v3, v81, v3
	v_lshrrev_b32_e32 v3, s25, v3
	v_mul_lo_u32 v3, v3, s26
	v_sub_u32_e32 v3, v81, v3
	v_mul_lo_u32 v89, v3, s30
	v_mul_hi_u32 v3, s24, v79
	v_add_u32_e32 v3, v79, v3
	v_lshrrev_b32_e32 v3, s25, v3
	v_mul_lo_u32 v3, v3, s26
	v_sub_u32_e32 v3, v79, v3
	v_mul_lo_u32 v90, v3, s30
	;; [unrolled: 6-line block ×6, first 2 shown]
	v_mul_hi_u32 v3, s24, v70
	v_add_u32_e32 v3, v70, v3
	v_lshrrev_b32_e32 v3, s25, v3
	v_lshl_add_u32 v1, v84, 2, v85
	v_and_b32_e32 v0, 28, v65
	v_mul_lo_u32 v3, v3, s26
	v_lshlrev_b32_e32 v2, 2, v0
	s_movk_i32 s4, 0x90
	v_mul_lo_u32 v10, s8, v1
	v_sub_u32_e32 v3, v70, v3
	v_mul_lo_u32 v14, s2, v1
	v_mov_b32_e32 v9, 0
	v_mad_u32_u24 v83, v1, s4, v2
	v_lshl_add_u32 v12, s8, 5, v10
	v_mul_lo_u32 v95, v3, s30
	v_add_u32_e32 v96, 0x2400, v64
	v_lshlrev_b32_e32 v3, 4, v40
	v_lshl_or_b32 v97, v1, 7, v2
	v_lshl_add_u32 v32, s2, 5, v14
	s_add_u32 s6, s0, 0xd0
	v_lshlrev_b32_e32 v8, 2, v0
	v_cndmask_b32_e64 v0, 0, 1, vcc
	v_ashrrev_i32_e32 v11, 31, v10
	v_add_u32_e32 v86, 0x1200, v83
	v_ashrrev_i32_e32 v13, 31, v12
	v_add_u32_e32 v87, 0x4400, v64
	v_mul_u32_u24_e32 v88, 0x90, v40
	v_ashrrev_i32_e32 v15, 31, v14
	v_add_u32_e32 v98, 0x1000, v97
	v_ashrrev_i32_e32 v33, 31, v32
	s_addc_u32 s7, s1, 0
	v_mov_b32_e32 v37, 0xfeffffff
	s_mov_b32 s12, 0x3fb8aa3b
	s_mov_b32 s13, 0xc2ce8ed0
	;; [unrolled: 1-line block ×4, first 2 shown]
	v_add_u32_e32 v99, v96, v3
	v_cmp_ne_u32_e64 s[4:5], 1, v0
	v_mbcnt_hi_u32_b32 v100, -1, v82
	v_mov_b32_e32 v101, 0x7f800000
	v_mov_b32_e32 v67, v9
	;; [unrolled: 1-line block ×24, first 2 shown]
.LBB52_9:                               ; =>This Inner Loop Header: Depth=1
	s_mul_hi_i32 s39, s28, s8
	s_mul_i32 s38, s28, s8
	s_lshl_b64 s[38:39], s[38:39], 2
	s_add_u32 s38, s9, s38
	s_addc_u32 s39, s10, s39
	v_lshl_add_u64 v[0:1], v[10:11], 2, s[38:39]
	v_lshl_add_u64 v[24:25], v[0:1], 0, v[8:9]
	;; [unrolled: 1-line block ×4, first 2 shown]
	global_load_dwordx4 v[0:3], v[24:25], off
	global_load_dwordx4 v[4:7], v[26:27], off
	v_mov_b32_e32 v104, 0
	v_mov_b32_e32 v45, 0
	;; [unrolled: 1-line block ×16, first 2 shown]
	s_and_b64 vcc, exec, s[4:5]
	s_waitcnt vmcnt(1)
	ds_write_b128 v83, v[0:3]
	s_waitcnt vmcnt(0)
	ds_write_b128 v86, v[4:7]
	s_waitcnt lgkmcnt(0)
	s_barrier
	ds_read_b128 v[0:3], v88
	ds_read_b128 v[4:7], v88 offset:4608
	ds_read_b128 v[108:111], v87
	ds_read_b128 v[112:115], v87 offset:128
	ds_read_b128 v[116:119], v87 offset:256
	;; [unrolled: 1-line block ×7, first 2 shown]
	s_waitcnt lgkmcnt(7)
	;;#ASMSTART
	v_dot2_f32_f16 v104, v0, v108, v104
	;;#ASMEND
	s_nop 0
	;;#ASMSTART
	v_dot2_f32_f16 v104, v1, v109, v104
	;;#ASMEND
	s_nop 0
	;;#ASMSTART
	v_dot2_f32_f16 v104, v2, v110, v104
	;;#ASMEND
	s_nop 0
	;;#ASMSTART
	v_dot2_f32_f16 v104, v3, v111, v104
	;;#ASMEND
	s_waitcnt lgkmcnt(6)
	;;#ASMSTART
	v_dot2_f32_f16 v45, v0, v112, v45
	;;#ASMEND
	s_nop 0
	;;#ASMSTART
	v_dot2_f32_f16 v45, v1, v113, v45
	;;#ASMEND
	s_nop 0
	;;#ASMSTART
	v_dot2_f32_f16 v45, v2, v114, v45
	;;#ASMEND
	s_nop 0
	;;#ASMSTART
	v_dot2_f32_f16 v45, v3, v115, v45
	;;#ASMEND
	;; [unrolled: 16-line block ×8, first 2 shown]
	;;#ASMSTART
	v_dot2_f32_f16 v107, v4, v108, v107
	;;#ASMEND
	s_nop 0
	;;#ASMSTART
	v_dot2_f32_f16 v107, v5, v109, v107
	;;#ASMEND
	s_nop 0
	;;#ASMSTART
	v_dot2_f32_f16 v107, v6, v110, v107
	;;#ASMEND
	s_nop 0
	;;#ASMSTART
	v_dot2_f32_f16 v107, v7, v111, v107
	;;#ASMEND
	;;#ASMSTART
	v_dot2_f32_f16 v106, v4, v112, v106
	;;#ASMEND
	s_nop 0
	;;#ASMSTART
	v_dot2_f32_f16 v106, v5, v113, v106
	;;#ASMEND
	s_nop 0
	;;#ASMSTART
	v_dot2_f32_f16 v106, v6, v114, v106
	;;#ASMEND
	s_nop 0
	;;#ASMSTART
	v_dot2_f32_f16 v106, v7, v115, v106
	;;#ASMEND
	;; [unrolled: 15-line block ×8, first 2 shown]
	ds_read_b128 v[4:7], v88 offset:16
	ds_read_b128 v[0:3], v88 offset:4624
	;; [unrolled: 1-line block ×10, first 2 shown]
	s_waitcnt lgkmcnt(7)
	;;#ASMSTART
	v_dot2_f32_f16 v104, v4, v108, v104
	;;#ASMEND
	s_nop 0
	;;#ASMSTART
	v_dot2_f32_f16 v104, v5, v109, v104
	;;#ASMEND
	s_nop 0
	;;#ASMSTART
	v_dot2_f32_f16 v104, v6, v110, v104
	;;#ASMEND
	s_nop 0
	;;#ASMSTART
	v_dot2_f32_f16 v104, v7, v111, v104
	;;#ASMEND
	s_waitcnt lgkmcnt(6)
	;;#ASMSTART
	v_dot2_f32_f16 v45, v4, v112, v45
	;;#ASMEND
	s_nop 0
	;;#ASMSTART
	v_dot2_f32_f16 v45, v5, v113, v45
	;;#ASMEND
	s_nop 0
	;;#ASMSTART
	v_dot2_f32_f16 v45, v6, v114, v45
	;;#ASMEND
	s_nop 0
	;;#ASMSTART
	v_dot2_f32_f16 v45, v7, v115, v45
	;;#ASMEND
	s_waitcnt lgkmcnt(5)
	;;#ASMSTART
	v_dot2_f32_f16 v31, v4, v116, v31
	;;#ASMEND
	s_nop 0
	;;#ASMSTART
	v_dot2_f32_f16 v31, v5, v117, v31
	;;#ASMEND
	s_nop 0
	;;#ASMSTART
	v_dot2_f32_f16 v31, v6, v118, v31
	;;#ASMEND
	s_nop 0
	;;#ASMSTART
	v_dot2_f32_f16 v31, v7, v119, v31
	;;#ASMEND
	s_waitcnt lgkmcnt(4)
	;;#ASMSTART
	v_dot2_f32_f16 v30, v4, v120, v30
	;;#ASMEND
	s_nop 0
	;;#ASMSTART
	v_dot2_f32_f16 v30, v5, v121, v30
	;;#ASMEND
	s_nop 0
	;;#ASMSTART
	v_dot2_f32_f16 v30, v6, v122, v30
	;;#ASMEND
	s_nop 0
	;;#ASMSTART
	v_dot2_f32_f16 v30, v7, v123, v30
	;;#ASMEND
	s_waitcnt lgkmcnt(3)
	;;#ASMSTART
	v_dot2_f32_f16 v28, v4, v124, v28
	;;#ASMEND
	s_nop 0
	;;#ASMSTART
	v_dot2_f32_f16 v28, v5, v125, v28
	;;#ASMEND
	s_nop 0
	;;#ASMSTART
	v_dot2_f32_f16 v28, v6, v126, v28
	;;#ASMEND
	s_nop 0
	;;#ASMSTART
	v_dot2_f32_f16 v28, v7, v127, v28
	;;#ASMEND
	s_waitcnt lgkmcnt(2)
	;;#ASMSTART
	v_dot2_f32_f16 v26, v4, v128, v26
	;;#ASMEND
	s_nop 0
	;;#ASMSTART
	v_dot2_f32_f16 v26, v5, v129, v26
	;;#ASMEND
	s_nop 0
	;;#ASMSTART
	v_dot2_f32_f16 v26, v6, v130, v26
	;;#ASMEND
	s_nop 0
	;;#ASMSTART
	v_dot2_f32_f16 v26, v7, v131, v26
	;;#ASMEND
	s_waitcnt lgkmcnt(1)
	;;#ASMSTART
	v_dot2_f32_f16 v25, v4, v132, v25
	;;#ASMEND
	s_nop 0
	;;#ASMSTART
	v_dot2_f32_f16 v25, v5, v133, v25
	;;#ASMEND
	s_nop 0
	;;#ASMSTART
	v_dot2_f32_f16 v25, v6, v134, v25
	;;#ASMEND
	s_nop 0
	;;#ASMSTART
	v_dot2_f32_f16 v25, v7, v135, v25
	;;#ASMEND
	s_waitcnt lgkmcnt(0)
	;;#ASMSTART
	v_dot2_f32_f16 v24, v4, v136, v24
	;;#ASMEND
	s_nop 0
	;;#ASMSTART
	v_dot2_f32_f16 v24, v5, v137, v24
	;;#ASMEND
	s_nop 0
	;;#ASMSTART
	v_dot2_f32_f16 v24, v6, v138, v24
	;;#ASMEND
	s_nop 0
	;;#ASMSTART
	v_dot2_f32_f16 v24, v7, v139, v24
	;;#ASMEND
	;;#ASMSTART
	v_dot2_f32_f16 v107, v0, v108, v107
	;;#ASMEND
	s_nop 0
	;;#ASMSTART
	v_dot2_f32_f16 v107, v1, v109, v107
	;;#ASMEND
	s_nop 0
	;;#ASMSTART
	v_dot2_f32_f16 v107, v2, v110, v107
	;;#ASMEND
	s_nop 0
	;;#ASMSTART
	v_dot2_f32_f16 v107, v3, v111, v107
	;;#ASMEND
	;;#ASMSTART
	v_dot2_f32_f16 v106, v0, v112, v106
	;;#ASMEND
	s_nop 0
	;;#ASMSTART
	v_dot2_f32_f16 v106, v1, v113, v106
	;;#ASMEND
	s_nop 0
	;;#ASMSTART
	v_dot2_f32_f16 v106, v2, v114, v106
	;;#ASMEND
	s_nop 0
	;;#ASMSTART
	v_dot2_f32_f16 v106, v3, v115, v106
	;;#ASMEND
	;; [unrolled: 15-line block ×8, first 2 shown]
	ds_read_b128 v[4:7], v88 offset:32
	ds_read_b128 v[0:3], v88 offset:4640
	;; [unrolled: 1-line block ×10, first 2 shown]
	s_waitcnt lgkmcnt(7)
	;;#ASMSTART
	v_dot2_f32_f16 v104, v4, v108, v104
	;;#ASMEND
	s_nop 0
	;;#ASMSTART
	v_dot2_f32_f16 v104, v5, v109, v104
	;;#ASMEND
	s_nop 0
	;;#ASMSTART
	v_dot2_f32_f16 v104, v6, v110, v104
	;;#ASMEND
	s_nop 0
	;;#ASMSTART
	v_dot2_f32_f16 v104, v7, v111, v104
	;;#ASMEND
	s_waitcnt lgkmcnt(6)
	;;#ASMSTART
	v_dot2_f32_f16 v45, v4, v112, v45
	;;#ASMEND
	s_nop 0
	;;#ASMSTART
	v_dot2_f32_f16 v45, v5, v113, v45
	;;#ASMEND
	s_nop 0
	;;#ASMSTART
	v_dot2_f32_f16 v45, v6, v114, v45
	;;#ASMEND
	s_nop 0
	;;#ASMSTART
	v_dot2_f32_f16 v45, v7, v115, v45
	;;#ASMEND
	;; [unrolled: 16-line block ×8, first 2 shown]
	;;#ASMSTART
	v_dot2_f32_f16 v107, v0, v108, v107
	;;#ASMEND
	s_nop 0
	;;#ASMSTART
	v_dot2_f32_f16 v107, v1, v109, v107
	;;#ASMEND
	s_nop 0
	;;#ASMSTART
	v_dot2_f32_f16 v107, v2, v110, v107
	;;#ASMEND
	s_nop 0
	;;#ASMSTART
	v_dot2_f32_f16 v107, v3, v111, v107
	;;#ASMEND
	;;#ASMSTART
	v_dot2_f32_f16 v106, v0, v112, v106
	;;#ASMEND
	s_nop 0
	;;#ASMSTART
	v_dot2_f32_f16 v106, v1, v113, v106
	;;#ASMEND
	s_nop 0
	;;#ASMSTART
	v_dot2_f32_f16 v106, v2, v114, v106
	;;#ASMEND
	s_nop 0
	;;#ASMSTART
	v_dot2_f32_f16 v106, v3, v115, v106
	;;#ASMEND
	;; [unrolled: 15-line block ×8, first 2 shown]
	ds_read_b128 v[4:7], v88 offset:48
	ds_read_b128 v[0:3], v88 offset:4656
	;; [unrolled: 1-line block ×10, first 2 shown]
	s_waitcnt lgkmcnt(7)
	;;#ASMSTART
	v_dot2_f32_f16 v104, v4, v108, v104
	;;#ASMEND
	s_nop 0
	;;#ASMSTART
	v_dot2_f32_f16 v104, v5, v109, v104
	;;#ASMEND
	s_nop 0
	;;#ASMSTART
	v_dot2_f32_f16 v104, v6, v110, v104
	;;#ASMEND
	s_nop 0
	;;#ASMSTART
	v_dot2_f32_f16 v104, v7, v111, v104
	;;#ASMEND
	s_waitcnt lgkmcnt(6)
	;;#ASMSTART
	v_dot2_f32_f16 v45, v4, v112, v45
	;;#ASMEND
	s_nop 0
	;;#ASMSTART
	v_dot2_f32_f16 v45, v5, v113, v45
	;;#ASMEND
	s_nop 0
	;;#ASMSTART
	v_dot2_f32_f16 v45, v6, v114, v45
	;;#ASMEND
	s_nop 0
	;;#ASMSTART
	v_dot2_f32_f16 v45, v7, v115, v45
	;;#ASMEND
	;; [unrolled: 16-line block ×8, first 2 shown]
	;;#ASMSTART
	v_dot2_f32_f16 v107, v0, v108, v107
	;;#ASMEND
	s_nop 0
	;;#ASMSTART
	v_dot2_f32_f16 v107, v1, v109, v107
	;;#ASMEND
	s_nop 0
	;;#ASMSTART
	v_dot2_f32_f16 v107, v2, v110, v107
	;;#ASMEND
	s_nop 0
	;;#ASMSTART
	v_dot2_f32_f16 v107, v3, v111, v107
	;;#ASMEND
	;;#ASMSTART
	v_dot2_f32_f16 v106, v0, v112, v106
	;;#ASMEND
	s_nop 0
	;;#ASMSTART
	v_dot2_f32_f16 v106, v1, v113, v106
	;;#ASMEND
	s_nop 0
	;;#ASMSTART
	v_dot2_f32_f16 v106, v2, v114, v106
	;;#ASMEND
	s_nop 0
	;;#ASMSTART
	v_dot2_f32_f16 v106, v3, v115, v106
	;;#ASMEND
	;;#ASMSTART
	v_dot2_f32_f16 v105, v0, v116, v105
	;;#ASMEND
	s_nop 0
	;;#ASMSTART
	v_dot2_f32_f16 v105, v1, v117, v105
	;;#ASMEND
	s_nop 0
	;;#ASMSTART
	v_dot2_f32_f16 v105, v2, v118, v105
	;;#ASMEND
	s_nop 0
	;;#ASMSTART
	v_dot2_f32_f16 v105, v3, v119, v105
	;;#ASMEND
	;;#ASMSTART
	v_dot2_f32_f16 v47, v0, v120, v47
	;;#ASMEND
	s_nop 0
	;;#ASMSTART
	v_dot2_f32_f16 v47, v1, v121, v47
	;;#ASMEND
	s_nop 0
	;;#ASMSTART
	v_dot2_f32_f16 v47, v2, v122, v47
	;;#ASMEND
	s_nop 0
	;;#ASMSTART
	v_dot2_f32_f16 v47, v3, v123, v47
	;;#ASMEND
	;;#ASMSTART
	v_dot2_f32_f16 v46, v0, v124, v46
	;;#ASMEND
	s_nop 0
	;;#ASMSTART
	v_dot2_f32_f16 v46, v1, v125, v46
	;;#ASMEND
	s_nop 0
	;;#ASMSTART
	v_dot2_f32_f16 v46, v2, v126, v46
	;;#ASMEND
	s_nop 0
	;;#ASMSTART
	v_dot2_f32_f16 v46, v3, v127, v46
	;;#ASMEND
	;;#ASMSTART
	v_dot2_f32_f16 v44, v0, v128, v44
	;;#ASMEND
	s_nop 0
	;;#ASMSTART
	v_dot2_f32_f16 v44, v1, v129, v44
	;;#ASMEND
	s_nop 0
	;;#ASMSTART
	v_dot2_f32_f16 v44, v2, v130, v44
	;;#ASMEND
	s_nop 0
	;;#ASMSTART
	v_dot2_f32_f16 v44, v3, v131, v44
	;;#ASMEND
	;;#ASMSTART
	v_dot2_f32_f16 v29, v0, v132, v29
	;;#ASMEND
	s_nop 0
	;;#ASMSTART
	v_dot2_f32_f16 v29, v1, v133, v29
	;;#ASMEND
	s_nop 0
	;;#ASMSTART
	v_dot2_f32_f16 v29, v2, v134, v29
	;;#ASMEND
	s_nop 0
	;;#ASMSTART
	v_dot2_f32_f16 v29, v3, v135, v29
	;;#ASMEND
	;;#ASMSTART
	v_dot2_f32_f16 v27, v0, v136, v27
	;;#ASMEND
	s_nop 0
	;;#ASMSTART
	v_dot2_f32_f16 v27, v1, v137, v27
	;;#ASMEND
	s_nop 0
	;;#ASMSTART
	v_dot2_f32_f16 v27, v2, v138, v27
	;;#ASMEND
	s_nop 0
	;;#ASMSTART
	v_dot2_f32_f16 v27, v3, v139, v27
	;;#ASMEND
	ds_read_b128 v[4:7], v88 offset:64
	ds_read_b128 v[0:3], v88 offset:4672
	;; [unrolled: 1-line block ×10, first 2 shown]
	s_waitcnt lgkmcnt(7)
	;;#ASMSTART
	v_dot2_f32_f16 v104, v4, v108, v104
	;;#ASMEND
	s_nop 0
	;;#ASMSTART
	v_dot2_f32_f16 v104, v5, v109, v104
	;;#ASMEND
	s_nop 0
	;;#ASMSTART
	v_dot2_f32_f16 v104, v6, v110, v104
	;;#ASMEND
	s_nop 0
	;;#ASMSTART
	v_dot2_f32_f16 v104, v7, v111, v104
	;;#ASMEND
	s_waitcnt lgkmcnt(6)
	;;#ASMSTART
	v_dot2_f32_f16 v45, v4, v112, v45
	;;#ASMEND
	s_nop 0
	;;#ASMSTART
	v_dot2_f32_f16 v45, v5, v113, v45
	;;#ASMEND
	s_nop 0
	;;#ASMSTART
	v_dot2_f32_f16 v45, v6, v114, v45
	;;#ASMEND
	s_nop 0
	;;#ASMSTART
	v_dot2_f32_f16 v45, v7, v115, v45
	;;#ASMEND
	;; [unrolled: 16-line block ×8, first 2 shown]
	;;#ASMSTART
	v_dot2_f32_f16 v107, v0, v108, v107
	;;#ASMEND
	s_nop 0
	;;#ASMSTART
	v_dot2_f32_f16 v107, v1, v109, v107
	;;#ASMEND
	s_nop 0
	;;#ASMSTART
	v_dot2_f32_f16 v107, v2, v110, v107
	;;#ASMEND
	s_nop 0
	;;#ASMSTART
	v_dot2_f32_f16 v107, v3, v111, v107
	;;#ASMEND
	;;#ASMSTART
	v_dot2_f32_f16 v106, v0, v112, v106
	;;#ASMEND
	s_nop 0
	;;#ASMSTART
	v_dot2_f32_f16 v106, v1, v113, v106
	;;#ASMEND
	s_nop 0
	;;#ASMSTART
	v_dot2_f32_f16 v106, v2, v114, v106
	;;#ASMEND
	s_nop 0
	;;#ASMSTART
	v_dot2_f32_f16 v106, v3, v115, v106
	;;#ASMEND
	;; [unrolled: 15-line block ×8, first 2 shown]
	ds_read_b128 v[4:7], v88 offset:80
	ds_read_b128 v[0:3], v88 offset:4688
	;; [unrolled: 1-line block ×10, first 2 shown]
	s_waitcnt lgkmcnt(7)
	;;#ASMSTART
	v_dot2_f32_f16 v104, v4, v108, v104
	;;#ASMEND
	s_nop 0
	;;#ASMSTART
	v_dot2_f32_f16 v104, v5, v109, v104
	;;#ASMEND
	s_nop 0
	;;#ASMSTART
	v_dot2_f32_f16 v104, v6, v110, v104
	;;#ASMEND
	s_nop 0
	;;#ASMSTART
	v_dot2_f32_f16 v104, v7, v111, v104
	;;#ASMEND
	s_waitcnt lgkmcnt(6)
	;;#ASMSTART
	v_dot2_f32_f16 v45, v4, v112, v45
	;;#ASMEND
	s_nop 0
	;;#ASMSTART
	v_dot2_f32_f16 v45, v5, v113, v45
	;;#ASMEND
	s_nop 0
	;;#ASMSTART
	v_dot2_f32_f16 v45, v6, v114, v45
	;;#ASMEND
	s_nop 0
	;;#ASMSTART
	v_dot2_f32_f16 v45, v7, v115, v45
	;;#ASMEND
	;; [unrolled: 16-line block ×8, first 2 shown]
	;;#ASMSTART
	v_dot2_f32_f16 v107, v0, v108, v107
	;;#ASMEND
	s_nop 0
	;;#ASMSTART
	v_dot2_f32_f16 v107, v1, v109, v107
	;;#ASMEND
	s_nop 0
	;;#ASMSTART
	v_dot2_f32_f16 v107, v2, v110, v107
	;;#ASMEND
	s_nop 0
	;;#ASMSTART
	v_dot2_f32_f16 v107, v3, v111, v107
	;;#ASMEND
	;;#ASMSTART
	v_dot2_f32_f16 v106, v0, v112, v106
	;;#ASMEND
	s_nop 0
	;;#ASMSTART
	v_dot2_f32_f16 v106, v1, v113, v106
	;;#ASMEND
	s_nop 0
	;;#ASMSTART
	v_dot2_f32_f16 v106, v2, v114, v106
	;;#ASMEND
	s_nop 0
	;;#ASMSTART
	v_dot2_f32_f16 v106, v3, v115, v106
	;;#ASMEND
	;;#ASMSTART
	v_dot2_f32_f16 v105, v0, v116, v105
	;;#ASMEND
	s_nop 0
	;;#ASMSTART
	v_dot2_f32_f16 v105, v1, v117, v105
	;;#ASMEND
	s_nop 0
	;;#ASMSTART
	v_dot2_f32_f16 v105, v2, v118, v105
	;;#ASMEND
	s_nop 0
	;;#ASMSTART
	v_dot2_f32_f16 v105, v3, v119, v105
	;;#ASMEND
	;;#ASMSTART
	v_dot2_f32_f16 v47, v0, v120, v47
	;;#ASMEND
	s_nop 0
	;;#ASMSTART
	v_dot2_f32_f16 v47, v1, v121, v47
	;;#ASMEND
	s_nop 0
	;;#ASMSTART
	v_dot2_f32_f16 v47, v2, v122, v47
	;;#ASMEND
	s_nop 0
	;;#ASMSTART
	v_dot2_f32_f16 v47, v3, v123, v47
	;;#ASMEND
	;;#ASMSTART
	v_dot2_f32_f16 v46, v0, v124, v46
	;;#ASMEND
	s_nop 0
	;;#ASMSTART
	v_dot2_f32_f16 v46, v1, v125, v46
	;;#ASMEND
	s_nop 0
	;;#ASMSTART
	v_dot2_f32_f16 v46, v2, v126, v46
	;;#ASMEND
	s_nop 0
	;;#ASMSTART
	v_dot2_f32_f16 v46, v3, v127, v46
	;;#ASMEND
	;;#ASMSTART
	v_dot2_f32_f16 v44, v0, v128, v44
	;;#ASMEND
	s_nop 0
	;;#ASMSTART
	v_dot2_f32_f16 v44, v1, v129, v44
	;;#ASMEND
	s_nop 0
	;;#ASMSTART
	v_dot2_f32_f16 v44, v2, v130, v44
	;;#ASMEND
	s_nop 0
	;;#ASMSTART
	v_dot2_f32_f16 v44, v3, v131, v44
	;;#ASMEND
	;;#ASMSTART
	v_dot2_f32_f16 v29, v0, v132, v29
	;;#ASMEND
	s_nop 0
	;;#ASMSTART
	v_dot2_f32_f16 v29, v1, v133, v29
	;;#ASMEND
	s_nop 0
	;;#ASMSTART
	v_dot2_f32_f16 v29, v2, v134, v29
	;;#ASMEND
	s_nop 0
	;;#ASMSTART
	v_dot2_f32_f16 v29, v3, v135, v29
	;;#ASMEND
	;;#ASMSTART
	v_dot2_f32_f16 v27, v0, v136, v27
	;;#ASMEND
	s_nop 0
	;;#ASMSTART
	v_dot2_f32_f16 v27, v1, v137, v27
	;;#ASMEND
	s_nop 0
	;;#ASMSTART
	v_dot2_f32_f16 v27, v2, v138, v27
	;;#ASMEND
	s_nop 0
	;;#ASMSTART
	v_dot2_f32_f16 v27, v3, v139, v27
	;;#ASMEND
	ds_read_b128 v[4:7], v88 offset:96
	ds_read_b128 v[0:3], v88 offset:4704
	;; [unrolled: 1-line block ×10, first 2 shown]
	s_waitcnt lgkmcnt(7)
	;;#ASMSTART
	v_dot2_f32_f16 v104, v4, v108, v104
	;;#ASMEND
	s_nop 0
	;;#ASMSTART
	v_dot2_f32_f16 v104, v5, v109, v104
	;;#ASMEND
	s_nop 0
	;;#ASMSTART
	v_dot2_f32_f16 v104, v6, v110, v104
	;;#ASMEND
	s_nop 0
	;;#ASMSTART
	v_dot2_f32_f16 v104, v7, v111, v104
	;;#ASMEND
	s_waitcnt lgkmcnt(6)
	;;#ASMSTART
	v_dot2_f32_f16 v45, v4, v112, v45
	;;#ASMEND
	s_nop 0
	;;#ASMSTART
	v_dot2_f32_f16 v45, v5, v113, v45
	;;#ASMEND
	s_nop 0
	;;#ASMSTART
	v_dot2_f32_f16 v45, v6, v114, v45
	;;#ASMEND
	s_nop 0
	;;#ASMSTART
	v_dot2_f32_f16 v45, v7, v115, v45
	;;#ASMEND
	;; [unrolled: 16-line block ×8, first 2 shown]
	;;#ASMSTART
	v_dot2_f32_f16 v107, v0, v108, v107
	;;#ASMEND
	s_nop 0
	;;#ASMSTART
	v_dot2_f32_f16 v107, v1, v109, v107
	;;#ASMEND
	s_nop 0
	;;#ASMSTART
	v_dot2_f32_f16 v107, v2, v110, v107
	;;#ASMEND
	s_nop 0
	;;#ASMSTART
	v_dot2_f32_f16 v107, v3, v111, v107
	;;#ASMEND
	;;#ASMSTART
	v_dot2_f32_f16 v106, v0, v112, v106
	;;#ASMEND
	s_nop 0
	;;#ASMSTART
	v_dot2_f32_f16 v106, v1, v113, v106
	;;#ASMEND
	s_nop 0
	;;#ASMSTART
	v_dot2_f32_f16 v106, v2, v114, v106
	;;#ASMEND
	s_nop 0
	;;#ASMSTART
	v_dot2_f32_f16 v106, v3, v115, v106
	;;#ASMEND
	;; [unrolled: 15-line block ×8, first 2 shown]
	ds_read_b128 v[4:7], v88 offset:112
	ds_read_b128 v[0:3], v88 offset:4720
	;; [unrolled: 1-line block ×10, first 2 shown]
	s_waitcnt lgkmcnt(7)
	;;#ASMSTART
	v_dot2_f32_f16 v104, v4, v108, v104
	;;#ASMEND
	s_nop 0
	;;#ASMSTART
	v_dot2_f32_f16 v104, v5, v109, v104
	;;#ASMEND
	s_nop 0
	;;#ASMSTART
	v_dot2_f32_f16 v104, v6, v110, v104
	;;#ASMEND
	s_nop 0
	;;#ASMSTART
	v_dot2_f32_f16 v104, v7, v111, v104
	;;#ASMEND
	s_waitcnt lgkmcnt(6)
	;;#ASMSTART
	v_dot2_f32_f16 v45, v4, v112, v45
	;;#ASMEND
	s_nop 0
	;;#ASMSTART
	v_dot2_f32_f16 v45, v5, v113, v45
	;;#ASMEND
	s_nop 0
	;;#ASMSTART
	v_dot2_f32_f16 v45, v6, v114, v45
	;;#ASMEND
	s_nop 0
	;;#ASMSTART
	v_dot2_f32_f16 v45, v7, v115, v45
	;;#ASMEND
	;; [unrolled: 16-line block ×8, first 2 shown]
	;;#ASMSTART
	v_dot2_f32_f16 v107, v0, v108, v107
	;;#ASMEND
	s_nop 0
	;;#ASMSTART
	v_dot2_f32_f16 v107, v1, v109, v107
	;;#ASMEND
	s_nop 0
	;; [unrolled: 4-line block ×3, first 2 shown]
	;;#ASMSTART
	v_dot2_f32_f16 v107, v3, v111, v107
	;;#ASMEND
	;;#ASMSTART
	v_dot2_f32_f16 v106, v0, v112, v106
	;;#ASMEND
	s_nop 0
	;;#ASMSTART
	v_dot2_f32_f16 v106, v1, v113, v106
	;;#ASMEND
	s_nop 0
	;; [unrolled: 4-line block ×3, first 2 shown]
	;;#ASMSTART
	v_dot2_f32_f16 v106, v3, v115, v106
	;;#ASMEND
	;;#ASMSTART
	v_dot2_f32_f16 v105, v0, v116, v105
	;;#ASMEND
	s_nop 0
	;;#ASMSTART
	v_dot2_f32_f16 v105, v1, v117, v105
	;;#ASMEND
	s_nop 0
	;;#ASMSTART
	v_dot2_f32_f16 v105, v2, v118, v105
	;;#ASMEND
	v_add_u32_e32 v118, s28, v40
	;;#ASMSTART
	v_dot2_f32_f16 v105, v3, v119, v105
	;;#ASMEND
	;;#ASMSTART
	v_dot2_f32_f16 v47, v0, v120, v47
	;;#ASMEND
	s_nop 0
	;;#ASMSTART
	v_dot2_f32_f16 v47, v1, v121, v47
	;;#ASMEND
	s_nop 0
	;;#ASMSTART
	v_dot2_f32_f16 v47, v2, v122, v47
	;;#ASMEND
	s_nop 0
	;;#ASMSTART
	v_dot2_f32_f16 v47, v3, v123, v47
	;;#ASMEND
	;;#ASMSTART
	v_dot2_f32_f16 v46, v0, v124, v46
	;;#ASMEND
	s_nop 0
	;;#ASMSTART
	v_dot2_f32_f16 v46, v1, v125, v46
	;;#ASMEND
	s_nop 0
	;;#ASMSTART
	v_dot2_f32_f16 v46, v2, v126, v46
	;;#ASMEND
	s_nop 0
	;; [unrolled: 15-line block ×4, first 2 shown]
	;;#ASMSTART
	v_dot2_f32_f16 v29, v3, v135, v29
	;;#ASMEND
	;;#ASMSTART
	v_dot2_f32_f16 v27, v0, v136, v27
	;;#ASMEND
	v_add_u32_e32 v0, v118, v41
	;;#ASMSTART
	v_dot2_f32_f16 v27, v1, v137, v27
	;;#ASMEND
	v_ashrrev_i32_e32 v1, 31, v0
	;;#ASMSTART
	v_dot2_f32_f16 v27, v2, v138, v27
	;;#ASMEND
	v_mov_b32_e32 v2, 0
	;;#ASMSTART
	v_dot2_f32_f16 v27, v3, v139, v27
	;;#ASMEND
	s_cbranch_vccnz .LBB52_11
; %bb.10:                               ;   in Loop: Header=BB52_9 Depth=1
	v_lshl_add_u64 v[2:3], v[0:1], 1, v[42:43]
	global_load_ushort v2, v[2:3], off
	s_waitcnt vmcnt(0)
	v_cvt_f32_f16_e32 v2, v2
	v_mul_f32_e32 v2, v66, v2
.LBB52_11:                              ;   in Loop: Header=BB52_9 Depth=1
	v_mov_b32_e32 v5, 0
	s_and_b64 vcc, exec, s[4:5]
	v_mov_b32_e32 v3, 0
	s_cbranch_vccnz .LBB52_13
; %bb.12:                               ;   in Loop: Header=BB52_9 Depth=1
	v_lshl_add_u64 v[0:1], v[0:1], 1, v[42:43]
	global_load_ushort v0, v[0:1], off offset:64
	s_waitcnt vmcnt(0)
	v_cvt_f32_f16_e32 v0, v0
	v_mul_f32_e32 v3, v66, v0
.LBB52_13:                              ;   in Loop: Header=BB52_9 Depth=1
	v_and_b32_e32 v1, 0x60, v100
	v_add_u32_e32 v1, 32, v1
	v_xor_b32_e32 v4, 16, v100
	v_add_f32_e32 v2, v104, v2
	v_cmp_lt_i32_e32 vcc, v4, v1
	v_add_f32_e32 v3, v107, v3
	v_add_f32_e32 v0, 0x40051340, v2
	v_cndmask_b32_e32 v4, v100, v4, vcc
	v_add_f32_e32 v6, 0x40051340, v3
	v_lshlrev_b32_e32 v4, 2, v4
	v_max3_f32 v0, v37, v0, v6
	ds_bpermute_b32 v6, v4, v0
	v_xor_b32_e32 v7, 8, v100
	v_cmp_lt_i32_e32 vcc, v7, v1
	s_waitcnt lgkmcnt(0)
	v_max_f32_e32 v6, v6, v6
	v_cndmask_b32_e32 v7, v100, v7, vcc
	v_lshlrev_b32_e32 v113, 2, v7
	v_max_f32_e32 v0, v0, v6
	ds_bpermute_b32 v6, v113, v0
	v_xor_b32_e32 v7, 4, v100
	v_cmp_lt_i32_e32 vcc, v7, v1
	s_waitcnt lgkmcnt(0)
	v_max_f32_e32 v6, v6, v6
	v_cndmask_b32_e32 v7, v100, v7, vcc
	v_lshlrev_b32_e32 v114, 2, v7
	v_max_f32_e32 v0, v0, v6
	;; [unrolled: 8-line block ×3, first 2 shown]
	ds_bpermute_b32 v6, v115, v0
	v_xor_b32_e32 v7, 1, v100
	v_cmp_lt_i32_e32 vcc, v7, v1
	s_nop 1
	v_cndmask_b32_e32 v1, v100, v7, vcc
	v_lshlrev_b32_e32 v116, 2, v1
	s_waitcnt lgkmcnt(0)
	v_max_f32_e32 v1, v6, v6
	v_max_f32_e32 v112, v0, v1
	ds_bpermute_b32 v117, v116, v112
	v_add_u32_e32 v0, v118, v89
	s_and_b64 vcc, exec, s[4:5]
	v_ashrrev_i32_e32 v1, 31, v0
	s_cbranch_vccnz .LBB52_15
; %bb.14:                               ;   in Loop: Header=BB52_9 Depth=1
	v_lshl_add_u64 v[6:7], v[0:1], 1, v[42:43]
	global_load_ushort v5, v[6:7], off
	s_waitcnt vmcnt(0)
	v_cvt_f32_f16_e32 v5, v5
	v_mul_f32_e32 v5, v66, v5
.LBB52_15:                              ;   in Loop: Header=BB52_9 Depth=1
	v_mov_b32_e32 v6, 0
	s_and_b64 vcc, exec, s[4:5]
	v_mov_b32_e32 v7, 0
	s_cbranch_vccnz .LBB52_17
; %bb.16:                               ;   in Loop: Header=BB52_9 Depth=1
	v_lshl_add_u64 v[0:1], v[0:1], 1, v[42:43]
	global_load_ushort v0, v[0:1], off offset:64
	s_waitcnt vmcnt(0)
	v_cvt_f32_f16_e32 v0, v0
	v_mul_f32_e32 v7, v66, v0
.LBB52_17:                              ;   in Loop: Header=BB52_9 Depth=1
	v_add_f32_e32 v111, v45, v5
	v_add_f32_e32 v5, v106, v7
	v_add_f32_e32 v0, 0x40051340, v111
	v_add_f32_e32 v1, 0x40051340, v5
	v_max3_f32 v0, v36, v0, v1
	ds_bpermute_b32 v1, v4, v0
	s_and_b64 vcc, exec, s[4:5]
	s_waitcnt lgkmcnt(0)
	v_max_f32_e32 v1, v1, v1
	v_max_f32_e32 v0, v0, v1
	ds_bpermute_b32 v1, v113, v0
	s_waitcnt lgkmcnt(0)
	v_max_f32_e32 v1, v1, v1
	v_max_f32_e32 v0, v0, v1
	ds_bpermute_b32 v1, v114, v0
	s_waitcnt lgkmcnt(0)
	v_max_f32_e32 v1, v1, v1
	v_max_f32_e32 v0, v0, v1
	ds_bpermute_b32 v1, v115, v0
	s_waitcnt lgkmcnt(0)
	v_max_f32_e32 v1, v1, v1
	v_max_f32_e32 v119, v0, v1
	ds_bpermute_b32 v120, v116, v119
	v_add_u32_e32 v0, v118, v90
	v_ashrrev_i32_e32 v1, 31, v0
	s_cbranch_vccnz .LBB52_19
; %bb.18:                               ;   in Loop: Header=BB52_9 Depth=1
	v_lshl_add_u64 v[6:7], v[0:1], 1, v[42:43]
	global_load_ushort v6, v[6:7], off
	s_waitcnt vmcnt(0)
	v_cvt_f32_f16_e32 v6, v6
	v_mul_f32_e32 v6, v66, v6
.LBB52_19:                              ;   in Loop: Header=BB52_9 Depth=1
	v_mov_b32_e32 v7, 0
	s_and_b64 vcc, exec, s[4:5]
	v_mov_b32_e32 v45, 0
	s_cbranch_vccnz .LBB52_21
; %bb.20:                               ;   in Loop: Header=BB52_9 Depth=1
	v_lshl_add_u64 v[0:1], v[0:1], 1, v[42:43]
	global_load_ushort v0, v[0:1], off offset:64
	s_waitcnt vmcnt(0)
	v_cvt_f32_f16_e32 v0, v0
	v_mul_f32_e32 v45, v66, v0
.LBB52_21:                              ;   in Loop: Header=BB52_9 Depth=1
	v_add_f32_e32 v110, v31, v6
	v_add_f32_e32 v6, v105, v45
	v_add_f32_e32 v0, 0x40051340, v110
	v_add_f32_e32 v1, 0x40051340, v6
	v_max3_f32 v0, v34, v0, v1
	ds_bpermute_b32 v1, v4, v0
	s_and_b64 vcc, exec, s[4:5]
	s_waitcnt lgkmcnt(0)
	v_max_f32_e32 v1, v1, v1
	v_max_f32_e32 v0, v0, v1
	ds_bpermute_b32 v1, v113, v0
	s_waitcnt lgkmcnt(0)
	v_max_f32_e32 v1, v1, v1
	v_max_f32_e32 v0, v0, v1
	ds_bpermute_b32 v1, v114, v0
	s_waitcnt lgkmcnt(0)
	v_max_f32_e32 v1, v1, v1
	v_max_f32_e32 v0, v0, v1
	ds_bpermute_b32 v1, v115, v0
	s_waitcnt lgkmcnt(0)
	v_max_f32_e32 v1, v1, v1
	v_max_f32_e32 v31, v0, v1
	ds_bpermute_b32 v121, v116, v31
	v_add_u32_e32 v0, v118, v91
	;; [unrolled: 44-line block ×6, first 2 shown]
	v_ashrrev_i32_e32 v1, 31, v0
	s_cbranch_vccnz .LBB52_39
; %bb.38:                               ;   in Loop: Header=BB52_9 Depth=1
	v_lshl_add_u64 v[104:105], v[0:1], 1, v[42:43]
	global_load_ushort v30, v[104:105], off
	s_waitcnt vmcnt(0)
	v_cvt_f32_f16_e32 v30, v30
	v_mul_f32_e32 v30, v66, v30
.LBB52_39:                              ;   in Loop: Header=BB52_9 Depth=1
	s_and_b64 vcc, exec, s[4:5]
	s_cbranch_vccnz .LBB52_41
; %bb.40:                               ;   in Loop: Header=BB52_9 Depth=1
	v_lshl_add_u64 v[0:1], v[0:1], 1, v[42:43]
	global_load_ushort v0, v[0:1], off offset:64
	s_waitcnt vmcnt(0)
	v_cvt_f32_f16_e32 v0, v0
	v_mul_f32_e32 v0, v66, v0
	s_branch .LBB52_42
.LBB52_41:                              ;   in Loop: Header=BB52_9 Depth=1
	v_mov_b32_e32 v0, 0
.LBB52_42:                              ;   in Loop: Header=BB52_9 Depth=1
	v_add_f32_e32 v104, v24, v30
	v_add_f32_e32 v105, v27, v0
	;; [unrolled: 1-line block ×4, first 2 shown]
	v_max3_f32 v0, v102, v1, v0
	ds_bpermute_b32 v1, v4, v0
	s_waitcnt lgkmcnt(1)
	v_max_f32_e32 v24, v29, v29
	v_max_f32_e32 v4, v25, v25
	v_max_f32_e32 v30, v4, v24
	v_max_f32_e32 v4, v44, v44
	s_waitcnt lgkmcnt(0)
	v_max_f32_e32 v1, v1, v1
	v_max_f32_e32 v0, v0, v1
	ds_bpermute_b32 v1, v113, v0
	v_max_f32_e32 v24, v26, v26
	v_max_f32_e32 v29, v24, v4
	v_max_f32_e32 v4, v124, v124
	v_max_f32_e32 v24, v28, v28
	s_waitcnt lgkmcnt(0)
	v_max_f32_e32 v1, v1, v1
	v_max_f32_e32 v0, v0, v1
	ds_bpermute_b32 v1, v114, v0
	;; [unrolled: 8-line block ×4, first 2 shown]
	v_max_f32_e32 v24, v119, v119
	v_max_f32_e32 v25, v24, v4
	v_max_f32_e32 v4, v117, v117
	v_max_f32_e32 v24, v112, v112
	v_max_f32_e32 v24, v24, v4
	s_waitcnt lgkmcnt(0)
	v_max_f32_e32 v1, v1, v1
	v_max_f32_e32 v31, v0, v1
	v_sub_f32_e32 v0, v2, v24
	v_mul_f32_e32 v1, 0x3fb8aa3b, v0
	v_fma_f32 v2, v0, s12, -v1
	v_rndne_f32_e32 v4, v1
	v_fmac_f32_e32 v2, 0x32a5705f, v0
	v_sub_f32_e32 v1, v1, v4
	v_add_f32_e32 v1, v1, v2
	v_exp_f32_e32 v1, v1
	v_cvt_i32_f32_e32 v2, v4
	v_sub_f32_e32 v4, v37, v24
	v_cmp_ngt_f32_e32 vcc, s13, v0
	v_sub_f32_e32 v5, v5, v25
	v_ldexp_f32 v1, v1, v2
	v_sub_f32_e32 v2, v3, v24
	v_mul_f32_e32 v3, 0x3fb8aa3b, v2
	v_fma_f32 v37, v2, s12, -v3
	v_rndne_f32_e32 v44, v3
	v_fmac_f32_e32 v37, 0x32a5705f, v2
	v_sub_f32_e32 v3, v3, v44
	v_add_f32_e32 v3, v3, v37
	v_exp_f32_e32 v3, v3
	v_cvt_i32_f32_e32 v37, v44
	v_cndmask_b32_e32 v1, 0, v1, vcc
	v_cmp_nlt_f32_e32 vcc, s14, v0
	v_sub_f32_e32 v36, v36, v25
	v_sub_f32_e32 v108, v108, v28
	v_cndmask_b32_e32 v0, v101, v1, vcc
	v_ldexp_f32 v1, v3, v37
	v_mul_f32_e32 v3, 0x3fb8aa3b, v4
	v_fma_f32 v37, v4, s12, -v3
	v_rndne_f32_e32 v44, v3
	v_fmac_f32_e32 v37, 0x32a5705f, v4
	v_sub_f32_e32 v3, v3, v44
	v_add_f32_e32 v3, v3, v37
	v_exp_f32_e32 v3, v3
	v_cvt_i32_f32_e32 v37, v44
	v_cmp_ngt_f32_e32 vcc, s13, v2
	v_sub_f32_e32 v47, v47, v29
	v_sub_f32_e32 v45, v45, v29
	v_cndmask_b32_e32 v1, 0, v1, vcc
	v_cmp_nlt_f32_e32 vcc, s14, v2
	v_sub_f32_e32 v107, v107, v30
	v_sub_f32_e32 v115, v106, v30
	v_cndmask_b32_e32 v2, v101, v1, vcc
	v_ldexp_f32 v1, v3, v37
	v_sub_f32_e32 v3, v111, v25
	v_cmp_ngt_f32_e32 vcc, s13, v4
	v_mul_f32_e32 v37, 0x3fb8aa3b, v3
	v_fma_f32 v44, v3, s12, -v37
	v_cndmask_b32_e32 v1, 0, v1, vcc
	v_cmp_nlt_f32_e32 vcc, s14, v4
	v_rndne_f32_e32 v111, v37
	v_fmac_f32_e32 v44, 0x32a5705f, v3
	v_cndmask_b32_e32 v4, v101, v1, vcc
	v_sub_f32_e32 v37, v37, v111
	v_cvt_f16_f32_e32 v1, v4
	v_add_f32_e32 v37, v37, v44
	v_exp_f32_e32 v37, v37
	v_cvt_i32_f32_e32 v44, v111
	v_mul_u32_u24_e32 v1, 0x10001, v1
	v_pk_mul_f16 v80, v80, v1
	v_cmp_ngt_f32_e32 vcc, s13, v3
	v_ldexp_f32 v1, v37, v44
	v_mul_f32_e32 v37, 0x3fb8aa3b, v5
	v_fma_f32 v44, v5, s12, -v37
	v_rndne_f32_e32 v111, v37
	v_fmac_f32_e32 v44, 0x32a5705f, v5
	v_sub_f32_e32 v37, v37, v111
	v_add_f32_e32 v37, v37, v44
	v_exp_f32_e32 v37, v37
	v_cvt_i32_f32_e32 v44, v111
	v_cndmask_b32_e32 v1, 0, v1, vcc
	v_cmp_nlt_f32_e32 vcc, s14, v3
	v_mul_f32_e32 v106, 0x3fb8aa3b, v115
	v_ldexp_f32 v3, v37, v44
	v_mul_f32_e32 v37, 0x3fb8aa3b, v36
	v_fma_f32 v44, v36, s12, -v37
	v_rndne_f32_e32 v111, v37
	v_fmac_f32_e32 v44, 0x32a5705f, v36
	v_sub_f32_e32 v37, v37, v111
	v_add_f32_e32 v37, v37, v44
	v_exp_f32_e32 v37, v37
	v_cvt_i32_f32_e32 v44, v111
	v_cndmask_b32_e32 v1, v101, v1, vcc
	v_cmp_ngt_f32_e32 vcc, s13, v5
	s_mul_hi_i32 s39, s28, s2
	s_mul_i32 s38, s28, s2
	v_cndmask_b32_e32 v3, 0, v3, vcc
	v_cmp_nlt_f32_e32 vcc, s14, v5
	v_ldexp_f32 v5, v37, v44
	v_sub_f32_e32 v37, v110, v26
	v_cndmask_b32_e32 v3, v101, v3, vcc
	v_cmp_ngt_f32_e32 vcc, s13, v36
	v_mul_f32_e32 v44, 0x3fb8aa3b, v37
	v_fma_f32 v110, v37, s12, -v44
	v_cndmask_b32_e32 v5, 0, v5, vcc
	v_cmp_nlt_f32_e32 vcc, s14, v36
	v_rndne_f32_e32 v111, v44
	v_fmac_f32_e32 v110, 0x32a5705f, v37
	v_cndmask_b32_e32 v5, v101, v5, vcc
	v_sub_f32_e32 v44, v44, v111
	v_cvt_f16_f32_e32 v36, v5
	v_add_f32_e32 v44, v44, v110
	v_exp_f32_e32 v44, v44
	v_cvt_i32_f32_e32 v110, v111
	v_mul_u32_u24_e32 v36, 0x10001, v36
	v_pk_mul_f16 v78, v78, v36
	v_sub_f32_e32 v36, v34, v26
	v_ldexp_f32 v34, v44, v110
	v_sub_f32_e32 v44, v6, v26
	v_mul_f32_e32 v6, 0x3fb8aa3b, v44
	v_fma_f32 v110, v44, s12, -v6
	v_rndne_f32_e32 v111, v6
	v_fmac_f32_e32 v110, 0x32a5705f, v44
	v_sub_f32_e32 v6, v6, v111
	v_add_f32_e32 v6, v6, v110
	v_exp_f32_e32 v110, v6
	v_cvt_i32_f32_e32 v111, v111
	v_cmp_ngt_f32_e32 vcc, s13, v37
	s_lshl_b64 s[38:39], s[38:39], 2
	s_add_u32 s38, s18, s38
	v_cndmask_b32_e32 v6, 0, v34, vcc
	v_cmp_nlt_f32_e32 vcc, s14, v37
	v_mul_f32_e32 v37, 0x3fb8aa3b, v36
	v_ldexp_f32 v34, v110, v111
	v_fma_f32 v110, v36, s12, -v37
	v_rndne_f32_e32 v111, v37
	v_fmac_f32_e32 v110, 0x32a5705f, v36
	v_sub_f32_e32 v37, v37, v111
	v_add_f32_e32 v37, v37, v110
	v_exp_f32_e32 v37, v37
	v_cvt_i32_f32_e32 v110, v111
	v_cndmask_b32_e32 v6, v101, v6, vcc
	v_cmp_ngt_f32_e32 vcc, s13, v44
	s_addc_u32 s39, s19, s39
	v_ldexp_f32 v37, v37, v110
	v_cndmask_b32_e32 v34, 0, v34, vcc
	v_cmp_nlt_f32_e32 vcc, s14, v44
	v_sub_f32_e32 v44, v109, v27
	v_mul_f32_e32 v109, 0x3fb8aa3b, v44
	v_cndmask_b32_e32 v34, v101, v34, vcc
	v_cmp_ngt_f32_e32 vcc, s13, v36
	v_fma_f32 v110, v44, s12, -v109
	v_rndne_f32_e32 v111, v109
	v_cndmask_b32_e32 v37, 0, v37, vcc
	v_cmp_nlt_f32_e32 vcc, s14, v36
	v_fmac_f32_e32 v110, 0x32a5705f, v44
	v_sub_f32_e32 v109, v109, v111
	v_cndmask_b32_e32 v36, v101, v37, vcc
	v_cvt_f16_f32_e32 v37, v36
	v_add_f32_e32 v109, v109, v110
	v_exp_f32_e32 v109, v109
	v_cvt_i32_f32_e32 v110, v111
	v_mul_u32_u24_e32 v37, 0x10001, v37
	v_pk_mul_f16 v76, v76, v37
	v_sub_f32_e32 v37, v35, v27
	v_ldexp_f32 v35, v109, v110
	v_sub_f32_e32 v109, v7, v27
	v_mul_f32_e32 v7, 0x3fb8aa3b, v109
	v_fma_f32 v110, v109, s12, -v7
	v_rndne_f32_e32 v111, v7
	v_fmac_f32_e32 v110, 0x32a5705f, v109
	v_sub_f32_e32 v7, v7, v111
	v_add_f32_e32 v7, v7, v110
	v_exp_f32_e32 v110, v7
	v_cvt_i32_f32_e32 v111, v111
	v_cmp_ngt_f32_e32 vcc, s13, v44
	s_barrier
	s_nop 0
	v_cndmask_b32_e32 v7, 0, v35, vcc
	v_cmp_nlt_f32_e32 vcc, s14, v44
	v_mul_f32_e32 v44, 0x3fb8aa3b, v37
	v_ldexp_f32 v35, v110, v111
	v_fma_f32 v110, v37, s12, -v44
	v_rndne_f32_e32 v111, v44
	v_fmac_f32_e32 v110, 0x32a5705f, v37
	v_sub_f32_e32 v44, v44, v111
	v_add_f32_e32 v44, v44, v110
	v_exp_f32_e32 v44, v44
	v_cvt_i32_f32_e32 v110, v111
	v_cndmask_b32_e32 v7, v101, v7, vcc
	v_cmp_ngt_f32_e32 vcc, s13, v109
	v_ldexp_f32 v44, v44, v110
	s_nop 0
	v_cndmask_b32_e32 v35, 0, v35, vcc
	v_cmp_nlt_f32_e32 vcc, s14, v109
	v_mul_f32_e32 v109, 0x3fb8aa3b, v108
	v_fma_f32 v110, v108, s12, -v109
	v_cndmask_b32_e32 v35, v101, v35, vcc
	v_cmp_ngt_f32_e32 vcc, s13, v37
	v_rndne_f32_e32 v111, v109
	v_fmac_f32_e32 v110, 0x32a5705f, v108
	v_cndmask_b32_e32 v44, 0, v44, vcc
	v_cmp_nlt_f32_e32 vcc, s14, v37
	v_sub_f32_e32 v109, v109, v111
	v_add_f32_e32 v109, v109, v110
	v_cndmask_b32_e32 v37, v101, v44, vcc
	v_cvt_f16_f32_e32 v44, v37
	v_exp_f32_e32 v109, v109
	v_cvt_i32_f32_e32 v110, v111
	v_sub_f32_e32 v111, v38, v28
	v_mul_u32_u24_e32 v44, 0x10001, v44
	v_pk_mul_f16 v74, v74, v44
	v_sub_f32_e32 v44, v46, v28
	v_mul_f32_e32 v46, 0x3fb8aa3b, v44
	v_ldexp_f32 v38, v109, v110
	v_fma_f32 v109, v44, s12, -v46
	v_rndne_f32_e32 v110, v46
	v_fmac_f32_e32 v109, 0x32a5705f, v44
	v_sub_f32_e32 v46, v46, v110
	v_add_f32_e32 v46, v46, v109
	v_exp_f32_e32 v46, v46
	v_cvt_i32_f32_e32 v109, v110
	v_cmp_ngt_f32_e32 vcc, s13, v108
	v_ldexp_f32 v46, v46, v109
	s_nop 0
	v_cndmask_b32_e32 v38, 0, v38, vcc
	v_cmp_nlt_f32_e32 vcc, s14, v108
	v_mul_f32_e32 v108, 0x3fb8aa3b, v111
	v_fma_f32 v109, v111, s12, -v108
	v_rndne_f32_e32 v110, v108
	v_fmac_f32_e32 v109, 0x32a5705f, v111
	v_sub_f32_e32 v108, v108, v110
	v_add_f32_e32 v108, v108, v109
	v_exp_f32_e32 v108, v108
	v_cvt_i32_f32_e32 v109, v110
	v_cndmask_b32_e32 v38, v101, v38, vcc
	v_cmp_ngt_f32_e32 vcc, s13, v44
	s_nop 1
	v_cndmask_b32_e32 v46, 0, v46, vcc
	v_cmp_nlt_f32_e32 vcc, s14, v44
	s_nop 1
	v_cndmask_b32_e32 v44, v101, v46, vcc
	v_ldexp_f32 v46, v108, v109
	v_cmp_ngt_f32_e32 vcc, s13, v111
	v_mul_f32_e32 v109, 0x3fb8aa3b, v47
	v_fma_f32 v110, v47, s12, -v109
	v_cndmask_b32_e32 v46, 0, v46, vcc
	v_cmp_nlt_f32_e32 vcc, s14, v111
	v_rndne_f32_e32 v111, v109
	v_fmac_f32_e32 v110, 0x32a5705f, v47
	v_cndmask_b32_e32 v46, v101, v46, vcc
	v_sub_f32_e32 v109, v109, v111
	v_cvt_f16_f32_e32 v108, v46
	v_add_f32_e32 v109, v109, v110
	v_exp_f32_e32 v109, v109
	v_cvt_i32_f32_e32 v110, v111
	v_mul_u32_u24_e32 v108, 0x10001, v108
	v_pk_mul_f16 v72, v72, v108
	v_sub_f32_e32 v108, v39, v29
	v_ldexp_f32 v39, v109, v110
	v_mul_f32_e32 v109, 0x3fb8aa3b, v45
	v_fma_f32 v110, v45, s12, -v109
	v_rndne_f32_e32 v111, v109
	v_fmac_f32_e32 v110, 0x32a5705f, v45
	v_sub_f32_e32 v109, v109, v111
	v_add_f32_e32 v109, v109, v110
	v_exp_f32_e32 v109, v109
	v_cvt_i32_f32_e32 v110, v111
	v_cmp_ngt_f32_e32 vcc, s13, v47
	s_nop 1
	v_cndmask_b32_e32 v39, 0, v39, vcc
	v_cmp_nlt_f32_e32 vcc, s14, v47
	v_ldexp_f32 v47, v109, v110
	v_mul_f32_e32 v109, 0x3fb8aa3b, v108
	v_fma_f32 v110, v108, s12, -v109
	v_rndne_f32_e32 v111, v109
	v_fmac_f32_e32 v110, 0x32a5705f, v108
	v_sub_f32_e32 v109, v109, v111
	v_add_f32_e32 v109, v109, v110
	v_exp_f32_e32 v109, v109
	v_cvt_i32_f32_e32 v110, v111
	v_cndmask_b32_e32 v39, v101, v39, vcc
	v_cmp_ngt_f32_e32 vcc, s13, v45
	s_nop 1
	v_cndmask_b32_e32 v47, 0, v47, vcc
	v_cmp_nlt_f32_e32 vcc, s14, v45
	s_nop 1
	v_cndmask_b32_e32 v45, v101, v47, vcc
	v_ldexp_f32 v47, v109, v110
	v_cmp_ngt_f32_e32 vcc, s13, v108
	v_mul_f32_e32 v109, 0x3fb8aa3b, v107
	v_fma_f32 v110, v107, s12, -v109
	v_cndmask_b32_e32 v47, 0, v47, vcc
	v_cmp_nlt_f32_e32 vcc, s14, v108
	v_rndne_f32_e32 v111, v109
	v_fmac_f32_e32 v110, 0x32a5705f, v107
	v_cndmask_b32_e32 v47, v101, v47, vcc
	v_sub_f32_e32 v109, v109, v111
	v_cvt_f16_f32_e32 v108, v47
	v_add_f32_e32 v109, v109, v110
	v_exp_f32_e32 v109, v109
	v_cvt_i32_f32_e32 v110, v111
	v_mul_u32_u24_e32 v108, 0x10001, v108
	v_pk_mul_f16 v122, v69, v108
	v_sub_f32_e32 v69, v103, v30
	v_ldexp_f32 v103, v109, v110
	v_fma_f32 v108, v115, s12, -v106
	v_rndne_f32_e32 v109, v106
	v_fmac_f32_e32 v108, 0x32a5705f, v115
	v_sub_f32_e32 v106, v106, v109
	v_add_f32_e32 v106, v106, v108
	v_exp_f32_e32 v106, v106
	v_cvt_i32_f32_e32 v108, v109
	v_cmp_ngt_f32_e32 vcc, s13, v107
	s_nop 1
	v_cndmask_b32_e32 v103, 0, v103, vcc
	v_cmp_nlt_f32_e32 vcc, s14, v107
	s_nop 1
	v_cndmask_b32_e32 v114, v101, v103, vcc
	v_ldexp_f32 v103, v106, v108
	v_mul_f32_e32 v106, 0x3fb8aa3b, v69
	v_rndne_f32_e32 v121, v106
	v_fma_f32 v120, v69, s12, -v106
	v_sub_f32_e32 v123, v106, v121
	v_lshl_add_u64 v[106:107], v[14:15], 2, s[38:39]
	v_lshl_add_u64 v[116:117], v[106:107], 0, v[8:9]
	;; [unrolled: 1-line block ×4, first 2 shown]
	global_load_dwordx4 v[106:109], v[116:117], off
	global_load_dwordx4 v[110:113], v[118:119], off
	v_fmac_f32_e32 v120, 0x32a5705f, v69
	v_add_f32_e32 v116, v123, v120
	v_exp_f32_e32 v117, v116
	v_cvt_i32_f32_e32 v118, v121
	v_cmp_ngt_f32_e32 vcc, s13, v115
	s_nop 1
	v_cndmask_b32_e32 v103, 0, v103, vcc
	v_cmp_nlt_f32_e32 vcc, s14, v115
	s_nop 1
	v_cndmask_b32_e32 v116, v101, v103, vcc
	v_ldexp_f32 v103, v117, v118
	v_cmp_ngt_f32_e32 vcc, s13, v69
	s_nop 1
	v_cndmask_b32_e32 v103, 0, v103, vcc
	v_cmp_nlt_f32_e32 vcc, s14, v69
	s_nop 1
	v_cndmask_b32_e32 v118, v101, v103, vcc
	v_sub_f32_e32 v103, v104, v31
	v_mul_f32_e32 v104, 0x3fb8aa3b, v103
	v_fma_f32 v115, v103, s12, -v104
	v_rndne_f32_e32 v117, v104
	v_cvt_f16_f32_e32 v69, v118
	v_fmac_f32_e32 v115, 0x32a5705f, v103
	v_sub_f32_e32 v104, v104, v117
	v_add_f32_e32 v104, v104, v115
	v_exp_f32_e32 v104, v104
	v_cvt_i32_f32_e32 v115, v117
	v_mul_u32_u24_e32 v69, 0x10001, v69
	v_pk_mul_f16 v123, v68, v69
	v_sub_f32_e32 v68, v102, v31
	v_sub_f32_e32 v102, v105, v31
	v_ldexp_f32 v69, v104, v115
	v_mul_f32_e32 v104, 0x3fb8aa3b, v102
	v_fma_f32 v105, v102, s12, -v104
	v_rndne_f32_e32 v115, v104
	v_fmac_f32_e32 v105, 0x32a5705f, v102
	v_sub_f32_e32 v104, v104, v115
	v_add_f32_e32 v104, v104, v105
	v_exp_f32_e32 v104, v104
	v_cvt_i32_f32_e32 v105, v115
	v_cmp_ngt_f32_e32 vcc, s13, v103
	s_nop 1
	v_cndmask_b32_e32 v69, 0, v69, vcc
	v_cmp_nlt_f32_e32 vcc, s14, v103
	v_mul_f32_e32 v103, 0x3fb8aa3b, v68
	s_nop 0
	v_cndmask_b32_e32 v115, v101, v69, vcc
	v_ldexp_f32 v69, v104, v105
	v_fma_f32 v104, v68, s12, -v103
	v_rndne_f32_e32 v105, v103
	v_fmac_f32_e32 v104, 0x32a5705f, v68
	v_sub_f32_e32 v103, v103, v105
	v_add_f32_e32 v103, v103, v104
	v_exp_f32_e32 v103, v103
	v_cvt_i32_f32_e32 v104, v105
	v_cmp_ngt_f32_e32 vcc, s13, v102
	s_nop 1
	v_cndmask_b32_e32 v69, 0, v69, vcc
	v_cmp_nlt_f32_e32 vcc, s14, v102
	s_nop 1
	v_cndmask_b32_e32 v117, v101, v69, vcc
	v_ldexp_f32 v69, v103, v104
	v_cmp_ngt_f32_e32 vcc, s13, v68
	v_pk_add_f32 v[120:121], v[114:115], v[116:117]
	v_pk_add_f32 v[102:103], v[6:7], v[34:35]
	v_cndmask_b32_e32 v69, 0, v69, vcc
	v_cmp_nlt_f32_e32 vcc, s14, v68
	v_pk_add_f32 v[104:105], v[38:39], v[44:45]
	v_pk_fma_f32 v[18:19], v[18:19], v[36:37], v[102:103]
	v_cndmask_b32_e32 v119, v101, v69, vcc
	v_pk_fma_f32 v[22:23], v[22:23], v[118:119], v[120:121]
	v_cvt_f16_f32_e32 v118, v119
	v_pk_add_f32 v[68:69], v[0:1], v[2:3]
	v_pk_fma_f32 v[20:21], v[20:21], v[46:47], v[104:105]
	v_pk_fma_f32 v[16:17], v[16:17], v[4:5], v[68:69]
	v_mul_u32_u24_e32 v4, 0x10001, v118
	v_pk_mul_f16 v67, v67, v4
	v_cvt_pk_f16_f32 v105, v114, v115
	v_cvt_pk_f16_f32 v104, v38, v39
	;; [unrolled: 1-line block ×8, first 2 shown]
	ds_write_b128 v99, v[102:105]
	ds_write_b128 v99, v[4:7] offset:512
	s_waitcnt vmcnt(1)
	ds_write_b128 v97, v[106:109]
	s_waitcnt vmcnt(0)
	ds_write_b128 v98, v[110:113]
	s_waitcnt lgkmcnt(0)
	s_barrier
	ds_read_b128 v[0:3], v96
	ds_read2_b32 v[38:39], v65 offset1:32
	ds_read_b128 v[4:7], v96 offset:16
	ds_read_b128 v[34:37], v96 offset:32
	;; [unrolled: 1-line block ×3, first 2 shown]
	s_waitcnt lgkmcnt(4)
	v_mul_u32_u24_sdwa v68, v0, s15 dst_sel:DWORD dst_unused:UNUSED_PAD src0_sel:WORD_0 src1_sel:DWORD
	v_mul_u32_u24_sdwa v0, v0, s15 dst_sel:DWORD dst_unused:UNUSED_PAD src0_sel:WORD_1 src1_sel:DWORD
	v_mul_u32_u24_sdwa v69, v1, s15 dst_sel:DWORD dst_unused:UNUSED_PAD src0_sel:WORD_0 src1_sel:DWORD
	v_mul_u32_u24_sdwa v1, v1, s15 dst_sel:DWORD dst_unused:UNUSED_PAD src0_sel:WORD_1 src1_sel:DWORD
	;; [unrolled: 2-line block ×4, first 2 shown]
	s_waitcnt lgkmcnt(3)
	v_pk_fma_f16 v68, v38, v68, v80
	v_pk_fma_f16 v0, v38, v0, v78
	v_pk_fma_f16 v69, v38, v69, v76
	v_pk_fma_f16 v1, v38, v1, v74
	v_pk_fma_f16 v72, v38, v102, v72
	v_pk_fma_f16 v2, v38, v2, v122
	v_pk_fma_f16 v74, v38, v103, v123
	v_pk_fma_f16 v3, v38, v3, v67
	s_waitcnt lgkmcnt(2)
	v_mul_u32_u24_sdwa v38, v4, s15 dst_sel:DWORD dst_unused:UNUSED_PAD src0_sel:WORD_0 src1_sel:DWORD
	v_mul_u32_u24_sdwa v4, v4, s15 dst_sel:DWORD dst_unused:UNUSED_PAD src0_sel:WORD_1 src1_sel:DWORD
	v_mul_u32_u24_sdwa v67, v5, s15 dst_sel:DWORD dst_unused:UNUSED_PAD src0_sel:WORD_0 src1_sel:DWORD
	v_mul_u32_u24_sdwa v5, v5, s15 dst_sel:DWORD dst_unused:UNUSED_PAD src0_sel:WORD_1 src1_sel:DWORD
	v_pk_fma_f16 v0, v39, v4, v0
	v_pk_fma_f16 v1, v39, v5, v1
	ds_read2_b32 v[4:5], v65 offset0:64 offset1:96
	v_mul_u32_u24_sdwa v76, v6, s15 dst_sel:DWORD dst_unused:UNUSED_PAD src0_sel:WORD_0 src1_sel:DWORD
	v_mul_u32_u24_sdwa v6, v6, s15 dst_sel:DWORD dst_unused:UNUSED_PAD src0_sel:WORD_1 src1_sel:DWORD
	v_mul_u32_u24_sdwa v78, v7, s15 dst_sel:DWORD dst_unused:UNUSED_PAD src0_sel:WORD_0 src1_sel:DWORD
	v_mul_u32_u24_sdwa v7, v7, s15 dst_sel:DWORD dst_unused:UNUSED_PAD src0_sel:WORD_1 src1_sel:DWORD
	v_pk_fma_f16 v38, v39, v38, v68
	v_pk_fma_f16 v67, v39, v67, v69
	;; [unrolled: 1-line block ×6, first 2 shown]
	s_waitcnt lgkmcnt(2)
	v_mul_u32_u24_sdwa v7, v34, s15 dst_sel:DWORD dst_unused:UNUSED_PAD src0_sel:WORD_0 src1_sel:DWORD
	v_mul_u32_u24_sdwa v34, v34, s15 dst_sel:DWORD dst_unused:UNUSED_PAD src0_sel:WORD_1 src1_sel:DWORD
	v_mul_u32_u24_sdwa v39, v35, s15 dst_sel:DWORD dst_unused:UNUSED_PAD src0_sel:WORD_0 src1_sel:DWORD
	v_mul_u32_u24_sdwa v35, v35, s15 dst_sel:DWORD dst_unused:UNUSED_PAD src0_sel:WORD_1 src1_sel:DWORD
	;; [unrolled: 2-line block ×4, first 2 shown]
	s_waitcnt lgkmcnt(0)
	v_pk_fma_f16 v7, v4, v7, v38
	v_pk_fma_f16 v0, v4, v34, v0
	;; [unrolled: 1-line block ×8, first 2 shown]
	v_mul_u32_u24_sdwa v3, v44, s15 dst_sel:DWORD dst_unused:UNUSED_PAD src0_sel:WORD_0 src1_sel:DWORD
	v_mul_u32_u24_sdwa v36, v44, s15 dst_sel:DWORD dst_unused:UNUSED_PAD src0_sel:WORD_1 src1_sel:DWORD
	v_mul_u32_u24_sdwa v38, v45, s15 dst_sel:DWORD dst_unused:UNUSED_PAD src0_sel:WORD_1 src1_sel:DWORD
	;; [unrolled: 1-line block ×3, first 2 shown]
	v_mul_u32_u24_sdwa v37, v45, s15 dst_sel:DWORD dst_unused:UNUSED_PAD src0_sel:WORD_0 src1_sel:DWORD
	v_mul_u32_u24_sdwa v39, v46, s15 dst_sel:DWORD dst_unused:UNUSED_PAD src0_sel:WORD_0 src1_sel:DWORD
	v_mul_u32_u24_sdwa v45, v47, s15 dst_sel:DWORD dst_unused:UNUSED_PAD src0_sel:WORD_0 src1_sel:DWORD
	v_mul_u32_u24_sdwa v46, v47, s15 dst_sel:DWORD dst_unused:UNUSED_PAD src0_sel:WORD_1 src1_sel:DWORD
	v_pk_fma_f16 v47, v5, v3, v7
	v_pk_fma_f16 v36, v5, v36, v0
	;; [unrolled: 1-line block ×4, first 2 shown]
	ds_read_b128 v[0:3], v96 offset:64
	v_pk_fma_f16 v37, v5, v37, v34
	v_pk_fma_f16 v39, v5, v39, v35
	;; [unrolled: 1-line block ×4, first 2 shown]
	ds_read2_b32 v[34:35], v65 offset0:128 offset1:160
	ds_read_b128 v[4:7], v96 offset:80
	s_waitcnt lgkmcnt(2)
	v_mul_u32_u24_sdwa v67, v0, s15 dst_sel:DWORD dst_unused:UNUSED_PAD src0_sel:WORD_0 src1_sel:DWORD
	v_mul_u32_u24_sdwa v0, v0, s15 dst_sel:DWORD dst_unused:UNUSED_PAD src0_sel:WORD_1 src1_sel:DWORD
	v_mul_u32_u24_sdwa v68, v1, s15 dst_sel:DWORD dst_unused:UNUSED_PAD src0_sel:WORD_0 src1_sel:DWORD
	v_mul_u32_u24_sdwa v1, v1, s15 dst_sel:DWORD dst_unused:UNUSED_PAD src0_sel:WORD_1 src1_sel:DWORD
	;; [unrolled: 2-line block ×4, first 2 shown]
	s_waitcnt lgkmcnt(1)
	v_pk_fma_f16 v47, v34, v67, v47
	v_pk_fma_f16 v0, v34, v0, v36
	;; [unrolled: 1-line block ×8, first 2 shown]
	s_waitcnt lgkmcnt(0)
	v_mul_u32_u24_sdwa v3, v4, s15 dst_sel:DWORD dst_unused:UNUSED_PAD src0_sel:WORD_0 src1_sel:DWORD
	v_mul_u32_u24_sdwa v4, v4, s15 dst_sel:DWORD dst_unused:UNUSED_PAD src0_sel:WORD_1 src1_sel:DWORD
	v_mul_u32_u24_sdwa v39, v5, s15 dst_sel:DWORD dst_unused:UNUSED_PAD src0_sel:WORD_0 src1_sel:DWORD
	v_mul_u32_u24_sdwa v5, v5, s15 dst_sel:DWORD dst_unused:UNUSED_PAD src0_sel:WORD_1 src1_sel:DWORD
	;; [unrolled: 2-line block ×4, first 2 shown]
	v_pk_fma_f16 v46, v35, v3, v47
	v_pk_fma_f16 v47, v35, v4, v0
	;; [unrolled: 1-line block ×6, first 2 shown]
	ds_read_b128 v[0:3], v96 offset:96
	v_pk_fma_f16 v38, v35, v45, v38
	v_pk_fma_f16 v45, v35, v7, v34
	ds_read2_b32 v[34:35], v65 offset0:192 offset1:224
	ds_read_b128 v[4:7], v96 offset:112
	s_waitcnt lgkmcnt(2)
	v_mul_u32_u24_sdwa v67, v0, s15 dst_sel:DWORD dst_unused:UNUSED_PAD src0_sel:WORD_0 src1_sel:DWORD
	v_mul_u32_u24_sdwa v0, v0, s15 dst_sel:DWORD dst_unused:UNUSED_PAD src0_sel:WORD_1 src1_sel:DWORD
	v_mul_u32_u24_sdwa v68, v1, s15 dst_sel:DWORD dst_unused:UNUSED_PAD src0_sel:WORD_0 src1_sel:DWORD
	v_mul_u32_u24_sdwa v1, v1, s15 dst_sel:DWORD dst_unused:UNUSED_PAD src0_sel:WORD_1 src1_sel:DWORD
	;; [unrolled: 2-line block ×4, first 2 shown]
	s_waitcnt lgkmcnt(1)
	v_pk_fma_f16 v46, v34, v67, v46
	v_pk_fma_f16 v0, v34, v0, v47
	;; [unrolled: 1-line block ×8, first 2 shown]
	s_waitcnt lgkmcnt(0)
	v_mul_u32_u24_sdwa v3, v4, s15 dst_sel:DWORD dst_unused:UNUSED_PAD src0_sel:WORD_0 src1_sel:DWORD
	v_mul_u32_u24_sdwa v4, v4, s15 dst_sel:DWORD dst_unused:UNUSED_PAD src0_sel:WORD_1 src1_sel:DWORD
	v_mul_u32_u24_sdwa v39, v5, s15 dst_sel:DWORD dst_unused:UNUSED_PAD src0_sel:WORD_0 src1_sel:DWORD
	v_mul_u32_u24_sdwa v5, v5, s15 dst_sel:DWORD dst_unused:UNUSED_PAD src0_sel:WORD_1 src1_sel:DWORD
	;; [unrolled: 2-line block ×4, first 2 shown]
	v_pk_fma_f16 v46, v35, v3, v46
	v_pk_fma_f16 v47, v35, v4, v0
	;; [unrolled: 1-line block ×6, first 2 shown]
	ds_read_b128 v[0:3], v96 offset:128
	v_add_u32_e32 v67, 0x400, v65
	v_pk_fma_f16 v38, v35, v45, v38
	v_pk_fma_f16 v45, v35, v7, v34
	ds_read2_b32 v[34:35], v67 offset1:32
	ds_read_b128 v[4:7], v96 offset:144
	s_waitcnt lgkmcnt(2)
	v_mul_u32_u24_sdwa v68, v0, s15 dst_sel:DWORD dst_unused:UNUSED_PAD src0_sel:WORD_0 src1_sel:DWORD
	v_mul_u32_u24_sdwa v0, v0, s15 dst_sel:DWORD dst_unused:UNUSED_PAD src0_sel:WORD_1 src1_sel:DWORD
	v_mul_u32_u24_sdwa v69, v1, s15 dst_sel:DWORD dst_unused:UNUSED_PAD src0_sel:WORD_0 src1_sel:DWORD
	v_mul_u32_u24_sdwa v1, v1, s15 dst_sel:DWORD dst_unused:UNUSED_PAD src0_sel:WORD_1 src1_sel:DWORD
	v_mul_u32_u24_sdwa v72, v2, s15 dst_sel:DWORD dst_unused:UNUSED_PAD src0_sel:WORD_0 src1_sel:DWORD
	v_mul_u32_u24_sdwa v2, v2, s15 dst_sel:DWORD dst_unused:UNUSED_PAD src0_sel:WORD_1 src1_sel:DWORD
	v_mul_u32_u24_sdwa v74, v3, s15 dst_sel:DWORD dst_unused:UNUSED_PAD src0_sel:WORD_0 src1_sel:DWORD
	v_mul_u32_u24_sdwa v3, v3, s15 dst_sel:DWORD dst_unused:UNUSED_PAD src0_sel:WORD_1 src1_sel:DWORD
	s_waitcnt lgkmcnt(1)
	v_pk_fma_f16 v46, v34, v68, v46
	v_pk_fma_f16 v0, v34, v0, v47
	v_pk_fma_f16 v36, v34, v69, v36
	v_pk_fma_f16 v1, v34, v1, v39
	v_pk_fma_f16 v37, v34, v72, v37
	v_pk_fma_f16 v2, v34, v2, v44
	v_pk_fma_f16 v38, v34, v74, v38
	v_pk_fma_f16 v34, v34, v3, v45
	s_waitcnt lgkmcnt(0)
	v_mul_u32_u24_sdwa v3, v4, s15 dst_sel:DWORD dst_unused:UNUSED_PAD src0_sel:WORD_0 src1_sel:DWORD
	v_mul_u32_u24_sdwa v4, v4, s15 dst_sel:DWORD dst_unused:UNUSED_PAD src0_sel:WORD_1 src1_sel:DWORD
	v_mul_u32_u24_sdwa v39, v5, s15 dst_sel:DWORD dst_unused:UNUSED_PAD src0_sel:WORD_0 src1_sel:DWORD
	v_mul_u32_u24_sdwa v5, v5, s15 dst_sel:DWORD dst_unused:UNUSED_PAD src0_sel:WORD_1 src1_sel:DWORD
	v_mul_u32_u24_sdwa v44, v6, s15 dst_sel:DWORD dst_unused:UNUSED_PAD src0_sel:WORD_0 src1_sel:DWORD
	v_mul_u32_u24_sdwa v6, v6, s15 dst_sel:DWORD dst_unused:UNUSED_PAD src0_sel:WORD_1 src1_sel:DWORD
	v_mul_u32_u24_sdwa v45, v7, s15 dst_sel:DWORD dst_unused:UNUSED_PAD src0_sel:WORD_0 src1_sel:DWORD
	v_mul_u32_u24_sdwa v7, v7, s15 dst_sel:DWORD dst_unused:UNUSED_PAD src0_sel:WORD_1 src1_sel:DWORD
	v_pk_fma_f16 v46, v35, v3, v46
	v_pk_fma_f16 v47, v35, v4, v0
	v_pk_fma_f16 v36, v35, v39, v36
	v_pk_fma_f16 v39, v35, v5, v1
	v_pk_fma_f16 v37, v35, v44, v37
	v_pk_fma_f16 v44, v35, v6, v2
	ds_read_b128 v[0:3], v96 offset:160
	v_pk_fma_f16 v38, v35, v45, v38
	v_pk_fma_f16 v45, v35, v7, v34
	ds_read2_b32 v[34:35], v67 offset0:64 offset1:96
	ds_read_b128 v[4:7], v96 offset:176
	s_waitcnt lgkmcnt(2)
	v_mul_u32_u24_sdwa v68, v0, s15 dst_sel:DWORD dst_unused:UNUSED_PAD src0_sel:WORD_0 src1_sel:DWORD
	v_mul_u32_u24_sdwa v0, v0, s15 dst_sel:DWORD dst_unused:UNUSED_PAD src0_sel:WORD_1 src1_sel:DWORD
	v_mul_u32_u24_sdwa v69, v1, s15 dst_sel:DWORD dst_unused:UNUSED_PAD src0_sel:WORD_0 src1_sel:DWORD
	v_mul_u32_u24_sdwa v1, v1, s15 dst_sel:DWORD dst_unused:UNUSED_PAD src0_sel:WORD_1 src1_sel:DWORD
	v_mul_u32_u24_sdwa v72, v2, s15 dst_sel:DWORD dst_unused:UNUSED_PAD src0_sel:WORD_0 src1_sel:DWORD
	v_mul_u32_u24_sdwa v2, v2, s15 dst_sel:DWORD dst_unused:UNUSED_PAD src0_sel:WORD_1 src1_sel:DWORD
	v_mul_u32_u24_sdwa v74, v3, s15 dst_sel:DWORD dst_unused:UNUSED_PAD src0_sel:WORD_0 src1_sel:DWORD
	v_mul_u32_u24_sdwa v3, v3, s15 dst_sel:DWORD dst_unused:UNUSED_PAD src0_sel:WORD_1 src1_sel:DWORD
	s_waitcnt lgkmcnt(1)
	v_pk_fma_f16 v46, v34, v68, v46
	v_pk_fma_f16 v0, v34, v0, v47
	v_pk_fma_f16 v36, v34, v69, v36
	v_pk_fma_f16 v1, v34, v1, v39
	v_pk_fma_f16 v37, v34, v72, v37
	v_pk_fma_f16 v2, v34, v2, v44
	v_pk_fma_f16 v38, v34, v74, v38
	v_pk_fma_f16 v34, v34, v3, v45
	s_waitcnt lgkmcnt(0)
	v_mul_u32_u24_sdwa v3, v4, s15 dst_sel:DWORD dst_unused:UNUSED_PAD src0_sel:WORD_0 src1_sel:DWORD
	v_mul_u32_u24_sdwa v4, v4, s15 dst_sel:DWORD dst_unused:UNUSED_PAD src0_sel:WORD_1 src1_sel:DWORD
	v_mul_u32_u24_sdwa v39, v5, s15 dst_sel:DWORD dst_unused:UNUSED_PAD src0_sel:WORD_0 src1_sel:DWORD
	v_mul_u32_u24_sdwa v5, v5, s15 dst_sel:DWORD dst_unused:UNUSED_PAD src0_sel:WORD_1 src1_sel:DWORD
	v_mul_u32_u24_sdwa v44, v6, s15 dst_sel:DWORD dst_unused:UNUSED_PAD src0_sel:WORD_0 src1_sel:DWORD
	v_mul_u32_u24_sdwa v6, v6, s15 dst_sel:DWORD dst_unused:UNUSED_PAD src0_sel:WORD_1 src1_sel:DWORD
	v_mul_u32_u24_sdwa v45, v7, s15 dst_sel:DWORD dst_unused:UNUSED_PAD src0_sel:WORD_0 src1_sel:DWORD
	v_mul_u32_u24_sdwa v7, v7, s15 dst_sel:DWORD dst_unused:UNUSED_PAD src0_sel:WORD_1 src1_sel:DWORD
	v_pk_fma_f16 v46, v35, v3, v46
	v_pk_fma_f16 v47, v35, v4, v0
	v_pk_fma_f16 v36, v35, v39, v36
	v_pk_fma_f16 v39, v35, v5, v1
	v_pk_fma_f16 v37, v35, v44, v37
	v_pk_fma_f16 v44, v35, v6, v2
	ds_read_b128 v[0:3], v96 offset:192
	v_pk_fma_f16 v38, v35, v45, v38
	v_pk_fma_f16 v45, v35, v7, v34
	ds_read2_b32 v[34:35], v67 offset0:128 offset1:160
	;; [unrolled: 38-line block ×3, first 2 shown]
	ds_read_b128 v[4:7], v96 offset:240
	s_waitcnt lgkmcnt(2)
	v_mul_u32_u24_sdwa v67, v0, s15 dst_sel:DWORD dst_unused:UNUSED_PAD src0_sel:WORD_0 src1_sel:DWORD
	v_mul_u32_u24_sdwa v0, v0, s15 dst_sel:DWORD dst_unused:UNUSED_PAD src0_sel:WORD_1 src1_sel:DWORD
	v_mul_u32_u24_sdwa v68, v1, s15 dst_sel:DWORD dst_unused:UNUSED_PAD src0_sel:WORD_0 src1_sel:DWORD
	v_mul_u32_u24_sdwa v1, v1, s15 dst_sel:DWORD dst_unused:UNUSED_PAD src0_sel:WORD_1 src1_sel:DWORD
	;; [unrolled: 2-line block ×4, first 2 shown]
	s_waitcnt lgkmcnt(1)
	v_pk_fma_f16 v46, v34, v67, v46
	v_pk_fma_f16 v0, v34, v0, v47
	;; [unrolled: 1-line block ×8, first 2 shown]
	s_waitcnt lgkmcnt(0)
	v_mul_u32_u24_sdwa v3, v4, s15 dst_sel:DWORD dst_unused:UNUSED_PAD src0_sel:WORD_0 src1_sel:DWORD
	v_mul_u32_u24_sdwa v4, v4, s15 dst_sel:DWORD dst_unused:UNUSED_PAD src0_sel:WORD_1 src1_sel:DWORD
	v_mul_u32_u24_sdwa v39, v5, s15 dst_sel:DWORD dst_unused:UNUSED_PAD src0_sel:WORD_0 src1_sel:DWORD
	v_mul_u32_u24_sdwa v5, v5, s15 dst_sel:DWORD dst_unused:UNUSED_PAD src0_sel:WORD_1 src1_sel:DWORD
	;; [unrolled: 2-line block ×4, first 2 shown]
	v_pk_fma_f16 v46, v35, v3, v46
	v_pk_fma_f16 v47, v35, v4, v0
	;; [unrolled: 1-line block ×6, first 2 shown]
	ds_read_b128 v[0:3], v96 offset:256
	v_add_u32_e32 v67, 0x800, v65
	v_pk_fma_f16 v38, v35, v45, v38
	v_pk_fma_f16 v45, v35, v7, v34
	ds_read2_b32 v[34:35], v67 offset1:32
	ds_read_b128 v[4:7], v96 offset:272
	s_waitcnt lgkmcnt(2)
	v_mul_u32_u24_sdwa v68, v0, s15 dst_sel:DWORD dst_unused:UNUSED_PAD src0_sel:WORD_0 src1_sel:DWORD
	v_mul_u32_u24_sdwa v0, v0, s15 dst_sel:DWORD dst_unused:UNUSED_PAD src0_sel:WORD_1 src1_sel:DWORD
	v_mul_u32_u24_sdwa v69, v1, s15 dst_sel:DWORD dst_unused:UNUSED_PAD src0_sel:WORD_0 src1_sel:DWORD
	v_mul_u32_u24_sdwa v1, v1, s15 dst_sel:DWORD dst_unused:UNUSED_PAD src0_sel:WORD_1 src1_sel:DWORD
	v_mul_u32_u24_sdwa v72, v2, s15 dst_sel:DWORD dst_unused:UNUSED_PAD src0_sel:WORD_0 src1_sel:DWORD
	v_mul_u32_u24_sdwa v2, v2, s15 dst_sel:DWORD dst_unused:UNUSED_PAD src0_sel:WORD_1 src1_sel:DWORD
	v_mul_u32_u24_sdwa v74, v3, s15 dst_sel:DWORD dst_unused:UNUSED_PAD src0_sel:WORD_0 src1_sel:DWORD
	v_mul_u32_u24_sdwa v3, v3, s15 dst_sel:DWORD dst_unused:UNUSED_PAD src0_sel:WORD_1 src1_sel:DWORD
	s_waitcnt lgkmcnt(1)
	v_pk_fma_f16 v46, v34, v68, v46
	v_pk_fma_f16 v0, v34, v0, v47
	v_pk_fma_f16 v36, v34, v69, v36
	v_pk_fma_f16 v1, v34, v1, v39
	v_pk_fma_f16 v37, v34, v72, v37
	v_pk_fma_f16 v2, v34, v2, v44
	v_pk_fma_f16 v38, v34, v74, v38
	v_pk_fma_f16 v34, v34, v3, v45
	s_waitcnt lgkmcnt(0)
	v_mul_u32_u24_sdwa v3, v4, s15 dst_sel:DWORD dst_unused:UNUSED_PAD src0_sel:WORD_0 src1_sel:DWORD
	v_mul_u32_u24_sdwa v4, v4, s15 dst_sel:DWORD dst_unused:UNUSED_PAD src0_sel:WORD_1 src1_sel:DWORD
	v_mul_u32_u24_sdwa v39, v5, s15 dst_sel:DWORD dst_unused:UNUSED_PAD src0_sel:WORD_0 src1_sel:DWORD
	v_mul_u32_u24_sdwa v5, v5, s15 dst_sel:DWORD dst_unused:UNUSED_PAD src0_sel:WORD_1 src1_sel:DWORD
	v_mul_u32_u24_sdwa v44, v6, s15 dst_sel:DWORD dst_unused:UNUSED_PAD src0_sel:WORD_0 src1_sel:DWORD
	v_mul_u32_u24_sdwa v6, v6, s15 dst_sel:DWORD dst_unused:UNUSED_PAD src0_sel:WORD_1 src1_sel:DWORD
	v_mul_u32_u24_sdwa v45, v7, s15 dst_sel:DWORD dst_unused:UNUSED_PAD src0_sel:WORD_0 src1_sel:DWORD
	v_mul_u32_u24_sdwa v7, v7, s15 dst_sel:DWORD dst_unused:UNUSED_PAD src0_sel:WORD_1 src1_sel:DWORD
	v_pk_fma_f16 v46, v35, v3, v46
	v_pk_fma_f16 v47, v35, v4, v0
	v_pk_fma_f16 v36, v35, v39, v36
	v_pk_fma_f16 v39, v35, v5, v1
	v_pk_fma_f16 v37, v35, v44, v37
	v_pk_fma_f16 v44, v35, v6, v2
	ds_read_b128 v[0:3], v96 offset:288
	v_pk_fma_f16 v38, v35, v45, v38
	v_pk_fma_f16 v45, v35, v7, v34
	ds_read2_b32 v[34:35], v67 offset0:64 offset1:96
	ds_read_b128 v[4:7], v96 offset:304
	s_waitcnt lgkmcnt(2)
	v_mul_u32_u24_sdwa v68, v0, s15 dst_sel:DWORD dst_unused:UNUSED_PAD src0_sel:WORD_0 src1_sel:DWORD
	v_mul_u32_u24_sdwa v0, v0, s15 dst_sel:DWORD dst_unused:UNUSED_PAD src0_sel:WORD_1 src1_sel:DWORD
	v_mul_u32_u24_sdwa v69, v1, s15 dst_sel:DWORD dst_unused:UNUSED_PAD src0_sel:WORD_0 src1_sel:DWORD
	v_mul_u32_u24_sdwa v1, v1, s15 dst_sel:DWORD dst_unused:UNUSED_PAD src0_sel:WORD_1 src1_sel:DWORD
	v_mul_u32_u24_sdwa v72, v2, s15 dst_sel:DWORD dst_unused:UNUSED_PAD src0_sel:WORD_0 src1_sel:DWORD
	v_mul_u32_u24_sdwa v2, v2, s15 dst_sel:DWORD dst_unused:UNUSED_PAD src0_sel:WORD_1 src1_sel:DWORD
	v_mul_u32_u24_sdwa v74, v3, s15 dst_sel:DWORD dst_unused:UNUSED_PAD src0_sel:WORD_0 src1_sel:DWORD
	v_mul_u32_u24_sdwa v3, v3, s15 dst_sel:DWORD dst_unused:UNUSED_PAD src0_sel:WORD_1 src1_sel:DWORD
	s_waitcnt lgkmcnt(1)
	v_pk_fma_f16 v46, v34, v68, v46
	v_pk_fma_f16 v0, v34, v0, v47
	v_pk_fma_f16 v36, v34, v69, v36
	v_pk_fma_f16 v1, v34, v1, v39
	v_pk_fma_f16 v37, v34, v72, v37
	v_pk_fma_f16 v2, v34, v2, v44
	v_pk_fma_f16 v38, v34, v74, v38
	v_pk_fma_f16 v34, v34, v3, v45
	s_waitcnt lgkmcnt(0)
	v_mul_u32_u24_sdwa v3, v4, s15 dst_sel:DWORD dst_unused:UNUSED_PAD src0_sel:WORD_0 src1_sel:DWORD
	v_mul_u32_u24_sdwa v4, v4, s15 dst_sel:DWORD dst_unused:UNUSED_PAD src0_sel:WORD_1 src1_sel:DWORD
	v_mul_u32_u24_sdwa v39, v5, s15 dst_sel:DWORD dst_unused:UNUSED_PAD src0_sel:WORD_0 src1_sel:DWORD
	v_mul_u32_u24_sdwa v5, v5, s15 dst_sel:DWORD dst_unused:UNUSED_PAD src0_sel:WORD_1 src1_sel:DWORD
	v_mul_u32_u24_sdwa v44, v6, s15 dst_sel:DWORD dst_unused:UNUSED_PAD src0_sel:WORD_0 src1_sel:DWORD
	v_mul_u32_u24_sdwa v6, v6, s15 dst_sel:DWORD dst_unused:UNUSED_PAD src0_sel:WORD_1 src1_sel:DWORD
	v_mul_u32_u24_sdwa v45, v7, s15 dst_sel:DWORD dst_unused:UNUSED_PAD src0_sel:WORD_0 src1_sel:DWORD
	v_mul_u32_u24_sdwa v7, v7, s15 dst_sel:DWORD dst_unused:UNUSED_PAD src0_sel:WORD_1 src1_sel:DWORD
	v_pk_fma_f16 v46, v35, v3, v46
	v_pk_fma_f16 v47, v35, v4, v0
	v_pk_fma_f16 v36, v35, v39, v36
	v_pk_fma_f16 v39, v35, v5, v1
	v_pk_fma_f16 v37, v35, v44, v37
	v_pk_fma_f16 v44, v35, v6, v2
	ds_read_b128 v[0:3], v96 offset:320
	v_pk_fma_f16 v38, v35, v45, v38
	v_pk_fma_f16 v45, v35, v7, v34
	ds_read2_b32 v[34:35], v67 offset0:128 offset1:160
	;; [unrolled: 38-line block ×3, first 2 shown]
	ds_read_b128 v[4:7], v96 offset:368
	s_waitcnt lgkmcnt(2)
	v_mul_u32_u24_sdwa v67, v0, s15 dst_sel:DWORD dst_unused:UNUSED_PAD src0_sel:WORD_0 src1_sel:DWORD
	v_mul_u32_u24_sdwa v0, v0, s15 dst_sel:DWORD dst_unused:UNUSED_PAD src0_sel:WORD_1 src1_sel:DWORD
	v_mul_u32_u24_sdwa v68, v1, s15 dst_sel:DWORD dst_unused:UNUSED_PAD src0_sel:WORD_0 src1_sel:DWORD
	v_mul_u32_u24_sdwa v1, v1, s15 dst_sel:DWORD dst_unused:UNUSED_PAD src0_sel:WORD_1 src1_sel:DWORD
	;; [unrolled: 2-line block ×4, first 2 shown]
	s_waitcnt lgkmcnt(1)
	v_pk_fma_f16 v46, v34, v67, v46
	v_pk_fma_f16 v0, v34, v0, v47
	;; [unrolled: 1-line block ×8, first 2 shown]
	s_waitcnt lgkmcnt(0)
	v_mul_u32_u24_sdwa v3, v4, s15 dst_sel:DWORD dst_unused:UNUSED_PAD src0_sel:WORD_0 src1_sel:DWORD
	v_mul_u32_u24_sdwa v4, v4, s15 dst_sel:DWORD dst_unused:UNUSED_PAD src0_sel:WORD_1 src1_sel:DWORD
	v_mul_u32_u24_sdwa v39, v5, s15 dst_sel:DWORD dst_unused:UNUSED_PAD src0_sel:WORD_0 src1_sel:DWORD
	v_mul_u32_u24_sdwa v5, v5, s15 dst_sel:DWORD dst_unused:UNUSED_PAD src0_sel:WORD_1 src1_sel:DWORD
	;; [unrolled: 2-line block ×4, first 2 shown]
	v_pk_fma_f16 v46, v35, v3, v46
	v_pk_fma_f16 v47, v35, v4, v0
	;; [unrolled: 1-line block ×6, first 2 shown]
	ds_read_b128 v[0:3], v96 offset:384
	v_add_u32_e32 v67, 0xc00, v65
	v_pk_fma_f16 v38, v35, v45, v38
	v_pk_fma_f16 v45, v35, v7, v34
	ds_read2_b32 v[34:35], v67 offset1:32
	ds_read_b128 v[4:7], v96 offset:400
	s_waitcnt lgkmcnt(2)
	v_mul_u32_u24_sdwa v68, v0, s15 dst_sel:DWORD dst_unused:UNUSED_PAD src0_sel:WORD_0 src1_sel:DWORD
	v_mul_u32_u24_sdwa v0, v0, s15 dst_sel:DWORD dst_unused:UNUSED_PAD src0_sel:WORD_1 src1_sel:DWORD
	v_mul_u32_u24_sdwa v69, v1, s15 dst_sel:DWORD dst_unused:UNUSED_PAD src0_sel:WORD_0 src1_sel:DWORD
	v_mul_u32_u24_sdwa v1, v1, s15 dst_sel:DWORD dst_unused:UNUSED_PAD src0_sel:WORD_1 src1_sel:DWORD
	v_mul_u32_u24_sdwa v72, v2, s15 dst_sel:DWORD dst_unused:UNUSED_PAD src0_sel:WORD_0 src1_sel:DWORD
	v_mul_u32_u24_sdwa v2, v2, s15 dst_sel:DWORD dst_unused:UNUSED_PAD src0_sel:WORD_1 src1_sel:DWORD
	v_mul_u32_u24_sdwa v74, v3, s15 dst_sel:DWORD dst_unused:UNUSED_PAD src0_sel:WORD_0 src1_sel:DWORD
	v_mul_u32_u24_sdwa v3, v3, s15 dst_sel:DWORD dst_unused:UNUSED_PAD src0_sel:WORD_1 src1_sel:DWORD
	s_waitcnt lgkmcnt(1)
	v_pk_fma_f16 v46, v34, v68, v46
	v_pk_fma_f16 v0, v34, v0, v47
	v_pk_fma_f16 v36, v34, v69, v36
	v_pk_fma_f16 v1, v34, v1, v39
	v_pk_fma_f16 v37, v34, v72, v37
	v_pk_fma_f16 v2, v34, v2, v44
	v_pk_fma_f16 v38, v34, v74, v38
	v_pk_fma_f16 v34, v34, v3, v45
	s_waitcnt lgkmcnt(0)
	v_mul_u32_u24_sdwa v3, v4, s15 dst_sel:DWORD dst_unused:UNUSED_PAD src0_sel:WORD_0 src1_sel:DWORD
	v_mul_u32_u24_sdwa v4, v4, s15 dst_sel:DWORD dst_unused:UNUSED_PAD src0_sel:WORD_1 src1_sel:DWORD
	v_mul_u32_u24_sdwa v39, v5, s15 dst_sel:DWORD dst_unused:UNUSED_PAD src0_sel:WORD_0 src1_sel:DWORD
	v_mul_u32_u24_sdwa v5, v5, s15 dst_sel:DWORD dst_unused:UNUSED_PAD src0_sel:WORD_1 src1_sel:DWORD
	v_mul_u32_u24_sdwa v44, v6, s15 dst_sel:DWORD dst_unused:UNUSED_PAD src0_sel:WORD_0 src1_sel:DWORD
	v_mul_u32_u24_sdwa v6, v6, s15 dst_sel:DWORD dst_unused:UNUSED_PAD src0_sel:WORD_1 src1_sel:DWORD
	v_mul_u32_u24_sdwa v45, v7, s15 dst_sel:DWORD dst_unused:UNUSED_PAD src0_sel:WORD_0 src1_sel:DWORD
	v_mul_u32_u24_sdwa v7, v7, s15 dst_sel:DWORD dst_unused:UNUSED_PAD src0_sel:WORD_1 src1_sel:DWORD
	v_pk_fma_f16 v46, v35, v3, v46
	v_pk_fma_f16 v47, v35, v4, v0
	v_pk_fma_f16 v36, v35, v39, v36
	v_pk_fma_f16 v39, v35, v5, v1
	v_pk_fma_f16 v37, v35, v44, v37
	v_pk_fma_f16 v44, v35, v6, v2
	ds_read_b128 v[0:3], v96 offset:416
	v_pk_fma_f16 v38, v35, v45, v38
	v_pk_fma_f16 v45, v35, v7, v34
	ds_read2_b32 v[34:35], v67 offset0:64 offset1:96
	ds_read_b128 v[4:7], v96 offset:432
	s_waitcnt lgkmcnt(2)
	v_mul_u32_u24_sdwa v68, v0, s15 dst_sel:DWORD dst_unused:UNUSED_PAD src0_sel:WORD_0 src1_sel:DWORD
	v_mul_u32_u24_sdwa v0, v0, s15 dst_sel:DWORD dst_unused:UNUSED_PAD src0_sel:WORD_1 src1_sel:DWORD
	v_mul_u32_u24_sdwa v69, v1, s15 dst_sel:DWORD dst_unused:UNUSED_PAD src0_sel:WORD_0 src1_sel:DWORD
	v_mul_u32_u24_sdwa v1, v1, s15 dst_sel:DWORD dst_unused:UNUSED_PAD src0_sel:WORD_1 src1_sel:DWORD
	v_mul_u32_u24_sdwa v72, v2, s15 dst_sel:DWORD dst_unused:UNUSED_PAD src0_sel:WORD_0 src1_sel:DWORD
	v_mul_u32_u24_sdwa v2, v2, s15 dst_sel:DWORD dst_unused:UNUSED_PAD src0_sel:WORD_1 src1_sel:DWORD
	v_mul_u32_u24_sdwa v74, v3, s15 dst_sel:DWORD dst_unused:UNUSED_PAD src0_sel:WORD_0 src1_sel:DWORD
	v_mul_u32_u24_sdwa v3, v3, s15 dst_sel:DWORD dst_unused:UNUSED_PAD src0_sel:WORD_1 src1_sel:DWORD
	s_waitcnt lgkmcnt(1)
	v_pk_fma_f16 v46, v34, v68, v46
	v_pk_fma_f16 v0, v34, v0, v47
	v_pk_fma_f16 v36, v34, v69, v36
	v_pk_fma_f16 v1, v34, v1, v39
	v_pk_fma_f16 v37, v34, v72, v37
	v_pk_fma_f16 v2, v34, v2, v44
	v_pk_fma_f16 v38, v34, v74, v38
	v_pk_fma_f16 v34, v34, v3, v45
	s_waitcnt lgkmcnt(0)
	v_mul_u32_u24_sdwa v3, v4, s15 dst_sel:DWORD dst_unused:UNUSED_PAD src0_sel:WORD_0 src1_sel:DWORD
	v_mul_u32_u24_sdwa v4, v4, s15 dst_sel:DWORD dst_unused:UNUSED_PAD src0_sel:WORD_1 src1_sel:DWORD
	v_mul_u32_u24_sdwa v39, v5, s15 dst_sel:DWORD dst_unused:UNUSED_PAD src0_sel:WORD_0 src1_sel:DWORD
	v_mul_u32_u24_sdwa v5, v5, s15 dst_sel:DWORD dst_unused:UNUSED_PAD src0_sel:WORD_1 src1_sel:DWORD
	v_mul_u32_u24_sdwa v44, v6, s15 dst_sel:DWORD dst_unused:UNUSED_PAD src0_sel:WORD_0 src1_sel:DWORD
	v_mul_u32_u24_sdwa v6, v6, s15 dst_sel:DWORD dst_unused:UNUSED_PAD src0_sel:WORD_1 src1_sel:DWORD
	v_mul_u32_u24_sdwa v45, v7, s15 dst_sel:DWORD dst_unused:UNUSED_PAD src0_sel:WORD_0 src1_sel:DWORD
	v_mul_u32_u24_sdwa v7, v7, s15 dst_sel:DWORD dst_unused:UNUSED_PAD src0_sel:WORD_1 src1_sel:DWORD
	v_pk_fma_f16 v46, v35, v3, v46
	v_pk_fma_f16 v47, v35, v4, v0
	v_pk_fma_f16 v36, v35, v39, v36
	v_pk_fma_f16 v39, v35, v5, v1
	v_pk_fma_f16 v37, v35, v44, v37
	v_pk_fma_f16 v44, v35, v6, v2
	ds_read_b128 v[0:3], v96 offset:448
	v_pk_fma_f16 v38, v35, v45, v38
	v_pk_fma_f16 v45, v35, v7, v34
	ds_read2_b32 v[34:35], v67 offset0:128 offset1:160
	;; [unrolled: 38-line block ×3, first 2 shown]
	ds_read_b128 v[4:7], v96 offset:496
	s_waitcnt lgkmcnt(2)
	v_mul_u32_u24_sdwa v67, v0, s15 dst_sel:DWORD dst_unused:UNUSED_PAD src0_sel:WORD_0 src1_sel:DWORD
	v_mul_u32_u24_sdwa v0, v0, s15 dst_sel:DWORD dst_unused:UNUSED_PAD src0_sel:WORD_1 src1_sel:DWORD
	v_mul_u32_u24_sdwa v68, v1, s15 dst_sel:DWORD dst_unused:UNUSED_PAD src0_sel:WORD_0 src1_sel:DWORD
	v_mul_u32_u24_sdwa v1, v1, s15 dst_sel:DWORD dst_unused:UNUSED_PAD src0_sel:WORD_1 src1_sel:DWORD
	v_mul_u32_u24_sdwa v69, v2, s15 dst_sel:DWORD dst_unused:UNUSED_PAD src0_sel:WORD_0 src1_sel:DWORD
	v_mul_u32_u24_sdwa v2, v2, s15 dst_sel:DWORD dst_unused:UNUSED_PAD src0_sel:WORD_1 src1_sel:DWORD
	v_mul_u32_u24_sdwa v72, v3, s15 dst_sel:DWORD dst_unused:UNUSED_PAD src0_sel:WORD_0 src1_sel:DWORD
	v_mul_u32_u24_sdwa v3, v3, s15 dst_sel:DWORD dst_unused:UNUSED_PAD src0_sel:WORD_1 src1_sel:DWORD
	s_waitcnt lgkmcnt(1)
	v_pk_fma_f16 v46, v34, v67, v46
	v_pk_fma_f16 v0, v34, v0, v47
	;; [unrolled: 1-line block ×8, first 2 shown]
	s_waitcnt lgkmcnt(0)
	v_mul_u32_u24_sdwa v3, v4, s15 dst_sel:DWORD dst_unused:UNUSED_PAD src0_sel:WORD_0 src1_sel:DWORD
	v_mul_u32_u24_sdwa v4, v4, s15 dst_sel:DWORD dst_unused:UNUSED_PAD src0_sel:WORD_1 src1_sel:DWORD
	v_mul_u32_u24_sdwa v39, v5, s15 dst_sel:DWORD dst_unused:UNUSED_PAD src0_sel:WORD_0 src1_sel:DWORD
	v_mul_u32_u24_sdwa v5, v5, s15 dst_sel:DWORD dst_unused:UNUSED_PAD src0_sel:WORD_1 src1_sel:DWORD
	;; [unrolled: 2-line block ×4, first 2 shown]
	v_pk_fma_f16 v46, v35, v3, v46
	v_pk_fma_f16 v47, v35, v4, v0
	;; [unrolled: 1-line block ×6, first 2 shown]
	ds_read_b128 v[0:3], v96 offset:512
	v_add_u32_e32 v67, 0x1000, v65
	v_pk_fma_f16 v38, v35, v45, v38
	v_pk_fma_f16 v45, v35, v7, v34
	ds_read2_b32 v[34:35], v67 offset1:32
	ds_read_b128 v[4:7], v96 offset:528
	s_waitcnt lgkmcnt(2)
	v_mul_u32_u24_sdwa v68, v0, s15 dst_sel:DWORD dst_unused:UNUSED_PAD src0_sel:WORD_0 src1_sel:DWORD
	v_mul_u32_u24_sdwa v0, v0, s15 dst_sel:DWORD dst_unused:UNUSED_PAD src0_sel:WORD_1 src1_sel:DWORD
	v_mul_u32_u24_sdwa v69, v1, s15 dst_sel:DWORD dst_unused:UNUSED_PAD src0_sel:WORD_0 src1_sel:DWORD
	v_mul_u32_u24_sdwa v1, v1, s15 dst_sel:DWORD dst_unused:UNUSED_PAD src0_sel:WORD_1 src1_sel:DWORD
	v_mul_u32_u24_sdwa v72, v2, s15 dst_sel:DWORD dst_unused:UNUSED_PAD src0_sel:WORD_0 src1_sel:DWORD
	v_mul_u32_u24_sdwa v2, v2, s15 dst_sel:DWORD dst_unused:UNUSED_PAD src0_sel:WORD_1 src1_sel:DWORD
	v_mul_u32_u24_sdwa v74, v3, s15 dst_sel:DWORD dst_unused:UNUSED_PAD src0_sel:WORD_0 src1_sel:DWORD
	v_mul_u32_u24_sdwa v3, v3, s15 dst_sel:DWORD dst_unused:UNUSED_PAD src0_sel:WORD_1 src1_sel:DWORD
	s_waitcnt lgkmcnt(1)
	v_pk_fma_f16 v46, v34, v68, v46
	v_pk_fma_f16 v0, v34, v0, v47
	v_pk_fma_f16 v36, v34, v69, v36
	v_pk_fma_f16 v1, v34, v1, v39
	v_pk_fma_f16 v37, v34, v72, v37
	v_pk_fma_f16 v2, v34, v2, v44
	v_pk_fma_f16 v38, v34, v74, v38
	v_pk_fma_f16 v34, v34, v3, v45
	s_waitcnt lgkmcnt(0)
	v_mul_u32_u24_sdwa v3, v4, s15 dst_sel:DWORD dst_unused:UNUSED_PAD src0_sel:WORD_0 src1_sel:DWORD
	v_mul_u32_u24_sdwa v4, v4, s15 dst_sel:DWORD dst_unused:UNUSED_PAD src0_sel:WORD_1 src1_sel:DWORD
	v_mul_u32_u24_sdwa v39, v5, s15 dst_sel:DWORD dst_unused:UNUSED_PAD src0_sel:WORD_0 src1_sel:DWORD
	v_mul_u32_u24_sdwa v5, v5, s15 dst_sel:DWORD dst_unused:UNUSED_PAD src0_sel:WORD_1 src1_sel:DWORD
	v_mul_u32_u24_sdwa v44, v6, s15 dst_sel:DWORD dst_unused:UNUSED_PAD src0_sel:WORD_0 src1_sel:DWORD
	v_mul_u32_u24_sdwa v6, v6, s15 dst_sel:DWORD dst_unused:UNUSED_PAD src0_sel:WORD_1 src1_sel:DWORD
	v_mul_u32_u24_sdwa v45, v7, s15 dst_sel:DWORD dst_unused:UNUSED_PAD src0_sel:WORD_0 src1_sel:DWORD
	v_mul_u32_u24_sdwa v7, v7, s15 dst_sel:DWORD dst_unused:UNUSED_PAD src0_sel:WORD_1 src1_sel:DWORD
	v_pk_fma_f16 v46, v35, v3, v46
	v_pk_fma_f16 v47, v35, v4, v0
	v_pk_fma_f16 v36, v35, v39, v36
	v_pk_fma_f16 v39, v35, v5, v1
	v_pk_fma_f16 v37, v35, v44, v37
	v_pk_fma_f16 v44, v35, v6, v2
	ds_read_b128 v[0:3], v96 offset:544
	v_pk_fma_f16 v38, v35, v45, v38
	v_pk_fma_f16 v45, v35, v7, v34
	ds_read2_b32 v[34:35], v67 offset0:64 offset1:96
	ds_read_b128 v[4:7], v96 offset:560
	s_waitcnt lgkmcnt(2)
	v_mul_u32_u24_sdwa v68, v0, s15 dst_sel:DWORD dst_unused:UNUSED_PAD src0_sel:WORD_0 src1_sel:DWORD
	v_mul_u32_u24_sdwa v0, v0, s15 dst_sel:DWORD dst_unused:UNUSED_PAD src0_sel:WORD_1 src1_sel:DWORD
	v_mul_u32_u24_sdwa v69, v1, s15 dst_sel:DWORD dst_unused:UNUSED_PAD src0_sel:WORD_0 src1_sel:DWORD
	v_mul_u32_u24_sdwa v1, v1, s15 dst_sel:DWORD dst_unused:UNUSED_PAD src0_sel:WORD_1 src1_sel:DWORD
	v_mul_u32_u24_sdwa v72, v2, s15 dst_sel:DWORD dst_unused:UNUSED_PAD src0_sel:WORD_0 src1_sel:DWORD
	v_mul_u32_u24_sdwa v2, v2, s15 dst_sel:DWORD dst_unused:UNUSED_PAD src0_sel:WORD_1 src1_sel:DWORD
	v_mul_u32_u24_sdwa v74, v3, s15 dst_sel:DWORD dst_unused:UNUSED_PAD src0_sel:WORD_0 src1_sel:DWORD
	v_mul_u32_u24_sdwa v3, v3, s15 dst_sel:DWORD dst_unused:UNUSED_PAD src0_sel:WORD_1 src1_sel:DWORD
	s_waitcnt lgkmcnt(1)
	v_pk_fma_f16 v46, v34, v68, v46
	v_pk_fma_f16 v0, v34, v0, v47
	v_pk_fma_f16 v36, v34, v69, v36
	v_pk_fma_f16 v1, v34, v1, v39
	v_pk_fma_f16 v37, v34, v72, v37
	v_pk_fma_f16 v2, v34, v2, v44
	v_pk_fma_f16 v38, v34, v74, v38
	v_pk_fma_f16 v34, v34, v3, v45
	s_waitcnt lgkmcnt(0)
	v_mul_u32_u24_sdwa v3, v4, s15 dst_sel:DWORD dst_unused:UNUSED_PAD src0_sel:WORD_0 src1_sel:DWORD
	v_mul_u32_u24_sdwa v4, v4, s15 dst_sel:DWORD dst_unused:UNUSED_PAD src0_sel:WORD_1 src1_sel:DWORD
	v_mul_u32_u24_sdwa v39, v5, s15 dst_sel:DWORD dst_unused:UNUSED_PAD src0_sel:WORD_0 src1_sel:DWORD
	v_mul_u32_u24_sdwa v5, v5, s15 dst_sel:DWORD dst_unused:UNUSED_PAD src0_sel:WORD_1 src1_sel:DWORD
	v_mul_u32_u24_sdwa v44, v6, s15 dst_sel:DWORD dst_unused:UNUSED_PAD src0_sel:WORD_0 src1_sel:DWORD
	v_mul_u32_u24_sdwa v6, v6, s15 dst_sel:DWORD dst_unused:UNUSED_PAD src0_sel:WORD_1 src1_sel:DWORD
	v_mul_u32_u24_sdwa v45, v7, s15 dst_sel:DWORD dst_unused:UNUSED_PAD src0_sel:WORD_0 src1_sel:DWORD
	v_mul_u32_u24_sdwa v7, v7, s15 dst_sel:DWORD dst_unused:UNUSED_PAD src0_sel:WORD_1 src1_sel:DWORD
	v_pk_fma_f16 v46, v35, v3, v46
	v_pk_fma_f16 v47, v35, v4, v0
	v_pk_fma_f16 v36, v35, v39, v36
	v_pk_fma_f16 v39, v35, v5, v1
	v_pk_fma_f16 v37, v35, v44, v37
	v_pk_fma_f16 v44, v35, v6, v2
	ds_read_b128 v[0:3], v96 offset:576
	v_pk_fma_f16 v38, v35, v45, v38
	v_pk_fma_f16 v45, v35, v7, v34
	ds_read2_b32 v[34:35], v67 offset0:128 offset1:160
	;; [unrolled: 38-line block ×3, first 2 shown]
	ds_read_b128 v[4:7], v96 offset:624
	s_waitcnt lgkmcnt(2)
	v_mul_u32_u24_sdwa v67, v0, s15 dst_sel:DWORD dst_unused:UNUSED_PAD src0_sel:WORD_0 src1_sel:DWORD
	v_mul_u32_u24_sdwa v0, v0, s15 dst_sel:DWORD dst_unused:UNUSED_PAD src0_sel:WORD_1 src1_sel:DWORD
	v_mul_u32_u24_sdwa v68, v1, s15 dst_sel:DWORD dst_unused:UNUSED_PAD src0_sel:WORD_0 src1_sel:DWORD
	v_mul_u32_u24_sdwa v1, v1, s15 dst_sel:DWORD dst_unused:UNUSED_PAD src0_sel:WORD_1 src1_sel:DWORD
	;; [unrolled: 2-line block ×4, first 2 shown]
	s_waitcnt lgkmcnt(1)
	v_pk_fma_f16 v46, v34, v67, v46
	v_pk_fma_f16 v0, v34, v0, v47
	v_pk_fma_f16 v36, v34, v68, v36
	v_pk_fma_f16 v1, v34, v1, v39
	v_pk_fma_f16 v37, v34, v69, v37
	v_pk_fma_f16 v2, v34, v2, v44
	v_pk_fma_f16 v38, v34, v72, v38
	v_pk_fma_f16 v34, v34, v3, v45
	s_waitcnt lgkmcnt(0)
	v_mul_u32_u24_sdwa v3, v4, s15 dst_sel:DWORD dst_unused:UNUSED_PAD src0_sel:WORD_0 src1_sel:DWORD
	v_mul_u32_u24_sdwa v4, v4, s15 dst_sel:DWORD dst_unused:UNUSED_PAD src0_sel:WORD_1 src1_sel:DWORD
	v_mul_u32_u24_sdwa v39, v5, s15 dst_sel:DWORD dst_unused:UNUSED_PAD src0_sel:WORD_0 src1_sel:DWORD
	v_mul_u32_u24_sdwa v5, v5, s15 dst_sel:DWORD dst_unused:UNUSED_PAD src0_sel:WORD_1 src1_sel:DWORD
	;; [unrolled: 2-line block ×4, first 2 shown]
	v_pk_fma_f16 v46, v35, v3, v46
	v_pk_fma_f16 v47, v35, v4, v0
	;; [unrolled: 1-line block ×6, first 2 shown]
	ds_read_b128 v[0:3], v96 offset:640
	v_add_u32_e32 v67, 0x1400, v65
	v_pk_fma_f16 v38, v35, v45, v38
	v_pk_fma_f16 v45, v35, v7, v34
	ds_read2_b32 v[34:35], v67 offset1:32
	ds_read_b128 v[4:7], v96 offset:656
	s_waitcnt lgkmcnt(2)
	v_mul_u32_u24_sdwa v68, v0, s15 dst_sel:DWORD dst_unused:UNUSED_PAD src0_sel:WORD_0 src1_sel:DWORD
	v_mul_u32_u24_sdwa v0, v0, s15 dst_sel:DWORD dst_unused:UNUSED_PAD src0_sel:WORD_1 src1_sel:DWORD
	v_mul_u32_u24_sdwa v69, v1, s15 dst_sel:DWORD dst_unused:UNUSED_PAD src0_sel:WORD_0 src1_sel:DWORD
	v_mul_u32_u24_sdwa v1, v1, s15 dst_sel:DWORD dst_unused:UNUSED_PAD src0_sel:WORD_1 src1_sel:DWORD
	v_mul_u32_u24_sdwa v72, v2, s15 dst_sel:DWORD dst_unused:UNUSED_PAD src0_sel:WORD_0 src1_sel:DWORD
	v_mul_u32_u24_sdwa v2, v2, s15 dst_sel:DWORD dst_unused:UNUSED_PAD src0_sel:WORD_1 src1_sel:DWORD
	v_mul_u32_u24_sdwa v74, v3, s15 dst_sel:DWORD dst_unused:UNUSED_PAD src0_sel:WORD_0 src1_sel:DWORD
	v_mul_u32_u24_sdwa v3, v3, s15 dst_sel:DWORD dst_unused:UNUSED_PAD src0_sel:WORD_1 src1_sel:DWORD
	s_waitcnt lgkmcnt(1)
	v_pk_fma_f16 v46, v34, v68, v46
	v_pk_fma_f16 v0, v34, v0, v47
	v_pk_fma_f16 v36, v34, v69, v36
	v_pk_fma_f16 v1, v34, v1, v39
	v_pk_fma_f16 v37, v34, v72, v37
	v_pk_fma_f16 v2, v34, v2, v44
	v_pk_fma_f16 v38, v34, v74, v38
	v_pk_fma_f16 v34, v34, v3, v45
	s_waitcnt lgkmcnt(0)
	v_mul_u32_u24_sdwa v3, v4, s15 dst_sel:DWORD dst_unused:UNUSED_PAD src0_sel:WORD_0 src1_sel:DWORD
	v_mul_u32_u24_sdwa v4, v4, s15 dst_sel:DWORD dst_unused:UNUSED_PAD src0_sel:WORD_1 src1_sel:DWORD
	v_mul_u32_u24_sdwa v39, v5, s15 dst_sel:DWORD dst_unused:UNUSED_PAD src0_sel:WORD_0 src1_sel:DWORD
	v_mul_u32_u24_sdwa v5, v5, s15 dst_sel:DWORD dst_unused:UNUSED_PAD src0_sel:WORD_1 src1_sel:DWORD
	v_mul_u32_u24_sdwa v44, v6, s15 dst_sel:DWORD dst_unused:UNUSED_PAD src0_sel:WORD_0 src1_sel:DWORD
	v_mul_u32_u24_sdwa v6, v6, s15 dst_sel:DWORD dst_unused:UNUSED_PAD src0_sel:WORD_1 src1_sel:DWORD
	v_mul_u32_u24_sdwa v45, v7, s15 dst_sel:DWORD dst_unused:UNUSED_PAD src0_sel:WORD_0 src1_sel:DWORD
	v_mul_u32_u24_sdwa v7, v7, s15 dst_sel:DWORD dst_unused:UNUSED_PAD src0_sel:WORD_1 src1_sel:DWORD
	v_pk_fma_f16 v46, v35, v3, v46
	v_pk_fma_f16 v47, v35, v4, v0
	v_pk_fma_f16 v36, v35, v39, v36
	v_pk_fma_f16 v39, v35, v5, v1
	v_pk_fma_f16 v37, v35, v44, v37
	v_pk_fma_f16 v44, v35, v6, v2
	ds_read_b128 v[0:3], v96 offset:672
	v_pk_fma_f16 v38, v35, v45, v38
	v_pk_fma_f16 v45, v35, v7, v34
	ds_read2_b32 v[34:35], v67 offset0:64 offset1:96
	ds_read_b128 v[4:7], v96 offset:688
	s_waitcnt lgkmcnt(2)
	v_mul_u32_u24_sdwa v68, v0, s15 dst_sel:DWORD dst_unused:UNUSED_PAD src0_sel:WORD_0 src1_sel:DWORD
	v_mul_u32_u24_sdwa v0, v0, s15 dst_sel:DWORD dst_unused:UNUSED_PAD src0_sel:WORD_1 src1_sel:DWORD
	v_mul_u32_u24_sdwa v69, v1, s15 dst_sel:DWORD dst_unused:UNUSED_PAD src0_sel:WORD_0 src1_sel:DWORD
	v_mul_u32_u24_sdwa v1, v1, s15 dst_sel:DWORD dst_unused:UNUSED_PAD src0_sel:WORD_1 src1_sel:DWORD
	v_mul_u32_u24_sdwa v72, v2, s15 dst_sel:DWORD dst_unused:UNUSED_PAD src0_sel:WORD_0 src1_sel:DWORD
	v_mul_u32_u24_sdwa v2, v2, s15 dst_sel:DWORD dst_unused:UNUSED_PAD src0_sel:WORD_1 src1_sel:DWORD
	v_mul_u32_u24_sdwa v74, v3, s15 dst_sel:DWORD dst_unused:UNUSED_PAD src0_sel:WORD_0 src1_sel:DWORD
	v_mul_u32_u24_sdwa v3, v3, s15 dst_sel:DWORD dst_unused:UNUSED_PAD src0_sel:WORD_1 src1_sel:DWORD
	s_waitcnt lgkmcnt(1)
	v_pk_fma_f16 v46, v34, v68, v46
	v_pk_fma_f16 v0, v34, v0, v47
	v_pk_fma_f16 v36, v34, v69, v36
	v_pk_fma_f16 v1, v34, v1, v39
	v_pk_fma_f16 v37, v34, v72, v37
	v_pk_fma_f16 v2, v34, v2, v44
	v_pk_fma_f16 v38, v34, v74, v38
	v_pk_fma_f16 v34, v34, v3, v45
	s_waitcnt lgkmcnt(0)
	v_mul_u32_u24_sdwa v3, v4, s15 dst_sel:DWORD dst_unused:UNUSED_PAD src0_sel:WORD_0 src1_sel:DWORD
	v_mul_u32_u24_sdwa v4, v4, s15 dst_sel:DWORD dst_unused:UNUSED_PAD src0_sel:WORD_1 src1_sel:DWORD
	v_mul_u32_u24_sdwa v39, v5, s15 dst_sel:DWORD dst_unused:UNUSED_PAD src0_sel:WORD_0 src1_sel:DWORD
	v_mul_u32_u24_sdwa v5, v5, s15 dst_sel:DWORD dst_unused:UNUSED_PAD src0_sel:WORD_1 src1_sel:DWORD
	v_mul_u32_u24_sdwa v44, v6, s15 dst_sel:DWORD dst_unused:UNUSED_PAD src0_sel:WORD_0 src1_sel:DWORD
	v_mul_u32_u24_sdwa v6, v6, s15 dst_sel:DWORD dst_unused:UNUSED_PAD src0_sel:WORD_1 src1_sel:DWORD
	v_mul_u32_u24_sdwa v45, v7, s15 dst_sel:DWORD dst_unused:UNUSED_PAD src0_sel:WORD_0 src1_sel:DWORD
	v_mul_u32_u24_sdwa v7, v7, s15 dst_sel:DWORD dst_unused:UNUSED_PAD src0_sel:WORD_1 src1_sel:DWORD
	v_pk_fma_f16 v46, v35, v3, v46
	v_pk_fma_f16 v47, v35, v4, v0
	v_pk_fma_f16 v36, v35, v39, v36
	v_pk_fma_f16 v39, v35, v5, v1
	v_pk_fma_f16 v37, v35, v44, v37
	v_pk_fma_f16 v44, v35, v6, v2
	ds_read_b128 v[0:3], v96 offset:704
	v_pk_fma_f16 v38, v35, v45, v38
	v_pk_fma_f16 v45, v35, v7, v34
	ds_read2_b32 v[34:35], v67 offset0:128 offset1:160
	;; [unrolled: 38-line block ×3, first 2 shown]
	ds_read_b128 v[4:7], v96 offset:752
	s_waitcnt lgkmcnt(2)
	v_mul_u32_u24_sdwa v67, v0, s15 dst_sel:DWORD dst_unused:UNUSED_PAD src0_sel:WORD_0 src1_sel:DWORD
	v_mul_u32_u24_sdwa v0, v0, s15 dst_sel:DWORD dst_unused:UNUSED_PAD src0_sel:WORD_1 src1_sel:DWORD
	v_mul_u32_u24_sdwa v68, v1, s15 dst_sel:DWORD dst_unused:UNUSED_PAD src0_sel:WORD_0 src1_sel:DWORD
	v_mul_u32_u24_sdwa v1, v1, s15 dst_sel:DWORD dst_unused:UNUSED_PAD src0_sel:WORD_1 src1_sel:DWORD
	;; [unrolled: 2-line block ×4, first 2 shown]
	s_waitcnt lgkmcnt(1)
	v_pk_fma_f16 v46, v34, v67, v46
	v_pk_fma_f16 v0, v34, v0, v47
	;; [unrolled: 1-line block ×8, first 2 shown]
	s_waitcnt lgkmcnt(0)
	v_mul_u32_u24_sdwa v3, v4, s15 dst_sel:DWORD dst_unused:UNUSED_PAD src0_sel:WORD_0 src1_sel:DWORD
	v_mul_u32_u24_sdwa v4, v4, s15 dst_sel:DWORD dst_unused:UNUSED_PAD src0_sel:WORD_1 src1_sel:DWORD
	v_mul_u32_u24_sdwa v39, v5, s15 dst_sel:DWORD dst_unused:UNUSED_PAD src0_sel:WORD_0 src1_sel:DWORD
	v_mul_u32_u24_sdwa v5, v5, s15 dst_sel:DWORD dst_unused:UNUSED_PAD src0_sel:WORD_1 src1_sel:DWORD
	;; [unrolled: 2-line block ×4, first 2 shown]
	v_pk_fma_f16 v46, v35, v3, v46
	v_pk_fma_f16 v47, v35, v4, v0
	;; [unrolled: 1-line block ×6, first 2 shown]
	ds_read_b128 v[0:3], v96 offset:768
	v_add_u32_e32 v67, 0x1800, v65
	v_pk_fma_f16 v38, v35, v45, v38
	v_pk_fma_f16 v45, v35, v7, v34
	ds_read2_b32 v[34:35], v67 offset1:32
	ds_read_b128 v[4:7], v96 offset:784
	s_waitcnt lgkmcnt(2)
	v_mul_u32_u24_sdwa v68, v0, s15 dst_sel:DWORD dst_unused:UNUSED_PAD src0_sel:WORD_0 src1_sel:DWORD
	v_mul_u32_u24_sdwa v0, v0, s15 dst_sel:DWORD dst_unused:UNUSED_PAD src0_sel:WORD_1 src1_sel:DWORD
	v_mul_u32_u24_sdwa v69, v1, s15 dst_sel:DWORD dst_unused:UNUSED_PAD src0_sel:WORD_0 src1_sel:DWORD
	v_mul_u32_u24_sdwa v1, v1, s15 dst_sel:DWORD dst_unused:UNUSED_PAD src0_sel:WORD_1 src1_sel:DWORD
	v_mul_u32_u24_sdwa v72, v2, s15 dst_sel:DWORD dst_unused:UNUSED_PAD src0_sel:WORD_0 src1_sel:DWORD
	v_mul_u32_u24_sdwa v2, v2, s15 dst_sel:DWORD dst_unused:UNUSED_PAD src0_sel:WORD_1 src1_sel:DWORD
	v_mul_u32_u24_sdwa v74, v3, s15 dst_sel:DWORD dst_unused:UNUSED_PAD src0_sel:WORD_0 src1_sel:DWORD
	v_mul_u32_u24_sdwa v3, v3, s15 dst_sel:DWORD dst_unused:UNUSED_PAD src0_sel:WORD_1 src1_sel:DWORD
	s_waitcnt lgkmcnt(1)
	v_pk_fma_f16 v46, v34, v68, v46
	v_pk_fma_f16 v0, v34, v0, v47
	v_pk_fma_f16 v36, v34, v69, v36
	v_pk_fma_f16 v1, v34, v1, v39
	v_pk_fma_f16 v37, v34, v72, v37
	v_pk_fma_f16 v2, v34, v2, v44
	v_pk_fma_f16 v38, v34, v74, v38
	v_pk_fma_f16 v34, v34, v3, v45
	s_waitcnt lgkmcnt(0)
	v_mul_u32_u24_sdwa v3, v4, s15 dst_sel:DWORD dst_unused:UNUSED_PAD src0_sel:WORD_0 src1_sel:DWORD
	v_mul_u32_u24_sdwa v4, v4, s15 dst_sel:DWORD dst_unused:UNUSED_PAD src0_sel:WORD_1 src1_sel:DWORD
	v_mul_u32_u24_sdwa v39, v5, s15 dst_sel:DWORD dst_unused:UNUSED_PAD src0_sel:WORD_0 src1_sel:DWORD
	v_mul_u32_u24_sdwa v5, v5, s15 dst_sel:DWORD dst_unused:UNUSED_PAD src0_sel:WORD_1 src1_sel:DWORD
	v_mul_u32_u24_sdwa v44, v6, s15 dst_sel:DWORD dst_unused:UNUSED_PAD src0_sel:WORD_0 src1_sel:DWORD
	v_mul_u32_u24_sdwa v6, v6, s15 dst_sel:DWORD dst_unused:UNUSED_PAD src0_sel:WORD_1 src1_sel:DWORD
	v_mul_u32_u24_sdwa v45, v7, s15 dst_sel:DWORD dst_unused:UNUSED_PAD src0_sel:WORD_0 src1_sel:DWORD
	v_mul_u32_u24_sdwa v7, v7, s15 dst_sel:DWORD dst_unused:UNUSED_PAD src0_sel:WORD_1 src1_sel:DWORD
	v_pk_fma_f16 v46, v35, v3, v46
	v_pk_fma_f16 v47, v35, v4, v0
	v_pk_fma_f16 v36, v35, v39, v36
	v_pk_fma_f16 v39, v35, v5, v1
	v_pk_fma_f16 v37, v35, v44, v37
	v_pk_fma_f16 v44, v35, v6, v2
	ds_read_b128 v[0:3], v96 offset:800
	v_pk_fma_f16 v38, v35, v45, v38
	v_pk_fma_f16 v45, v35, v7, v34
	ds_read2_b32 v[34:35], v67 offset0:64 offset1:96
	ds_read_b128 v[4:7], v96 offset:816
	s_waitcnt lgkmcnt(2)
	v_mul_u32_u24_sdwa v68, v0, s15 dst_sel:DWORD dst_unused:UNUSED_PAD src0_sel:WORD_0 src1_sel:DWORD
	v_mul_u32_u24_sdwa v0, v0, s15 dst_sel:DWORD dst_unused:UNUSED_PAD src0_sel:WORD_1 src1_sel:DWORD
	v_mul_u32_u24_sdwa v69, v1, s15 dst_sel:DWORD dst_unused:UNUSED_PAD src0_sel:WORD_0 src1_sel:DWORD
	v_mul_u32_u24_sdwa v1, v1, s15 dst_sel:DWORD dst_unused:UNUSED_PAD src0_sel:WORD_1 src1_sel:DWORD
	v_mul_u32_u24_sdwa v72, v2, s15 dst_sel:DWORD dst_unused:UNUSED_PAD src0_sel:WORD_0 src1_sel:DWORD
	v_mul_u32_u24_sdwa v2, v2, s15 dst_sel:DWORD dst_unused:UNUSED_PAD src0_sel:WORD_1 src1_sel:DWORD
	v_mul_u32_u24_sdwa v74, v3, s15 dst_sel:DWORD dst_unused:UNUSED_PAD src0_sel:WORD_0 src1_sel:DWORD
	v_mul_u32_u24_sdwa v3, v3, s15 dst_sel:DWORD dst_unused:UNUSED_PAD src0_sel:WORD_1 src1_sel:DWORD
	s_waitcnt lgkmcnt(1)
	v_pk_fma_f16 v46, v34, v68, v46
	v_pk_fma_f16 v0, v34, v0, v47
	v_pk_fma_f16 v36, v34, v69, v36
	v_pk_fma_f16 v1, v34, v1, v39
	v_pk_fma_f16 v37, v34, v72, v37
	v_pk_fma_f16 v2, v34, v2, v44
	v_pk_fma_f16 v38, v34, v74, v38
	v_pk_fma_f16 v34, v34, v3, v45
	s_waitcnt lgkmcnt(0)
	v_mul_u32_u24_sdwa v3, v4, s15 dst_sel:DWORD dst_unused:UNUSED_PAD src0_sel:WORD_0 src1_sel:DWORD
	v_mul_u32_u24_sdwa v4, v4, s15 dst_sel:DWORD dst_unused:UNUSED_PAD src0_sel:WORD_1 src1_sel:DWORD
	v_mul_u32_u24_sdwa v39, v5, s15 dst_sel:DWORD dst_unused:UNUSED_PAD src0_sel:WORD_0 src1_sel:DWORD
	v_mul_u32_u24_sdwa v5, v5, s15 dst_sel:DWORD dst_unused:UNUSED_PAD src0_sel:WORD_1 src1_sel:DWORD
	v_mul_u32_u24_sdwa v44, v6, s15 dst_sel:DWORD dst_unused:UNUSED_PAD src0_sel:WORD_0 src1_sel:DWORD
	v_mul_u32_u24_sdwa v6, v6, s15 dst_sel:DWORD dst_unused:UNUSED_PAD src0_sel:WORD_1 src1_sel:DWORD
	v_mul_u32_u24_sdwa v45, v7, s15 dst_sel:DWORD dst_unused:UNUSED_PAD src0_sel:WORD_0 src1_sel:DWORD
	v_mul_u32_u24_sdwa v7, v7, s15 dst_sel:DWORD dst_unused:UNUSED_PAD src0_sel:WORD_1 src1_sel:DWORD
	v_pk_fma_f16 v46, v35, v3, v46
	v_pk_fma_f16 v47, v35, v4, v0
	v_pk_fma_f16 v36, v35, v39, v36
	v_pk_fma_f16 v39, v35, v5, v1
	v_pk_fma_f16 v37, v35, v44, v37
	v_pk_fma_f16 v44, v35, v6, v2
	ds_read_b128 v[0:3], v96 offset:832
	v_pk_fma_f16 v38, v35, v45, v38
	v_pk_fma_f16 v45, v35, v7, v34
	ds_read2_b32 v[34:35], v67 offset0:128 offset1:160
	;; [unrolled: 38-line block ×3, first 2 shown]
	ds_read_b128 v[4:7], v96 offset:880
	s_waitcnt lgkmcnt(2)
	v_mul_u32_u24_sdwa v67, v0, s15 dst_sel:DWORD dst_unused:UNUSED_PAD src0_sel:WORD_0 src1_sel:DWORD
	v_mul_u32_u24_sdwa v0, v0, s15 dst_sel:DWORD dst_unused:UNUSED_PAD src0_sel:WORD_1 src1_sel:DWORD
	v_mul_u32_u24_sdwa v68, v1, s15 dst_sel:DWORD dst_unused:UNUSED_PAD src0_sel:WORD_0 src1_sel:DWORD
	v_mul_u32_u24_sdwa v1, v1, s15 dst_sel:DWORD dst_unused:UNUSED_PAD src0_sel:WORD_1 src1_sel:DWORD
	;; [unrolled: 2-line block ×4, first 2 shown]
	s_waitcnt lgkmcnt(1)
	v_pk_fma_f16 v46, v34, v67, v46
	v_pk_fma_f16 v0, v34, v0, v47
	;; [unrolled: 1-line block ×8, first 2 shown]
	s_waitcnt lgkmcnt(0)
	v_mul_u32_u24_sdwa v3, v4, s15 dst_sel:DWORD dst_unused:UNUSED_PAD src0_sel:WORD_0 src1_sel:DWORD
	v_mul_u32_u24_sdwa v4, v4, s15 dst_sel:DWORD dst_unused:UNUSED_PAD src0_sel:WORD_1 src1_sel:DWORD
	v_mul_u32_u24_sdwa v39, v5, s15 dst_sel:DWORD dst_unused:UNUSED_PAD src0_sel:WORD_0 src1_sel:DWORD
	v_mul_u32_u24_sdwa v5, v5, s15 dst_sel:DWORD dst_unused:UNUSED_PAD src0_sel:WORD_1 src1_sel:DWORD
	;; [unrolled: 2-line block ×4, first 2 shown]
	v_pk_fma_f16 v46, v35, v3, v46
	v_pk_fma_f16 v47, v35, v4, v0
	;; [unrolled: 1-line block ×6, first 2 shown]
	ds_read_b128 v[0:3], v96 offset:896
	v_add_u32_e32 v67, 0x1c00, v65
	v_pk_fma_f16 v38, v35, v45, v38
	v_pk_fma_f16 v45, v35, v7, v34
	ds_read2_b32 v[34:35], v67 offset1:32
	ds_read_b128 v[4:7], v96 offset:912
	s_waitcnt lgkmcnt(2)
	v_mul_u32_u24_sdwa v68, v0, s15 dst_sel:DWORD dst_unused:UNUSED_PAD src0_sel:WORD_0 src1_sel:DWORD
	v_mul_u32_u24_sdwa v0, v0, s15 dst_sel:DWORD dst_unused:UNUSED_PAD src0_sel:WORD_1 src1_sel:DWORD
	v_mul_u32_u24_sdwa v69, v1, s15 dst_sel:DWORD dst_unused:UNUSED_PAD src0_sel:WORD_0 src1_sel:DWORD
	v_mul_u32_u24_sdwa v1, v1, s15 dst_sel:DWORD dst_unused:UNUSED_PAD src0_sel:WORD_1 src1_sel:DWORD
	v_mul_u32_u24_sdwa v72, v2, s15 dst_sel:DWORD dst_unused:UNUSED_PAD src0_sel:WORD_0 src1_sel:DWORD
	v_mul_u32_u24_sdwa v2, v2, s15 dst_sel:DWORD dst_unused:UNUSED_PAD src0_sel:WORD_1 src1_sel:DWORD
	v_mul_u32_u24_sdwa v74, v3, s15 dst_sel:DWORD dst_unused:UNUSED_PAD src0_sel:WORD_0 src1_sel:DWORD
	v_mul_u32_u24_sdwa v3, v3, s15 dst_sel:DWORD dst_unused:UNUSED_PAD src0_sel:WORD_1 src1_sel:DWORD
	s_waitcnt lgkmcnt(1)
	v_pk_fma_f16 v46, v34, v68, v46
	v_pk_fma_f16 v0, v34, v0, v47
	v_pk_fma_f16 v36, v34, v69, v36
	v_pk_fma_f16 v1, v34, v1, v39
	v_pk_fma_f16 v37, v34, v72, v37
	v_pk_fma_f16 v2, v34, v2, v44
	v_pk_fma_f16 v38, v34, v74, v38
	v_pk_fma_f16 v34, v34, v3, v45
	s_waitcnt lgkmcnt(0)
	v_mul_u32_u24_sdwa v3, v4, s15 dst_sel:DWORD dst_unused:UNUSED_PAD src0_sel:WORD_0 src1_sel:DWORD
	v_mul_u32_u24_sdwa v4, v4, s15 dst_sel:DWORD dst_unused:UNUSED_PAD src0_sel:WORD_1 src1_sel:DWORD
	v_mul_u32_u24_sdwa v39, v5, s15 dst_sel:DWORD dst_unused:UNUSED_PAD src0_sel:WORD_0 src1_sel:DWORD
	v_mul_u32_u24_sdwa v5, v5, s15 dst_sel:DWORD dst_unused:UNUSED_PAD src0_sel:WORD_1 src1_sel:DWORD
	v_mul_u32_u24_sdwa v44, v6, s15 dst_sel:DWORD dst_unused:UNUSED_PAD src0_sel:WORD_0 src1_sel:DWORD
	v_mul_u32_u24_sdwa v6, v6, s15 dst_sel:DWORD dst_unused:UNUSED_PAD src0_sel:WORD_1 src1_sel:DWORD
	v_mul_u32_u24_sdwa v45, v7, s15 dst_sel:DWORD dst_unused:UNUSED_PAD src0_sel:WORD_0 src1_sel:DWORD
	v_mul_u32_u24_sdwa v7, v7, s15 dst_sel:DWORD dst_unused:UNUSED_PAD src0_sel:WORD_1 src1_sel:DWORD
	v_pk_fma_f16 v46, v35, v3, v46
	v_pk_fma_f16 v47, v35, v4, v0
	v_pk_fma_f16 v36, v35, v39, v36
	v_pk_fma_f16 v39, v35, v5, v1
	v_pk_fma_f16 v37, v35, v44, v37
	v_pk_fma_f16 v44, v35, v6, v2
	ds_read_b128 v[0:3], v96 offset:928
	v_pk_fma_f16 v38, v35, v45, v38
	v_pk_fma_f16 v45, v35, v7, v34
	ds_read2_b32 v[34:35], v67 offset0:64 offset1:96
	ds_read_b128 v[4:7], v96 offset:944
	s_waitcnt lgkmcnt(2)
	v_mul_u32_u24_sdwa v68, v0, s15 dst_sel:DWORD dst_unused:UNUSED_PAD src0_sel:WORD_0 src1_sel:DWORD
	v_mul_u32_u24_sdwa v0, v0, s15 dst_sel:DWORD dst_unused:UNUSED_PAD src0_sel:WORD_1 src1_sel:DWORD
	v_mul_u32_u24_sdwa v69, v1, s15 dst_sel:DWORD dst_unused:UNUSED_PAD src0_sel:WORD_0 src1_sel:DWORD
	v_mul_u32_u24_sdwa v1, v1, s15 dst_sel:DWORD dst_unused:UNUSED_PAD src0_sel:WORD_1 src1_sel:DWORD
	v_mul_u32_u24_sdwa v72, v2, s15 dst_sel:DWORD dst_unused:UNUSED_PAD src0_sel:WORD_0 src1_sel:DWORD
	v_mul_u32_u24_sdwa v2, v2, s15 dst_sel:DWORD dst_unused:UNUSED_PAD src0_sel:WORD_1 src1_sel:DWORD
	v_mul_u32_u24_sdwa v74, v3, s15 dst_sel:DWORD dst_unused:UNUSED_PAD src0_sel:WORD_0 src1_sel:DWORD
	v_mul_u32_u24_sdwa v3, v3, s15 dst_sel:DWORD dst_unused:UNUSED_PAD src0_sel:WORD_1 src1_sel:DWORD
	s_waitcnt lgkmcnt(1)
	v_pk_fma_f16 v46, v34, v68, v46
	v_pk_fma_f16 v0, v34, v0, v47
	v_pk_fma_f16 v36, v34, v69, v36
	v_pk_fma_f16 v1, v34, v1, v39
	v_pk_fma_f16 v37, v34, v72, v37
	v_pk_fma_f16 v2, v34, v2, v44
	v_pk_fma_f16 v38, v34, v74, v38
	v_pk_fma_f16 v34, v34, v3, v45
	s_waitcnt lgkmcnt(0)
	v_mul_u32_u24_sdwa v3, v4, s15 dst_sel:DWORD dst_unused:UNUSED_PAD src0_sel:WORD_0 src1_sel:DWORD
	v_mul_u32_u24_sdwa v4, v4, s15 dst_sel:DWORD dst_unused:UNUSED_PAD src0_sel:WORD_1 src1_sel:DWORD
	v_mul_u32_u24_sdwa v39, v5, s15 dst_sel:DWORD dst_unused:UNUSED_PAD src0_sel:WORD_0 src1_sel:DWORD
	v_mul_u32_u24_sdwa v5, v5, s15 dst_sel:DWORD dst_unused:UNUSED_PAD src0_sel:WORD_1 src1_sel:DWORD
	v_mul_u32_u24_sdwa v44, v6, s15 dst_sel:DWORD dst_unused:UNUSED_PAD src0_sel:WORD_0 src1_sel:DWORD
	v_mul_u32_u24_sdwa v6, v6, s15 dst_sel:DWORD dst_unused:UNUSED_PAD src0_sel:WORD_1 src1_sel:DWORD
	v_mul_u32_u24_sdwa v45, v7, s15 dst_sel:DWORD dst_unused:UNUSED_PAD src0_sel:WORD_0 src1_sel:DWORD
	v_mul_u32_u24_sdwa v7, v7, s15 dst_sel:DWORD dst_unused:UNUSED_PAD src0_sel:WORD_1 src1_sel:DWORD
	v_pk_fma_f16 v46, v35, v3, v46
	v_pk_fma_f16 v47, v35, v4, v0
	v_pk_fma_f16 v36, v35, v39, v36
	v_pk_fma_f16 v39, v35, v5, v1
	v_pk_fma_f16 v37, v35, v44, v37
	v_pk_fma_f16 v44, v35, v6, v2
	ds_read_b128 v[0:3], v96 offset:960
	v_pk_fma_f16 v38, v35, v45, v38
	v_pk_fma_f16 v45, v35, v7, v34
	ds_read2_b32 v[34:35], v67 offset0:128 offset1:160
	;; [unrolled: 38-line block ×3, first 2 shown]
	ds_read_b128 v[4:7], v96 offset:1008
	s_waitcnt lgkmcnt(0)
	s_barrier
	s_load_dword s31, s[6:7], 0x4
	v_mul_u32_u24_sdwa v67, v0, s15 dst_sel:DWORD dst_unused:UNUSED_PAD src0_sel:WORD_0 src1_sel:DWORD
	v_mul_u32_u24_sdwa v0, v0, s15 dst_sel:DWORD dst_unused:UNUSED_PAD src0_sel:WORD_1 src1_sel:DWORD
	v_mul_u32_u24_sdwa v68, v1, s15 dst_sel:DWORD dst_unused:UNUSED_PAD src0_sel:WORD_0 src1_sel:DWORD
	v_mul_u32_u24_sdwa v1, v1, s15 dst_sel:DWORD dst_unused:UNUSED_PAD src0_sel:WORD_1 src1_sel:DWORD
	;; [unrolled: 2-line block ×4, first 2 shown]
	s_waitcnt lgkmcnt(0)
	s_lshl_b32 s31, s31, 6
	v_pk_fma_f16 v46, v34, v67, v46
	v_pk_fma_f16 v0, v34, v0, v47
	;; [unrolled: 1-line block ×8, first 2 shown]
	v_mul_u32_u24_sdwa v34, v4, s15 dst_sel:DWORD dst_unused:UNUSED_PAD src0_sel:WORD_0 src1_sel:DWORD
	v_mul_u32_u24_sdwa v4, v4, s15 dst_sel:DWORD dst_unused:UNUSED_PAD src0_sel:WORD_1 src1_sel:DWORD
	v_mul_u32_u24_sdwa v39, v5, s15 dst_sel:DWORD dst_unused:UNUSED_PAD src0_sel:WORD_0 src1_sel:DWORD
	v_mul_u32_u24_sdwa v5, v5, s15 dst_sel:DWORD dst_unused:UNUSED_PAD src0_sel:WORD_1 src1_sel:DWORD
	;; [unrolled: 2-line block ×4, first 2 shown]
	s_add_i32 s28, s31, s28
	v_pk_fma_f16 v80, v35, v34, v46
	v_pk_fma_f16 v78, v35, v4, v0
	;; [unrolled: 1-line block ×7, first 2 shown]
	s_cmp_lt_i32 s28, s11
	v_pk_fma_f16 v67, v35, v7, v3
	s_cbranch_scc0 .LBB52_45
; %bb.43:                               ;   in Loop: Header=BB52_9 Depth=1
	v_mov_b32_e32 v37, v24
	v_mov_b32_e32 v36, v25
	;; [unrolled: 1-line block ×8, first 2 shown]
	s_branch .LBB52_9
.LBB52_44:
	v_mov_b32_e32 v24, 0xfeffffff
	v_mov_b32_e32 v25, v24
	;; [unrolled: 1-line block ×23, first 2 shown]
.LBB52_45:
	v_lshlrev_b32_e32 v83, 1, v40
	s_cmp_gt_i32 s36, s28
	s_cbranch_scc1 .LBB52_47
; %bb.46:
	v_mbcnt_hi_u32_b32 v86, -1, v82
	v_and_b32_e32 v0, 0x60, v86
	v_add_u32_e32 v87, 32, v0
	v_xor_b32_e32 v89, 16, v86
	v_xor_b32_e32 v92, 8, v86
	;; [unrolled: 1-line block ×5, first 2 shown]
	s_cbranch_execz .LBB52_48
	s_branch .LBB52_128
.LBB52_47:
                                        ; implicit-def: $vgpr86
                                        ; implicit-def: $vgpr87
                                        ; implicit-def: $vgpr89
                                        ; implicit-def: $vgpr92
                                        ; implicit-def: $vgpr90
                                        ; implicit-def: $vgpr91
                                        ; implicit-def: $vgpr88
.LBB52_48:
	s_mul_hi_i32 s5, s28, s8
	s_mul_i32 s4, s28, s8
	s_sub_i32 s31, s36, s28
	s_lshl_b64 s[4:5], s[4:5], 2
	v_lshl_add_u32 v85, v84, 2, v85
	s_mov_b64 s[6:7], src_private_base
	s_add_u32 s12, s9, s4
	v_mul_lo_u32 v4, s8, v85
	s_mov_b32 s4, 0
	s_addc_u32 s13, s10, s5
	v_and_b32_e32 v0, 28, v65
	v_ashrrev_i32_e32 v5, 31, v4
	s_mov_b32 s6, s4
	v_mov_b32_e32 v45, 0
	v_lshlrev_b32_e32 v44, 2, v0
	s_mov_b32 s5, s4
	v_mov_b32_e32 v14, s6
	v_lshl_add_u64 v[0:1], v[4:5], 2, s[12:13]
	v_mov_b32_e32 v13, s5
	v_mov_b32_e32 v12, s4
	v_lshl_add_u64 v[0:1], v[0:1], 0, v[44:45]
	v_mov_b32_e32 v6, s7
	v_cmp_gt_i32_e64 s[4:5], s31, v85
	v_mov_b32_e32 v7, 0
	scratch_store_dword off, v45, off
	scratch_store_dwordx3 off, v[12:14], off offset:4
	v_cndmask_b32_e64 v1, v6, v1, s[4:5]
	v_cndmask_b32_e64 v0, v7, v0, s[4:5]
	flat_load_dwordx4 v[0:3], v[0:1]
	v_lshl_add_u32 v4, s8, 5, v4
	v_ashrrev_i32_e32 v5, 31, v4
	s_movk_i32 s6, 0x90
	v_add_u32_e32 v84, 32, v85
	v_lshl_add_u64 v[4:5], v[4:5], 2, s[12:13]
	v_mad_u32_u24 v10, v85, s6, v44
	v_lshl_add_u64 v[4:5], v[4:5], 0, v[44:45]
	v_cmp_gt_i32_e64 s[12:13], s31, v84
	scratch_store_dword off, v45, off
	scratch_store_dwordx3 off, v[12:14], off offset:4
	v_cndmask_b32_e64 v5, v6, v5, s[12:13]
	v_cndmask_b32_e64 v4, v7, v4, s[12:13]
	v_mul_u32_u24_e32 v36, 0x90, v40
	v_cmp_ne_u64_e32 vcc, 0, v[42:43]
	v_cmp_gt_i32_e64 s[8:9], s31, v40
	v_add_u32_e32 v46, s28, v41
	s_waitcnt vmcnt(0) lgkmcnt(0)
	ds_write_b128 v10, v[0:3]
	flat_load_dwordx4 v[6:9], v[4:5]
	v_mov_b32_e32 v0, v45
	v_mov_b32_e32 v1, v45
	v_mov_b32_e32 v2, v45
	v_mov_b32_e32 v3, v45
	v_mov_b32_e32 v4, v45
	v_mov_b32_e32 v5, v45
	s_waitcnt vmcnt(0) lgkmcnt(0)
	ds_write_b128 v10, v[6:9] offset:4608
	s_waitcnt lgkmcnt(0)
	s_barrier
	ds_read_b128 v[8:11], v36
	ds_read_b128 v[32:35], v36 offset:4608
	ds_read_b128 v[12:15], v64 offset:17408
	;; [unrolled: 1-line block ×9, first 2 shown]
	s_waitcnt lgkmcnt(7)
	;;#ASMSTART
	v_dot2_f32_f16 v0, v8, v12, v0
	;;#ASMEND
	v_mov_b32_e32 v6, v45
	;;#ASMSTART
	v_dot2_f32_f16 v0, v9, v13, v0
	;;#ASMEND
	v_mov_b32_e32 v7, v45
	;;#ASMSTART
	v_dot2_f32_f16 v0, v10, v14, v0
	;;#ASMEND
	s_nop 0
	;;#ASMSTART
	v_dot2_f32_f16 v0, v11, v15, v0
	;;#ASMEND
	s_waitcnt lgkmcnt(6)
	;;#ASMSTART
	v_dot2_f32_f16 v1, v8, v86, v1
	;;#ASMEND
	s_nop 0
	;;#ASMSTART
	v_dot2_f32_f16 v1, v9, v87, v1
	;;#ASMEND
	s_nop 0
	;;#ASMSTART
	v_dot2_f32_f16 v1, v10, v88, v1
	;;#ASMEND
	s_nop 0
	;;#ASMSTART
	v_dot2_f32_f16 v1, v11, v89, v1
	;;#ASMEND
	s_waitcnt lgkmcnt(5)
	;;#ASMSTART
	v_dot2_f32_f16 v2, v8, v90, v2
	;;#ASMEND
	s_nop 0
	;;#ASMSTART
	v_dot2_f32_f16 v2, v9, v91, v2
	;;#ASMEND
	s_nop 0
	;; [unrolled: 16-line block ×6, first 2 shown]
	;;#ASMSTART
	v_dot2_f32_f16 v6, v10, v108, v6
	;;#ASMEND
	s_nop 0
	;;#ASMSTART
	v_dot2_f32_f16 v6, v11, v109, v6
	;;#ASMEND
	s_waitcnt lgkmcnt(0)
	;;#ASMSTART
	v_dot2_f32_f16 v7, v8, v110, v7
	;;#ASMEND
	v_mov_b32_e32 v8, v45
	;;#ASMSTART
	v_dot2_f32_f16 v7, v9, v111, v7
	;;#ASMEND
	v_mov_b32_e32 v9, v45
	;; [unrolled: 4-line block ×3, first 2 shown]
	;;#ASMSTART
	v_dot2_f32_f16 v7, v11, v113, v7
	;;#ASMEND
	;;#ASMSTART
	v_dot2_f32_f16 v8, v32, v12, v8
	;;#ASMEND
	v_mov_b32_e32 v11, v45
	;;#ASMSTART
	v_dot2_f32_f16 v8, v33, v13, v8
	;;#ASMEND
	v_mov_b32_e32 v12, v45
	;; [unrolled: 4-line block ×3, first 2 shown]
	;;#ASMSTART
	v_dot2_f32_f16 v8, v35, v15, v8
	;;#ASMEND
	;;#ASMSTART
	v_dot2_f32_f16 v9, v32, v86, v9
	;;#ASMEND
	v_mov_b32_e32 v14, v45
	;;#ASMSTART
	v_dot2_f32_f16 v9, v33, v87, v9
	;;#ASMEND
	v_mov_b32_e32 v15, v45
	;;#ASMSTART
	v_dot2_f32_f16 v9, v34, v88, v9
	;;#ASMEND
	s_nop 0
	;;#ASMSTART
	v_dot2_f32_f16 v9, v35, v89, v9
	;;#ASMEND
	;;#ASMSTART
	v_dot2_f32_f16 v10, v32, v90, v10
	;;#ASMEND
	s_nop 0
	;;#ASMSTART
	v_dot2_f32_f16 v10, v33, v91, v10
	;;#ASMEND
	s_nop 0
	;;#ASMSTART
	v_dot2_f32_f16 v10, v34, v92, v10
	;;#ASMEND
	s_nop 0
	;;#ASMSTART
	v_dot2_f32_f16 v10, v35, v93, v10
	;;#ASMEND
	;;#ASMSTART
	v_dot2_f32_f16 v11, v32, v94, v11
	;;#ASMEND
	s_nop 0
	;;#ASMSTART
	v_dot2_f32_f16 v11, v33, v95, v11
	;;#ASMEND
	s_nop 0
	;; [unrolled: 15-line block ×6, first 2 shown]
	;;#ASMSTART
	v_dot2_f32_f16 v15, v34, v112, v15
	;;#ASMEND
	s_nop 0
	;;#ASMSTART
	v_dot2_f32_f16 v15, v35, v113, v15
	;;#ASMEND
	ds_read_b128 v[86:89], v36 offset:16
	ds_read_b128 v[32:35], v36 offset:4624
	;; [unrolled: 1-line block ×10, first 2 shown]
	s_waitcnt lgkmcnt(7)
	;;#ASMSTART
	v_dot2_f32_f16 v0, v86, v90, v0
	;;#ASMEND
	s_nop 0
	;;#ASMSTART
	v_dot2_f32_f16 v0, v87, v91, v0
	;;#ASMEND
	s_nop 0
	;;#ASMSTART
	v_dot2_f32_f16 v0, v88, v92, v0
	;;#ASMEND
	s_nop 0
	;;#ASMSTART
	v_dot2_f32_f16 v0, v89, v93, v0
	;;#ASMEND
	s_waitcnt lgkmcnt(6)
	;;#ASMSTART
	v_dot2_f32_f16 v1, v86, v94, v1
	;;#ASMEND
	s_nop 0
	;;#ASMSTART
	v_dot2_f32_f16 v1, v87, v95, v1
	;;#ASMEND
	s_nop 0
	;;#ASMSTART
	v_dot2_f32_f16 v1, v88, v96, v1
	;;#ASMEND
	s_nop 0
	;;#ASMSTART
	v_dot2_f32_f16 v1, v89, v97, v1
	;;#ASMEND
	;; [unrolled: 16-line block ×8, first 2 shown]
	;;#ASMSTART
	v_dot2_f32_f16 v8, v32, v90, v8
	;;#ASMEND
	s_nop 0
	;;#ASMSTART
	v_dot2_f32_f16 v8, v33, v91, v8
	;;#ASMEND
	s_nop 0
	;;#ASMSTART
	v_dot2_f32_f16 v8, v34, v92, v8
	;;#ASMEND
	s_nop 0
	;;#ASMSTART
	v_dot2_f32_f16 v8, v35, v93, v8
	;;#ASMEND
	;;#ASMSTART
	v_dot2_f32_f16 v9, v32, v94, v9
	;;#ASMEND
	s_nop 0
	;;#ASMSTART
	v_dot2_f32_f16 v9, v33, v95, v9
	;;#ASMEND
	s_nop 0
	;;#ASMSTART
	v_dot2_f32_f16 v9, v34, v96, v9
	;;#ASMEND
	s_nop 0
	;;#ASMSTART
	v_dot2_f32_f16 v9, v35, v97, v9
	;;#ASMEND
	;;#ASMSTART
	v_dot2_f32_f16 v10, v32, v98, v10
	;;#ASMEND
	s_nop 0
	;;#ASMSTART
	v_dot2_f32_f16 v10, v33, v99, v10
	;;#ASMEND
	s_nop 0
	;;#ASMSTART
	v_dot2_f32_f16 v10, v34, v100, v10
	;;#ASMEND
	s_nop 0
	;;#ASMSTART
	v_dot2_f32_f16 v10, v35, v101, v10
	;;#ASMEND
	;;#ASMSTART
	v_dot2_f32_f16 v11, v32, v102, v11
	;;#ASMEND
	s_nop 0
	;;#ASMSTART
	v_dot2_f32_f16 v11, v33, v103, v11
	;;#ASMEND
	s_nop 0
	;;#ASMSTART
	v_dot2_f32_f16 v11, v34, v104, v11
	;;#ASMEND
	s_nop 0
	;;#ASMSTART
	v_dot2_f32_f16 v11, v35, v105, v11
	;;#ASMEND
	;;#ASMSTART
	v_dot2_f32_f16 v12, v32, v106, v12
	;;#ASMEND
	s_nop 0
	;;#ASMSTART
	v_dot2_f32_f16 v12, v33, v107, v12
	;;#ASMEND
	s_nop 0
	;;#ASMSTART
	v_dot2_f32_f16 v12, v34, v108, v12
	;;#ASMEND
	s_nop 0
	;;#ASMSTART
	v_dot2_f32_f16 v12, v35, v109, v12
	;;#ASMEND
	;;#ASMSTART
	v_dot2_f32_f16 v13, v32, v110, v13
	;;#ASMEND
	s_nop 0
	;;#ASMSTART
	v_dot2_f32_f16 v13, v33, v111, v13
	;;#ASMEND
	s_nop 0
	;;#ASMSTART
	v_dot2_f32_f16 v13, v34, v112, v13
	;;#ASMEND
	s_nop 0
	;;#ASMSTART
	v_dot2_f32_f16 v13, v35, v113, v13
	;;#ASMEND
	;;#ASMSTART
	v_dot2_f32_f16 v14, v32, v114, v14
	;;#ASMEND
	s_nop 0
	;;#ASMSTART
	v_dot2_f32_f16 v14, v33, v115, v14
	;;#ASMEND
	s_nop 0
	;;#ASMSTART
	v_dot2_f32_f16 v14, v34, v116, v14
	;;#ASMEND
	s_nop 0
	;;#ASMSTART
	v_dot2_f32_f16 v14, v35, v117, v14
	;;#ASMEND
	;;#ASMSTART
	v_dot2_f32_f16 v15, v32, v118, v15
	;;#ASMEND
	s_nop 0
	;;#ASMSTART
	v_dot2_f32_f16 v15, v33, v119, v15
	;;#ASMEND
	s_nop 0
	;;#ASMSTART
	v_dot2_f32_f16 v15, v34, v120, v15
	;;#ASMEND
	s_nop 0
	;;#ASMSTART
	v_dot2_f32_f16 v15, v35, v121, v15
	;;#ASMEND
	ds_read_b128 v[86:89], v36 offset:32
	ds_read_b128 v[32:35], v36 offset:4640
	;; [unrolled: 1-line block ×10, first 2 shown]
	s_waitcnt lgkmcnt(7)
	;;#ASMSTART
	v_dot2_f32_f16 v0, v86, v90, v0
	;;#ASMEND
	s_nop 0
	;;#ASMSTART
	v_dot2_f32_f16 v0, v87, v91, v0
	;;#ASMEND
	s_nop 0
	;;#ASMSTART
	v_dot2_f32_f16 v0, v88, v92, v0
	;;#ASMEND
	s_nop 0
	;;#ASMSTART
	v_dot2_f32_f16 v0, v89, v93, v0
	;;#ASMEND
	s_waitcnt lgkmcnt(6)
	;;#ASMSTART
	v_dot2_f32_f16 v1, v86, v94, v1
	;;#ASMEND
	s_nop 0
	;;#ASMSTART
	v_dot2_f32_f16 v1, v87, v95, v1
	;;#ASMEND
	s_nop 0
	;;#ASMSTART
	v_dot2_f32_f16 v1, v88, v96, v1
	;;#ASMEND
	s_nop 0
	;;#ASMSTART
	v_dot2_f32_f16 v1, v89, v97, v1
	;;#ASMEND
	;; [unrolled: 16-line block ×8, first 2 shown]
	;;#ASMSTART
	v_dot2_f32_f16 v8, v32, v90, v8
	;;#ASMEND
	s_nop 0
	;;#ASMSTART
	v_dot2_f32_f16 v8, v33, v91, v8
	;;#ASMEND
	s_nop 0
	;;#ASMSTART
	v_dot2_f32_f16 v8, v34, v92, v8
	;;#ASMEND
	s_nop 0
	;;#ASMSTART
	v_dot2_f32_f16 v8, v35, v93, v8
	;;#ASMEND
	;;#ASMSTART
	v_dot2_f32_f16 v9, v32, v94, v9
	;;#ASMEND
	s_nop 0
	;;#ASMSTART
	v_dot2_f32_f16 v9, v33, v95, v9
	;;#ASMEND
	s_nop 0
	;;#ASMSTART
	v_dot2_f32_f16 v9, v34, v96, v9
	;;#ASMEND
	s_nop 0
	;;#ASMSTART
	v_dot2_f32_f16 v9, v35, v97, v9
	;;#ASMEND
	;; [unrolled: 15-line block ×8, first 2 shown]
	ds_read_b128 v[86:89], v36 offset:48
	ds_read_b128 v[32:35], v36 offset:4656
	;; [unrolled: 1-line block ×10, first 2 shown]
	s_waitcnt lgkmcnt(7)
	;;#ASMSTART
	v_dot2_f32_f16 v0, v86, v90, v0
	;;#ASMEND
	s_nop 0
	;;#ASMSTART
	v_dot2_f32_f16 v0, v87, v91, v0
	;;#ASMEND
	s_nop 0
	;;#ASMSTART
	v_dot2_f32_f16 v0, v88, v92, v0
	;;#ASMEND
	s_nop 0
	;;#ASMSTART
	v_dot2_f32_f16 v0, v89, v93, v0
	;;#ASMEND
	s_waitcnt lgkmcnt(6)
	;;#ASMSTART
	v_dot2_f32_f16 v1, v86, v94, v1
	;;#ASMEND
	s_nop 0
	;;#ASMSTART
	v_dot2_f32_f16 v1, v87, v95, v1
	;;#ASMEND
	s_nop 0
	;;#ASMSTART
	v_dot2_f32_f16 v1, v88, v96, v1
	;;#ASMEND
	s_nop 0
	;;#ASMSTART
	v_dot2_f32_f16 v1, v89, v97, v1
	;;#ASMEND
	;; [unrolled: 16-line block ×8, first 2 shown]
	;;#ASMSTART
	v_dot2_f32_f16 v8, v32, v90, v8
	;;#ASMEND
	s_nop 0
	;;#ASMSTART
	v_dot2_f32_f16 v8, v33, v91, v8
	;;#ASMEND
	s_nop 0
	;;#ASMSTART
	v_dot2_f32_f16 v8, v34, v92, v8
	;;#ASMEND
	s_nop 0
	;;#ASMSTART
	v_dot2_f32_f16 v8, v35, v93, v8
	;;#ASMEND
	;;#ASMSTART
	v_dot2_f32_f16 v9, v32, v94, v9
	;;#ASMEND
	s_nop 0
	;;#ASMSTART
	v_dot2_f32_f16 v9, v33, v95, v9
	;;#ASMEND
	s_nop 0
	;;#ASMSTART
	v_dot2_f32_f16 v9, v34, v96, v9
	;;#ASMEND
	s_nop 0
	;;#ASMSTART
	v_dot2_f32_f16 v9, v35, v97, v9
	;;#ASMEND
	;; [unrolled: 15-line block ×8, first 2 shown]
	ds_read_b128 v[86:89], v36 offset:64
	ds_read_b128 v[32:35], v36 offset:4672
	;; [unrolled: 1-line block ×10, first 2 shown]
	s_waitcnt lgkmcnt(7)
	;;#ASMSTART
	v_dot2_f32_f16 v0, v86, v90, v0
	;;#ASMEND
	s_nop 0
	;;#ASMSTART
	v_dot2_f32_f16 v0, v87, v91, v0
	;;#ASMEND
	s_nop 0
	;;#ASMSTART
	v_dot2_f32_f16 v0, v88, v92, v0
	;;#ASMEND
	s_nop 0
	;;#ASMSTART
	v_dot2_f32_f16 v0, v89, v93, v0
	;;#ASMEND
	s_waitcnt lgkmcnt(6)
	;;#ASMSTART
	v_dot2_f32_f16 v1, v86, v94, v1
	;;#ASMEND
	s_nop 0
	;;#ASMSTART
	v_dot2_f32_f16 v1, v87, v95, v1
	;;#ASMEND
	s_nop 0
	;;#ASMSTART
	v_dot2_f32_f16 v1, v88, v96, v1
	;;#ASMEND
	s_nop 0
	;;#ASMSTART
	v_dot2_f32_f16 v1, v89, v97, v1
	;;#ASMEND
	;; [unrolled: 16-line block ×8, first 2 shown]
	;;#ASMSTART
	v_dot2_f32_f16 v8, v32, v90, v8
	;;#ASMEND
	s_nop 0
	;;#ASMSTART
	v_dot2_f32_f16 v8, v33, v91, v8
	;;#ASMEND
	s_nop 0
	;;#ASMSTART
	v_dot2_f32_f16 v8, v34, v92, v8
	;;#ASMEND
	s_nop 0
	;;#ASMSTART
	v_dot2_f32_f16 v8, v35, v93, v8
	;;#ASMEND
	;;#ASMSTART
	v_dot2_f32_f16 v9, v32, v94, v9
	;;#ASMEND
	s_nop 0
	;;#ASMSTART
	v_dot2_f32_f16 v9, v33, v95, v9
	;;#ASMEND
	s_nop 0
	;;#ASMSTART
	v_dot2_f32_f16 v9, v34, v96, v9
	;;#ASMEND
	s_nop 0
	;;#ASMSTART
	v_dot2_f32_f16 v9, v35, v97, v9
	;;#ASMEND
	;;#ASMSTART
	v_dot2_f32_f16 v10, v32, v98, v10
	;;#ASMEND
	s_nop 0
	;;#ASMSTART
	v_dot2_f32_f16 v10, v33, v99, v10
	;;#ASMEND
	s_nop 0
	;;#ASMSTART
	v_dot2_f32_f16 v10, v34, v100, v10
	;;#ASMEND
	s_nop 0
	;;#ASMSTART
	v_dot2_f32_f16 v10, v35, v101, v10
	;;#ASMEND
	;;#ASMSTART
	v_dot2_f32_f16 v11, v32, v102, v11
	;;#ASMEND
	s_nop 0
	;;#ASMSTART
	v_dot2_f32_f16 v11, v33, v103, v11
	;;#ASMEND
	s_nop 0
	;;#ASMSTART
	v_dot2_f32_f16 v11, v34, v104, v11
	;;#ASMEND
	s_nop 0
	;;#ASMSTART
	v_dot2_f32_f16 v11, v35, v105, v11
	;;#ASMEND
	;;#ASMSTART
	v_dot2_f32_f16 v12, v32, v106, v12
	;;#ASMEND
	s_nop 0
	;;#ASMSTART
	v_dot2_f32_f16 v12, v33, v107, v12
	;;#ASMEND
	s_nop 0
	;;#ASMSTART
	v_dot2_f32_f16 v12, v34, v108, v12
	;;#ASMEND
	s_nop 0
	;;#ASMSTART
	v_dot2_f32_f16 v12, v35, v109, v12
	;;#ASMEND
	;;#ASMSTART
	v_dot2_f32_f16 v13, v32, v110, v13
	;;#ASMEND
	s_nop 0
	;;#ASMSTART
	v_dot2_f32_f16 v13, v33, v111, v13
	;;#ASMEND
	s_nop 0
	;;#ASMSTART
	v_dot2_f32_f16 v13, v34, v112, v13
	;;#ASMEND
	s_nop 0
	;;#ASMSTART
	v_dot2_f32_f16 v13, v35, v113, v13
	;;#ASMEND
	;;#ASMSTART
	v_dot2_f32_f16 v14, v32, v114, v14
	;;#ASMEND
	s_nop 0
	;;#ASMSTART
	v_dot2_f32_f16 v14, v33, v115, v14
	;;#ASMEND
	s_nop 0
	;;#ASMSTART
	v_dot2_f32_f16 v14, v34, v116, v14
	;;#ASMEND
	s_nop 0
	;;#ASMSTART
	v_dot2_f32_f16 v14, v35, v117, v14
	;;#ASMEND
	;;#ASMSTART
	v_dot2_f32_f16 v15, v32, v118, v15
	;;#ASMEND
	s_nop 0
	;;#ASMSTART
	v_dot2_f32_f16 v15, v33, v119, v15
	;;#ASMEND
	s_nop 0
	;;#ASMSTART
	v_dot2_f32_f16 v15, v34, v120, v15
	;;#ASMEND
	s_nop 0
	;;#ASMSTART
	v_dot2_f32_f16 v15, v35, v121, v15
	;;#ASMEND
	ds_read_b128 v[86:89], v36 offset:80
	ds_read_b128 v[32:35], v36 offset:4688
	;; [unrolled: 1-line block ×10, first 2 shown]
	s_waitcnt lgkmcnt(7)
	;;#ASMSTART
	v_dot2_f32_f16 v0, v86, v90, v0
	;;#ASMEND
	s_nop 0
	;;#ASMSTART
	v_dot2_f32_f16 v0, v87, v91, v0
	;;#ASMEND
	s_nop 0
	;;#ASMSTART
	v_dot2_f32_f16 v0, v88, v92, v0
	;;#ASMEND
	s_nop 0
	;;#ASMSTART
	v_dot2_f32_f16 v0, v89, v93, v0
	;;#ASMEND
	s_waitcnt lgkmcnt(6)
	;;#ASMSTART
	v_dot2_f32_f16 v1, v86, v94, v1
	;;#ASMEND
	s_nop 0
	;;#ASMSTART
	v_dot2_f32_f16 v1, v87, v95, v1
	;;#ASMEND
	s_nop 0
	;;#ASMSTART
	v_dot2_f32_f16 v1, v88, v96, v1
	;;#ASMEND
	s_nop 0
	;;#ASMSTART
	v_dot2_f32_f16 v1, v89, v97, v1
	;;#ASMEND
	s_waitcnt lgkmcnt(5)
	;;#ASMSTART
	v_dot2_f32_f16 v2, v86, v98, v2
	;;#ASMEND
	s_nop 0
	;;#ASMSTART
	v_dot2_f32_f16 v2, v87, v99, v2
	;;#ASMEND
	s_nop 0
	;;#ASMSTART
	v_dot2_f32_f16 v2, v88, v100, v2
	;;#ASMEND
	s_nop 0
	;;#ASMSTART
	v_dot2_f32_f16 v2, v89, v101, v2
	;;#ASMEND
	s_waitcnt lgkmcnt(4)
	;;#ASMSTART
	v_dot2_f32_f16 v3, v86, v102, v3
	;;#ASMEND
	s_nop 0
	;;#ASMSTART
	v_dot2_f32_f16 v3, v87, v103, v3
	;;#ASMEND
	s_nop 0
	;;#ASMSTART
	v_dot2_f32_f16 v3, v88, v104, v3
	;;#ASMEND
	s_nop 0
	;;#ASMSTART
	v_dot2_f32_f16 v3, v89, v105, v3
	;;#ASMEND
	s_waitcnt lgkmcnt(3)
	;;#ASMSTART
	v_dot2_f32_f16 v4, v86, v106, v4
	;;#ASMEND
	s_nop 0
	;;#ASMSTART
	v_dot2_f32_f16 v4, v87, v107, v4
	;;#ASMEND
	s_nop 0
	;;#ASMSTART
	v_dot2_f32_f16 v4, v88, v108, v4
	;;#ASMEND
	s_nop 0
	;;#ASMSTART
	v_dot2_f32_f16 v4, v89, v109, v4
	;;#ASMEND
	s_waitcnt lgkmcnt(2)
	;;#ASMSTART
	v_dot2_f32_f16 v5, v86, v110, v5
	;;#ASMEND
	s_nop 0
	;;#ASMSTART
	v_dot2_f32_f16 v5, v87, v111, v5
	;;#ASMEND
	s_nop 0
	;;#ASMSTART
	v_dot2_f32_f16 v5, v88, v112, v5
	;;#ASMEND
	s_nop 0
	;;#ASMSTART
	v_dot2_f32_f16 v5, v89, v113, v5
	;;#ASMEND
	s_waitcnt lgkmcnt(1)
	;;#ASMSTART
	v_dot2_f32_f16 v6, v86, v114, v6
	;;#ASMEND
	s_nop 0
	;;#ASMSTART
	v_dot2_f32_f16 v6, v87, v115, v6
	;;#ASMEND
	s_nop 0
	;;#ASMSTART
	v_dot2_f32_f16 v6, v88, v116, v6
	;;#ASMEND
	s_nop 0
	;;#ASMSTART
	v_dot2_f32_f16 v6, v89, v117, v6
	;;#ASMEND
	s_waitcnt lgkmcnt(0)
	;;#ASMSTART
	v_dot2_f32_f16 v7, v86, v118, v7
	;;#ASMEND
	s_nop 0
	;;#ASMSTART
	v_dot2_f32_f16 v7, v87, v119, v7
	;;#ASMEND
	s_nop 0
	;;#ASMSTART
	v_dot2_f32_f16 v7, v88, v120, v7
	;;#ASMEND
	s_nop 0
	;;#ASMSTART
	v_dot2_f32_f16 v7, v89, v121, v7
	;;#ASMEND
	;;#ASMSTART
	v_dot2_f32_f16 v8, v32, v90, v8
	;;#ASMEND
	s_nop 0
	;;#ASMSTART
	v_dot2_f32_f16 v8, v33, v91, v8
	;;#ASMEND
	s_nop 0
	;;#ASMSTART
	v_dot2_f32_f16 v8, v34, v92, v8
	;;#ASMEND
	s_nop 0
	;;#ASMSTART
	v_dot2_f32_f16 v8, v35, v93, v8
	;;#ASMEND
	;;#ASMSTART
	v_dot2_f32_f16 v9, v32, v94, v9
	;;#ASMEND
	s_nop 0
	;;#ASMSTART
	v_dot2_f32_f16 v9, v33, v95, v9
	;;#ASMEND
	s_nop 0
	;;#ASMSTART
	v_dot2_f32_f16 v9, v34, v96, v9
	;;#ASMEND
	s_nop 0
	;;#ASMSTART
	v_dot2_f32_f16 v9, v35, v97, v9
	;;#ASMEND
	;; [unrolled: 15-line block ×8, first 2 shown]
	ds_read_b128 v[86:89], v36 offset:96
	ds_read_b128 v[32:35], v36 offset:4704
	;; [unrolled: 1-line block ×10, first 2 shown]
	s_waitcnt lgkmcnt(7)
	;;#ASMSTART
	v_dot2_f32_f16 v0, v86, v90, v0
	;;#ASMEND
	s_nop 0
	;;#ASMSTART
	v_dot2_f32_f16 v0, v87, v91, v0
	;;#ASMEND
	s_nop 0
	;;#ASMSTART
	v_dot2_f32_f16 v0, v88, v92, v0
	;;#ASMEND
	s_nop 0
	;;#ASMSTART
	v_dot2_f32_f16 v0, v89, v93, v0
	;;#ASMEND
	s_waitcnt lgkmcnt(6)
	;;#ASMSTART
	v_dot2_f32_f16 v1, v86, v94, v1
	;;#ASMEND
	s_nop 0
	;;#ASMSTART
	v_dot2_f32_f16 v1, v87, v95, v1
	;;#ASMEND
	s_nop 0
	;;#ASMSTART
	v_dot2_f32_f16 v1, v88, v96, v1
	;;#ASMEND
	s_nop 0
	;;#ASMSTART
	v_dot2_f32_f16 v1, v89, v97, v1
	;;#ASMEND
	;; [unrolled: 16-line block ×8, first 2 shown]
	;;#ASMSTART
	v_dot2_f32_f16 v8, v32, v90, v8
	;;#ASMEND
	s_nop 0
	;;#ASMSTART
	v_dot2_f32_f16 v8, v33, v91, v8
	;;#ASMEND
	s_nop 0
	;;#ASMSTART
	v_dot2_f32_f16 v8, v34, v92, v8
	;;#ASMEND
	s_nop 0
	;;#ASMSTART
	v_dot2_f32_f16 v8, v35, v93, v8
	;;#ASMEND
	;;#ASMSTART
	v_dot2_f32_f16 v9, v32, v94, v9
	;;#ASMEND
	s_nop 0
	;;#ASMSTART
	v_dot2_f32_f16 v9, v33, v95, v9
	;;#ASMEND
	s_nop 0
	;;#ASMSTART
	v_dot2_f32_f16 v9, v34, v96, v9
	;;#ASMEND
	s_nop 0
	;;#ASMSTART
	v_dot2_f32_f16 v9, v35, v97, v9
	;;#ASMEND
	;; [unrolled: 15-line block ×8, first 2 shown]
	ds_read_b128 v[86:89], v36 offset:112
	ds_read_b128 v[32:35], v36 offset:4720
	;; [unrolled: 1-line block ×10, first 2 shown]
	s_waitcnt lgkmcnt(7)
	;;#ASMSTART
	v_dot2_f32_f16 v0, v86, v36, v0
	;;#ASMEND
	s_nop 0
	;;#ASMSTART
	v_dot2_f32_f16 v0, v87, v37, v0
	;;#ASMEND
	s_nop 0
	;;#ASMSTART
	v_dot2_f32_f16 v0, v88, v38, v0
	;;#ASMEND
	s_nop 0
	;;#ASMSTART
	v_dot2_f32_f16 v0, v89, v39, v0
	;;#ASMEND
	s_waitcnt lgkmcnt(6)
	;;#ASMSTART
	v_dot2_f32_f16 v1, v86, v90, v1
	;;#ASMEND
	s_nop 0
	;;#ASMSTART
	v_dot2_f32_f16 v1, v87, v91, v1
	;;#ASMEND
	s_nop 0
	;;#ASMSTART
	v_dot2_f32_f16 v1, v88, v92, v1
	;;#ASMEND
	s_nop 0
	;;#ASMSTART
	v_dot2_f32_f16 v1, v89, v93, v1
	;;#ASMEND
	;; [unrolled: 16-line block ×8, first 2 shown]
	;;#ASMSTART
	v_dot2_f32_f16 v8, v32, v36, v8
	;;#ASMEND
	s_nop 0
	;;#ASMSTART
	v_dot2_f32_f16 v8, v33, v37, v8
	;;#ASMEND
	s_nop 0
	;;#ASMSTART
	v_dot2_f32_f16 v8, v34, v38, v8
	;;#ASMEND
	s_nop 0
	;;#ASMSTART
	v_dot2_f32_f16 v8, v35, v39, v8
	;;#ASMEND
	;;#ASMSTART
	v_dot2_f32_f16 v9, v32, v90, v9
	;;#ASMEND
	s_nop 0
	;;#ASMSTART
	v_dot2_f32_f16 v9, v33, v91, v9
	;;#ASMEND
	s_nop 0
	;;#ASMSTART
	v_dot2_f32_f16 v9, v34, v92, v9
	;;#ASMEND
	s_nop 0
	;;#ASMSTART
	v_dot2_f32_f16 v9, v35, v93, v9
	;;#ASMEND
	;; [unrolled: 15-line block ×7, first 2 shown]
	;;#ASMSTART
	v_dot2_f32_f16 v15, v32, v114, v15
	;;#ASMEND
	v_cndmask_b32_e64 v32, 0, 1, vcc
	;;#ASMSTART
	v_dot2_f32_f16 v15, v33, v115, v15
	;;#ASMEND
	v_cmp_ne_u32_e64 s[6:7], 1, v32
	;;#ASMSTART
	v_dot2_f32_f16 v15, v34, v116, v15
	;;#ASMEND
	s_nop 0
	;;#ASMSTART
	v_dot2_f32_f16 v15, v35, v117, v15
	;;#ASMEND
	v_mov_b64_e32 v[38:39], v[30:31]
	v_mov_b64_e32 v[36:37], v[28:29]
	;; [unrolled: 1-line block ×4, first 2 shown]
	s_and_saveexec_b64 s[10:11], s[8:9]
	s_cbranch_execz .LBB52_52
; %bb.49:
	s_and_b64 vcc, exec, s[6:7]
	s_cbranch_vccnz .LBB52_51
; %bb.50:
	v_add_u32_e32 v32, v46, v40
	v_ashrrev_i32_e32 v33, 31, v32
	v_lshl_add_u64 v[32:33], v[32:33], 1, v[42:43]
	global_load_ushort v32, v[32:33], off
	s_waitcnt vmcnt(0)
	v_cvt_f32_f16_e32 v32, v32
	v_mul_f32_e32 v45, v66, v32
.LBB52_51:
	v_add_f32_e32 v0, v0, v45
	v_add_f32_e32 v32, 0x40051340, v0
	v_max_f32_e32 v33, v24, v24
	v_max_f32_e32 v41, v33, v32
	v_mov_b64_e32 v[38:39], v[30:31]
	v_mov_b64_e32 v[32:33], v[24:25]
	;; [unrolled: 1-line block ×4, first 2 shown]
	v_mov_b32_e32 v32, v41
.LBB52_52:
	s_or_b64 exec, exec, s[10:11]
	v_add_u32_e32 v45, 32, v40
	v_cmp_gt_i32_e64 s[10:11], s31, v45
	s_and_saveexec_b64 s[14:15], s[10:11]
	s_cbranch_execz .LBB52_57
; %bb.53:
	s_and_b64 vcc, exec, s[6:7]
	s_cbranch_vccnz .LBB52_55
; %bb.54:
	v_ashrrev_i32_e32 v47, 31, v46
	v_mov_b32_e32 v41, 0
	v_lshl_add_u64 v[46:47], v[46:47], 0, v[40:41]
	v_lshl_add_u64 v[46:47], v[46:47], 1, v[42:43]
	global_load_ushort v41, v[46:47], off offset:64
	s_waitcnt vmcnt(0)
	v_cvt_f32_f16_e32 v41, v41
	v_mul_f32_e32 v41, v66, v41
	s_branch .LBB52_56
.LBB52_55:
	v_mov_b32_e32 v41, 0
.LBB52_56:
	v_add_f32_e32 v8, v8, v41
	v_add_f32_e32 v41, 0x40051340, v8
	v_max_f32_e32 v32, v32, v32
	v_max_f32_e32 v32, v32, v41
.LBB52_57:
	s_or_b64 exec, exec, s[14:15]
	v_mbcnt_hi_u32_b32 v86, -1, v82
	v_and_b32_e32 v41, 0x60, v86
	v_add_u32_e32 v87, 32, v41
	v_xor_b32_e32 v89, 16, v86
	v_cmp_lt_i32_e32 vcc, v89, v87
	v_xor_b32_e32 v92, 8, v86
	v_xor_b32_e32 v90, 4, v86
	v_cndmask_b32_e32 v41, v86, v89, vcc
	v_lshlrev_b32_e32 v82, 2, v41
	ds_bpermute_b32 v41, v82, v32
	v_cmp_lt_i32_e32 vcc, v92, v87
	v_max_f32_e32 v32, v32, v32
	v_xor_b32_e32 v91, 2, v86
	v_cndmask_b32_e32 v46, v86, v92, vcc
	s_waitcnt lgkmcnt(0)
	v_max_f32_e32 v41, v41, v41
	v_lshlrev_b32_e32 v93, 2, v46
	v_max_f32_e32 v32, v32, v41
	ds_bpermute_b32 v41, v93, v32
	v_cmp_lt_i32_e32 vcc, v90, v87
	v_xor_b32_e32 v88, 1, v86
	s_waitcnt lgkmcnt(0)
	v_max_f32_e32 v41, v41, v41
	v_cndmask_b32_e32 v46, v86, v90, vcc
	v_lshlrev_b32_e32 v94, 2, v46
	v_max_f32_e32 v32, v32, v41
	ds_bpermute_b32 v41, v94, v32
	v_cmp_lt_i32_e32 vcc, v91, v87
	s_waitcnt lgkmcnt(0)
	v_max_f32_e32 v41, v41, v41
	v_cndmask_b32_e32 v46, v86, v91, vcc
	v_lshlrev_b32_e32 v95, 2, v46
	v_max_f32_e32 v32, v32, v41
	ds_bpermute_b32 v41, v95, v32
	v_cmp_lt_i32_e32 vcc, v88, v87
	s_waitcnt lgkmcnt(0)
	v_max_f32_e32 v41, v41, v41
	v_cndmask_b32_e32 v46, v86, v88, vcc
	v_lshlrev_b32_e32 v96, 2, v46
	v_max_f32_e32 v32, v32, v41
	ds_bpermute_b32 v41, v96, v32
	v_mul_hi_u32 v46, s24, v81
	s_waitcnt lgkmcnt(0)
	v_max_f32_e32 v41, v41, v41
	v_max_f32_e32 v32, v32, v41
	v_add_u32_e32 v41, v81, v46
	v_lshrrev_b32_e32 v41, s25, v41
	v_mul_lo_u32 v41, v41, s26
	v_sub_u32_e32 v41, v81, v41
	v_mul_lo_u32 v41, v41, s30
	v_add_u32_e32 v46, s28, v41
	s_and_saveexec_b64 s[14:15], s[8:9]
	s_cbranch_execz .LBB52_62
; %bb.58:
	s_and_b64 vcc, exec, s[6:7]
	s_cbranch_vccnz .LBB52_60
; %bb.59:
	v_add_u32_e32 v98, v46, v40
	v_ashrrev_i32_e32 v99, 31, v98
	v_lshl_add_u64 v[98:99], v[98:99], 1, v[42:43]
	global_load_ushort v41, v[98:99], off
	s_waitcnt vmcnt(0)
	v_cvt_f32_f16_e32 v41, v41
	v_mul_f32_e32 v41, v66, v41
	s_branch .LBB52_61
.LBB52_60:
	v_mov_b32_e32 v41, 0
.LBB52_61:
	v_add_f32_e32 v1, v1, v41
	v_add_f32_e32 v41, 0x40051340, v1
	v_max_f32_e32 v33, v33, v33
	v_max_f32_e32 v33, v33, v41
.LBB52_62:
	s_or_b64 exec, exec, s[14:15]
	s_and_saveexec_b64 s[14:15], s[10:11]
	s_cbranch_execz .LBB52_67
; %bb.63:
	s_and_b64 vcc, exec, s[6:7]
	s_cbranch_vccnz .LBB52_65
; %bb.64:
	v_ashrrev_i32_e32 v47, 31, v46
	v_mov_b32_e32 v41, 0
	v_lshl_add_u64 v[46:47], v[46:47], 0, v[40:41]
	v_lshl_add_u64 v[46:47], v[46:47], 1, v[42:43]
	global_load_ushort v41, v[46:47], off offset:64
	s_waitcnt vmcnt(0)
	v_cvt_f32_f16_e32 v41, v41
	v_mul_f32_e32 v41, v66, v41
	s_branch .LBB52_66
.LBB52_65:
	v_mov_b32_e32 v41, 0
.LBB52_66:
	v_add_f32_e32 v9, v9, v41
	v_add_f32_e32 v41, 0x40051340, v9
	v_max_f32_e32 v33, v33, v33
	v_max_f32_e32 v33, v33, v41
.LBB52_67:
	s_or_b64 exec, exec, s[14:15]
	ds_bpermute_b32 v41, v82, v33
	v_max_f32_e32 v33, v33, v33
	v_mul_hi_u32 v46, s24, v79
	v_add_u32_e32 v46, v79, v46
	v_lshrrev_b32_e32 v46, s25, v46
	s_waitcnt lgkmcnt(0)
	v_max_f32_e32 v41, v41, v41
	v_max_f32_e32 v33, v33, v41
	ds_bpermute_b32 v41, v93, v33
	v_mul_lo_u32 v46, v46, s26
	v_sub_u32_e32 v46, v79, v46
	v_mul_lo_u32 v46, v46, s30
	v_add_u32_e32 v46, s28, v46
	s_waitcnt lgkmcnt(0)
	v_max_f32_e32 v41, v41, v41
	v_max_f32_e32 v33, v33, v41
	ds_bpermute_b32 v41, v94, v33
	s_waitcnt lgkmcnt(0)
	v_max_f32_e32 v41, v41, v41
	v_max_f32_e32 v33, v33, v41
	ds_bpermute_b32 v41, v95, v33
	s_waitcnt lgkmcnt(0)
	v_max_f32_e32 v41, v41, v41
	v_max_f32_e32 v33, v33, v41
	ds_bpermute_b32 v41, v96, v33
	s_waitcnt lgkmcnt(0)
	v_max_f32_e32 v41, v41, v41
	v_max_f32_e32 v33, v33, v41
	s_and_saveexec_b64 s[14:15], s[8:9]
	s_cbranch_execz .LBB52_72
; %bb.68:
	s_and_b64 vcc, exec, s[6:7]
	s_cbranch_vccnz .LBB52_70
; %bb.69:
	v_add_u32_e32 v98, v46, v40
	v_ashrrev_i32_e32 v99, 31, v98
	v_lshl_add_u64 v[98:99], v[98:99], 1, v[42:43]
	global_load_ushort v41, v[98:99], off
	s_waitcnt vmcnt(0)
	v_cvt_f32_f16_e32 v41, v41
	v_mul_f32_e32 v41, v66, v41
	s_branch .LBB52_71
.LBB52_70:
	v_mov_b32_e32 v41, 0
.LBB52_71:
	v_add_f32_e32 v2, v2, v41
	v_add_f32_e32 v41, 0x40051340, v2
	v_max_f32_e32 v34, v34, v34
	v_max_f32_e32 v34, v34, v41
.LBB52_72:
	s_or_b64 exec, exec, s[14:15]
	s_and_saveexec_b64 s[14:15], s[10:11]
	s_cbranch_execz .LBB52_77
; %bb.73:
	s_and_b64 vcc, exec, s[6:7]
	s_cbranch_vccnz .LBB52_75
; %bb.74:
	v_ashrrev_i32_e32 v47, 31, v46
	v_mov_b32_e32 v41, 0
	v_lshl_add_u64 v[46:47], v[46:47], 0, v[40:41]
	v_lshl_add_u64 v[46:47], v[46:47], 1, v[42:43]
	global_load_ushort v41, v[46:47], off offset:64
	s_waitcnt vmcnt(0)
	v_cvt_f32_f16_e32 v41, v41
	v_mul_f32_e32 v41, v66, v41
	s_branch .LBB52_76
.LBB52_75:
	v_mov_b32_e32 v41, 0
.LBB52_76:
	v_add_f32_e32 v10, v10, v41
	v_add_f32_e32 v41, 0x40051340, v10
	v_max_f32_e32 v34, v34, v34
	v_max_f32_e32 v34, v34, v41
.LBB52_77:
	s_or_b64 exec, exec, s[14:15]
	ds_bpermute_b32 v41, v82, v34
	v_max_f32_e32 v34, v34, v34
	v_mul_hi_u32 v46, s24, v77
	v_add_u32_e32 v46, v77, v46
	v_lshrrev_b32_e32 v46, s25, v46
	s_waitcnt lgkmcnt(0)
	v_max_f32_e32 v41, v41, v41
	v_max_f32_e32 v34, v34, v41
	ds_bpermute_b32 v41, v93, v34
	v_mul_lo_u32 v46, v46, s26
	v_sub_u32_e32 v46, v77, v46
	v_mul_lo_u32 v46, v46, s30
	v_add_u32_e32 v46, s28, v46
	s_waitcnt lgkmcnt(0)
	v_max_f32_e32 v41, v41, v41
	v_max_f32_e32 v34, v34, v41
	ds_bpermute_b32 v41, v94, v34
	s_waitcnt lgkmcnt(0)
	v_max_f32_e32 v41, v41, v41
	v_max_f32_e32 v34, v34, v41
	ds_bpermute_b32 v41, v95, v34
	;; [unrolled: 4-line block ×3, first 2 shown]
	s_waitcnt lgkmcnt(0)
	v_max_f32_e32 v41, v41, v41
	v_max_f32_e32 v34, v34, v41
	s_and_saveexec_b64 s[14:15], s[8:9]
	s_cbranch_execz .LBB52_82
; %bb.78:
	s_and_b64 vcc, exec, s[6:7]
	s_cbranch_vccnz .LBB52_80
; %bb.79:
	v_add_u32_e32 v98, v46, v40
	v_ashrrev_i32_e32 v99, 31, v98
	v_lshl_add_u64 v[98:99], v[98:99], 1, v[42:43]
	global_load_ushort v41, v[98:99], off
	s_waitcnt vmcnt(0)
	v_cvt_f32_f16_e32 v41, v41
	v_mul_f32_e32 v41, v66, v41
	s_branch .LBB52_81
.LBB52_80:
	v_mov_b32_e32 v41, 0
.LBB52_81:
	v_add_f32_e32 v3, v3, v41
	v_add_f32_e32 v41, 0x40051340, v3
	v_max_f32_e32 v35, v35, v35
	v_max_f32_e32 v35, v35, v41
.LBB52_82:
	s_or_b64 exec, exec, s[14:15]
	s_and_saveexec_b64 s[14:15], s[10:11]
	s_cbranch_execz .LBB52_87
; %bb.83:
	s_and_b64 vcc, exec, s[6:7]
	s_cbranch_vccnz .LBB52_85
; %bb.84:
	v_ashrrev_i32_e32 v47, 31, v46
	v_mov_b32_e32 v41, 0
	v_lshl_add_u64 v[46:47], v[46:47], 0, v[40:41]
	v_lshl_add_u64 v[46:47], v[46:47], 1, v[42:43]
	global_load_ushort v41, v[46:47], off offset:64
	s_waitcnt vmcnt(0)
	v_cvt_f32_f16_e32 v41, v41
	v_mul_f32_e32 v41, v66, v41
	s_branch .LBB52_86
.LBB52_85:
	v_mov_b32_e32 v41, 0
.LBB52_86:
	v_add_f32_e32 v11, v11, v41
	v_add_f32_e32 v41, 0x40051340, v11
	v_max_f32_e32 v35, v35, v35
	v_max_f32_e32 v35, v35, v41
.LBB52_87:
	s_or_b64 exec, exec, s[14:15]
	ds_bpermute_b32 v41, v82, v35
	v_max_f32_e32 v35, v35, v35
	v_mul_hi_u32 v46, s24, v75
	v_add_u32_e32 v46, v75, v46
	v_lshrrev_b32_e32 v46, s25, v46
	s_waitcnt lgkmcnt(0)
	v_max_f32_e32 v41, v41, v41
	v_max_f32_e32 v35, v35, v41
	ds_bpermute_b32 v41, v93, v35
	v_mul_lo_u32 v46, v46, s26
	v_sub_u32_e32 v46, v75, v46
	v_mul_lo_u32 v46, v46, s30
	v_add_u32_e32 v46, s28, v46
	s_waitcnt lgkmcnt(0)
	v_max_f32_e32 v41, v41, v41
	v_max_f32_e32 v35, v35, v41
	ds_bpermute_b32 v41, v94, v35
	s_waitcnt lgkmcnt(0)
	v_max_f32_e32 v41, v41, v41
	v_max_f32_e32 v35, v35, v41
	ds_bpermute_b32 v41, v95, v35
	;; [unrolled: 4-line block ×3, first 2 shown]
	s_waitcnt lgkmcnt(0)
	v_max_f32_e32 v41, v41, v41
	v_max_f32_e32 v35, v35, v41
	s_and_saveexec_b64 s[14:15], s[8:9]
	s_cbranch_execz .LBB52_92
; %bb.88:
	s_and_b64 vcc, exec, s[6:7]
	s_cbranch_vccnz .LBB52_90
; %bb.89:
	v_add_u32_e32 v98, v46, v40
	v_ashrrev_i32_e32 v99, 31, v98
	v_lshl_add_u64 v[98:99], v[98:99], 1, v[42:43]
	global_load_ushort v41, v[98:99], off
	s_waitcnt vmcnt(0)
	v_cvt_f32_f16_e32 v41, v41
	v_mul_f32_e32 v41, v66, v41
	s_branch .LBB52_91
.LBB52_90:
	v_mov_b32_e32 v41, 0
.LBB52_91:
	v_add_f32_e32 v4, v4, v41
	v_add_f32_e32 v41, 0x40051340, v4
	v_max_f32_e32 v36, v36, v36
	v_max_f32_e32 v36, v36, v41
.LBB52_92:
	s_or_b64 exec, exec, s[14:15]
	s_and_saveexec_b64 s[14:15], s[10:11]
	s_cbranch_execz .LBB52_97
; %bb.93:
	s_and_b64 vcc, exec, s[6:7]
	s_cbranch_vccnz .LBB52_95
; %bb.94:
	v_ashrrev_i32_e32 v47, 31, v46
	v_mov_b32_e32 v41, 0
	v_lshl_add_u64 v[46:47], v[46:47], 0, v[40:41]
	v_lshl_add_u64 v[46:47], v[46:47], 1, v[42:43]
	global_load_ushort v41, v[46:47], off offset:64
	s_waitcnt vmcnt(0)
	v_cvt_f32_f16_e32 v41, v41
	v_mul_f32_e32 v41, v66, v41
	s_branch .LBB52_96
.LBB52_95:
	v_mov_b32_e32 v41, 0
.LBB52_96:
	v_add_f32_e32 v12, v12, v41
	v_add_f32_e32 v41, 0x40051340, v12
	v_max_f32_e32 v36, v36, v36
	v_max_f32_e32 v36, v36, v41
.LBB52_97:
	s_or_b64 exec, exec, s[14:15]
	ds_bpermute_b32 v41, v82, v36
	v_max_f32_e32 v36, v36, v36
	v_mul_hi_u32 v46, s24, v73
	v_add_u32_e32 v46, v73, v46
	v_lshrrev_b32_e32 v46, s25, v46
	s_waitcnt lgkmcnt(0)
	v_max_f32_e32 v41, v41, v41
	v_max_f32_e32 v36, v36, v41
	ds_bpermute_b32 v41, v93, v36
	v_mul_lo_u32 v46, v46, s26
	v_sub_u32_e32 v46, v73, v46
	v_mul_lo_u32 v46, v46, s30
	v_add_u32_e32 v46, s28, v46
	s_waitcnt lgkmcnt(0)
	v_max_f32_e32 v41, v41, v41
	v_max_f32_e32 v36, v36, v41
	ds_bpermute_b32 v41, v94, v36
	s_waitcnt lgkmcnt(0)
	v_max_f32_e32 v41, v41, v41
	v_max_f32_e32 v36, v36, v41
	ds_bpermute_b32 v41, v95, v36
	;; [unrolled: 4-line block ×3, first 2 shown]
	s_waitcnt lgkmcnt(0)
	v_max_f32_e32 v41, v41, v41
	v_max_f32_e32 v36, v36, v41
	s_and_saveexec_b64 s[14:15], s[8:9]
	s_cbranch_execz .LBB52_102
; %bb.98:
	s_and_b64 vcc, exec, s[6:7]
	s_cbranch_vccnz .LBB52_100
; %bb.99:
	v_add_u32_e32 v98, v46, v40
	v_ashrrev_i32_e32 v99, 31, v98
	v_lshl_add_u64 v[98:99], v[98:99], 1, v[42:43]
	global_load_ushort v41, v[98:99], off
	s_waitcnt vmcnt(0)
	v_cvt_f32_f16_e32 v41, v41
	v_mul_f32_e32 v41, v66, v41
	s_branch .LBB52_101
.LBB52_100:
	v_mov_b32_e32 v41, 0
.LBB52_101:
	v_add_f32_e32 v5, v5, v41
	v_add_f32_e32 v41, 0x40051340, v5
	v_max_f32_e32 v37, v37, v37
	v_max_f32_e32 v37, v37, v41
.LBB52_102:
	s_or_b64 exec, exec, s[14:15]
	s_and_saveexec_b64 s[14:15], s[10:11]
	s_cbranch_execz .LBB52_107
; %bb.103:
	s_and_b64 vcc, exec, s[6:7]
	s_cbranch_vccnz .LBB52_105
; %bb.104:
	v_ashrrev_i32_e32 v47, 31, v46
	v_mov_b32_e32 v41, 0
	v_lshl_add_u64 v[46:47], v[46:47], 0, v[40:41]
	v_lshl_add_u64 v[46:47], v[46:47], 1, v[42:43]
	global_load_ushort v41, v[46:47], off offset:64
	s_waitcnt vmcnt(0)
	v_cvt_f32_f16_e32 v41, v41
	v_mul_f32_e32 v41, v66, v41
	s_branch .LBB52_106
.LBB52_105:
	v_mov_b32_e32 v41, 0
.LBB52_106:
	v_add_f32_e32 v13, v13, v41
	v_add_f32_e32 v41, 0x40051340, v13
	v_max_f32_e32 v37, v37, v37
	v_max_f32_e32 v37, v37, v41
.LBB52_107:
	s_or_b64 exec, exec, s[14:15]
	ds_bpermute_b32 v41, v82, v37
	v_max_f32_e32 v37, v37, v37
	v_mul_hi_u32 v46, s24, v71
	v_add_u32_e32 v46, v71, v46
	v_lshrrev_b32_e32 v46, s25, v46
	s_waitcnt lgkmcnt(0)
	v_max_f32_e32 v41, v41, v41
	v_max_f32_e32 v37, v37, v41
	ds_bpermute_b32 v41, v93, v37
	v_mul_lo_u32 v46, v46, s26
	v_sub_u32_e32 v46, v71, v46
	v_mul_lo_u32 v46, v46, s30
	v_add_u32_e32 v46, s28, v46
	s_waitcnt lgkmcnt(0)
	v_max_f32_e32 v41, v41, v41
	v_max_f32_e32 v37, v37, v41
	ds_bpermute_b32 v41, v94, v37
	s_waitcnt lgkmcnt(0)
	v_max_f32_e32 v41, v41, v41
	v_max_f32_e32 v37, v37, v41
	ds_bpermute_b32 v41, v95, v37
	;; [unrolled: 4-line block ×3, first 2 shown]
	s_waitcnt lgkmcnt(0)
	v_max_f32_e32 v41, v41, v41
	v_max_f32_e32 v37, v37, v41
	s_and_saveexec_b64 s[14:15], s[8:9]
	s_cbranch_execz .LBB52_112
; %bb.108:
	s_and_b64 vcc, exec, s[6:7]
	s_cbranch_vccnz .LBB52_110
; %bb.109:
	v_add_u32_e32 v98, v46, v40
	v_ashrrev_i32_e32 v99, 31, v98
	v_lshl_add_u64 v[98:99], v[98:99], 1, v[42:43]
	global_load_ushort v41, v[98:99], off
	s_waitcnt vmcnt(0)
	v_cvt_f32_f16_e32 v41, v41
	v_mul_f32_e32 v41, v66, v41
	s_branch .LBB52_111
.LBB52_110:
	v_mov_b32_e32 v41, 0
.LBB52_111:
	v_add_f32_e32 v6, v6, v41
	v_add_f32_e32 v41, 0x40051340, v6
	v_max_f32_e32 v38, v38, v38
	v_max_f32_e32 v38, v38, v41
.LBB52_112:
	s_or_b64 exec, exec, s[14:15]
	s_and_saveexec_b64 s[14:15], s[10:11]
	s_cbranch_execz .LBB52_117
; %bb.113:
	s_and_b64 vcc, exec, s[6:7]
	s_cbranch_vccnz .LBB52_115
; %bb.114:
	v_ashrrev_i32_e32 v47, 31, v46
	v_mov_b32_e32 v41, 0
	v_lshl_add_u64 v[46:47], v[46:47], 0, v[40:41]
	v_lshl_add_u64 v[46:47], v[46:47], 1, v[42:43]
	global_load_ushort v41, v[46:47], off offset:64
	s_waitcnt vmcnt(0)
	v_cvt_f32_f16_e32 v41, v41
	v_mul_f32_e32 v41, v66, v41
	s_branch .LBB52_116
.LBB52_115:
	v_mov_b32_e32 v41, 0
.LBB52_116:
	v_add_f32_e32 v14, v14, v41
	v_add_f32_e32 v41, 0x40051340, v14
	v_max_f32_e32 v38, v38, v38
	v_max_f32_e32 v38, v38, v41
.LBB52_117:
	s_or_b64 exec, exec, s[14:15]
	ds_bpermute_b32 v41, v82, v38
	v_max_f32_e32 v38, v38, v38
	v_mul_hi_u32 v46, s24, v70
	v_add_u32_e32 v46, v70, v46
	v_lshrrev_b32_e32 v46, s25, v46
	s_waitcnt lgkmcnt(0)
	v_max_f32_e32 v41, v41, v41
	v_max_f32_e32 v38, v38, v41
	ds_bpermute_b32 v41, v93, v38
	v_mul_lo_u32 v46, v46, s26
	v_sub_u32_e32 v46, v70, v46
	v_mul_lo_u32 v46, v46, s30
	v_add_u32_e32 v46, s28, v46
	s_waitcnt lgkmcnt(0)
	v_max_f32_e32 v41, v41, v41
	v_max_f32_e32 v38, v38, v41
	ds_bpermute_b32 v41, v94, v38
	s_waitcnt lgkmcnt(0)
	v_max_f32_e32 v41, v41, v41
	v_max_f32_e32 v38, v38, v41
	ds_bpermute_b32 v41, v95, v38
	;; [unrolled: 4-line block ×3, first 2 shown]
	s_waitcnt lgkmcnt(0)
	v_max_f32_e32 v41, v41, v41
	v_max_f32_e32 v38, v38, v41
	s_and_saveexec_b64 s[14:15], s[8:9]
	s_cbranch_execz .LBB52_122
; %bb.118:
	s_and_b64 vcc, exec, s[6:7]
	s_cbranch_vccnz .LBB52_120
; %bb.119:
	v_add_u32_e32 v70, v46, v40
	v_ashrrev_i32_e32 v71, 31, v70
	v_lshl_add_u64 v[70:71], v[70:71], 1, v[42:43]
	global_load_ushort v41, v[70:71], off
	s_waitcnt vmcnt(0)
	v_cvt_f32_f16_e32 v41, v41
	v_mul_f32_e32 v41, v66, v41
	s_branch .LBB52_121
.LBB52_120:
	v_mov_b32_e32 v41, 0
.LBB52_121:
	v_add_f32_e32 v7, v7, v41
	v_add_f32_e32 v41, 0x40051340, v7
	v_max_f32_e32 v39, v39, v39
	v_max_f32_e32 v39, v39, v41
.LBB52_122:
	s_or_b64 exec, exec, s[14:15]
	s_and_saveexec_b64 s[8:9], s[10:11]
	s_cbranch_execz .LBB52_127
; %bb.123:
	s_and_b64 vcc, exec, s[6:7]
	s_cbranch_vccnz .LBB52_125
; %bb.124:
	v_ashrrev_i32_e32 v47, 31, v46
	v_mov_b32_e32 v41, 0
	v_lshl_add_u64 v[46:47], v[46:47], 0, v[40:41]
	v_lshl_add_u64 v[42:43], v[46:47], 1, v[42:43]
	global_load_ushort v41, v[42:43], off offset:64
	s_waitcnt vmcnt(0)
	v_cvt_f32_f16_e32 v41, v41
	v_mul_f32_e32 v41, v66, v41
	s_branch .LBB52_126
.LBB52_125:
	v_mov_b32_e32 v41, 0
.LBB52_126:
	v_add_f32_e32 v15, v15, v41
	v_add_f32_e32 v41, 0x40051340, v15
	v_max_f32_e32 v39, v39, v39
	v_max_f32_e32 v39, v39, v41
.LBB52_127:
	s_or_b64 exec, exec, s[8:9]
	v_sub_f32_e32 v41, v8, v32
	ds_bpermute_b32 v8, v82, v39
	v_max_f32_e32 v39, v39, v39
	s_mov_b64 s[10:11], src_private_base
	v_sub_f32_e32 v0, v0, v32
	s_mov_b32 s10, 0x3fb8aa3b
	s_waitcnt lgkmcnt(0)
	v_max_f32_e32 v8, v8, v8
	v_max_f32_e32 v8, v39, v8
	ds_bpermute_b32 v39, v93, v8
	s_mov_b32 s14, 0xc2ce8ed0
	v_cmp_ngt_f32_e32 vcc, s14, v0
	s_mov_b32 s15, 0x42b17218
	v_sub_f32_e32 v1, v1, v33
	s_waitcnt lgkmcnt(0)
	v_max_f32_e32 v39, v39, v39
	v_max_f32_e32 v8, v8, v39
	ds_bpermute_b32 v39, v94, v8
	v_cmp_ngt_f32_e64 s[6:7], s14, v41
	v_sub_f32_e32 v9, v9, v33
	v_cmp_ngt_f32_e64 s[8:9], s14, v1
	v_sub_f32_e32 v2, v2, v34
	s_waitcnt lgkmcnt(0)
	v_max_f32_e32 v39, v39, v39
	v_max_f32_e32 v8, v8, v39
	ds_bpermute_b32 v39, v95, v8
	v_sub_f32_e32 v10, v10, v34
	v_sub_f32_e32 v3, v3, v35
	;; [unrolled: 1-line block ×4, first 2 shown]
	s_waitcnt lgkmcnt(0)
	v_max_f32_e32 v39, v39, v39
	v_max_f32_e32 v8, v8, v39
	ds_bpermute_b32 v39, v96, v8
	v_sub_f32_e32 v12, v12, v36
	s_mov_b32 s36, 0
	s_waitcnt lgkmcnt(0)
	s_barrier
	v_max_f32_e32 v39, v39, v39
	v_max_f32_e32 v39, v8, v39
	v_mul_f32_e32 v8, 0x3fb8aa3b, v0
	v_fma_f32 v42, v0, s10, -v8
	v_rndne_f32_e32 v43, v8
	v_fmac_f32_e32 v42, 0x32a5705f, v0
	v_sub_f32_e32 v8, v8, v43
	v_add_f32_e32 v8, v8, v42
	v_cvt_i32_f32_e32 v42, v43
	v_exp_f32_e32 v8, v8
	s_mov_b32 s38, s36
	s_mov_b32 s37, s36
	v_ldexp_f32 v8, v8, v42
	v_cndmask_b32_e32 v42, 0, v8, vcc
	v_cmp_nlt_f32_e32 vcc, s15, v0
	v_mul_f32_e32 v0, 0x3fb8aa3b, v41
	v_fma_f32 v43, v41, s10, -v0
	v_rndne_f32_e32 v46, v0
	v_fmac_f32_e32 v43, 0x32a5705f, v41
	v_sub_f32_e32 v0, v0, v46
	v_add_f32_e32 v0, v0, v43
	v_exp_f32_e32 v0, v0
	v_cvt_i32_f32_e32 v43, v46
	v_mov_b32_e32 v8, 0x7f800000
	v_mov_b32_e32 v96, s38
	;; [unrolled: 1-line block ×3, first 2 shown]
	v_ldexp_f32 v0, v0, v43
	v_cndmask_b32_e64 v0, 0, v0, s[6:7]
	v_cmp_nlt_f32_e64 s[6:7], s15, v41
	v_cndmask_b32_e32 v41, v8, v42, vcc
	v_mul_f32_e32 v42, 0x3fb8aa3b, v1
	v_fma_f32 v43, v1, s10, -v42
	v_rndne_f32_e32 v46, v42
	v_fmac_f32_e32 v43, 0x32a5705f, v1
	v_sub_f32_e32 v42, v42, v46
	v_add_f32_e32 v42, v42, v43
	v_exp_f32_e32 v42, v42
	v_cvt_i32_f32_e32 v43, v46
	v_cndmask_b32_e64 v0, v8, v0, s[6:7]
	v_cmp_gt_u32_e64 s[6:7], s31, v45
	v_cmp_gt_u32_e32 vcc, s31, v40
	v_mov_b32_e32 v94, s36
	v_cndmask_b32_e64 v46, 0, v0, s[6:7]
	v_ldexp_f32 v0, v42, v43
	v_mul_f32_e32 v42, 0x3fb8aa3b, v9
	v_fma_f32 v43, v9, s10, -v42
	v_rndne_f32_e32 v70, v42
	v_fmac_f32_e32 v43, 0x32a5705f, v9
	v_sub_f32_e32 v42, v42, v70
	v_add_f32_e32 v42, v42, v43
	v_exp_f32_e32 v42, v42
	v_cvt_i32_f32_e32 v43, v70
	v_cndmask_b32_e64 v0, 0, v0, s[8:9]
	v_cmp_nlt_f32_e64 s[8:9], s15, v1
	v_mul_f32_e32 v1, 0x3fb8aa3b, v2
	v_cndmask_b32_e32 v41, 0, v41, vcc
	v_cndmask_b32_e64 v0, v8, v0, s[8:9]
	v_cndmask_b32_e32 v70, 0, v0, vcc
	v_ldexp_f32 v0, v42, v43
	v_fma_f32 v42, v2, s10, -v1
	v_rndne_f32_e32 v43, v1
	v_fmac_f32_e32 v42, 0x32a5705f, v2
	v_sub_f32_e32 v1, v1, v43
	v_add_f32_e32 v1, v1, v42
	v_exp_f32_e32 v1, v1
	v_cvt_i32_f32_e32 v42, v43
	v_cmp_ngt_f32_e64 s[8:9], s14, v9
	scratch_store_dwordx3 off, v[94:96], off offset:4
	v_sub_f32_e32 v24, v24, v32
	v_cndmask_b32_e64 v0, 0, v0, s[8:9]
	v_cmp_nlt_f32_e64 s[8:9], s15, v9
	v_mul_f32_e32 v47, 0x3fb8aa3b, v24
	v_fma_f32 v66, v24, s10, -v47
	v_cndmask_b32_e64 v0, v8, v0, s[8:9]
	v_cndmask_b32_e64 v9, 0, v0, s[6:7]
	v_ldexp_f32 v0, v1, v42
	v_mul_f32_e32 v1, 0x3fb8aa3b, v10
	v_fma_f32 v42, v10, s10, -v1
	v_rndne_f32_e32 v43, v1
	v_fmac_f32_e32 v42, 0x32a5705f, v10
	v_sub_f32_e32 v1, v1, v43
	v_add_f32_e32 v1, v1, v42
	v_exp_f32_e32 v1, v1
	v_cvt_i32_f32_e32 v42, v43
	v_cmp_ngt_f32_e64 s[8:9], s14, v2
	v_fmac_f32_e32 v66, 0x32a5705f, v24
	s_nop 0
	v_cndmask_b32_e64 v0, 0, v0, s[8:9]
	v_cmp_nlt_f32_e64 s[8:9], s15, v2
	s_nop 1
	v_cndmask_b32_e64 v0, v8, v0, s[8:9]
	v_cndmask_b32_e32 v43, 0, v0, vcc
	v_ldexp_f32 v0, v1, v42
	v_mul_f32_e32 v1, 0x3fb8aa3b, v3
	v_fma_f32 v2, v3, s10, -v1
	v_rndne_f32_e32 v42, v1
	v_fmac_f32_e32 v2, 0x32a5705f, v3
	v_sub_f32_e32 v1, v1, v42
	v_add_f32_e32 v1, v1, v2
	v_exp_f32_e32 v1, v1
	v_cvt_i32_f32_e32 v2, v42
	v_cmp_ngt_f32_e64 s[8:9], s14, v10
	s_nop 1
	v_cndmask_b32_e64 v0, 0, v0, s[8:9]
	v_cmp_nlt_f32_e64 s[8:9], s15, v10
	s_nop 1
	v_cndmask_b32_e64 v0, v8, v0, s[8:9]
	v_cndmask_b32_e64 v42, 0, v0, s[6:7]
	v_ldexp_f32 v0, v1, v2
	v_mul_f32_e32 v1, 0x3fb8aa3b, v11
	v_fma_f32 v2, v11, s10, -v1
	v_rndne_f32_e32 v10, v1
	v_fmac_f32_e32 v2, 0x32a5705f, v11
	v_sub_f32_e32 v1, v1, v10
	v_add_f32_e32 v1, v1, v2
	v_exp_f32_e32 v1, v1
	v_cvt_i32_f32_e32 v2, v10
	v_cmp_ngt_f32_e64 s[8:9], s14, v3
	v_mul_lo_u32 v10, s2, v85
	s_nop 0
	v_cndmask_b32_e64 v0, 0, v0, s[8:9]
	v_cmp_nlt_f32_e64 s[8:9], s15, v3
	s_nop 1
	v_cndmask_b32_e64 v0, v8, v0, s[8:9]
	v_cndmask_b32_e32 v71, 0, v0, vcc
	v_ldexp_f32 v0, v1, v2
	v_mul_f32_e32 v1, 0x3fb8aa3b, v4
	v_fma_f32 v2, v4, s10, -v1
	v_rndne_f32_e32 v3, v1
	v_fmac_f32_e32 v2, 0x32a5705f, v4
	v_sub_f32_e32 v1, v1, v3
	v_add_f32_e32 v1, v1, v2
	v_exp_f32_e32 v1, v1
	v_cvt_i32_f32_e32 v2, v3
	v_cmp_ngt_f32_e64 s[8:9], s14, v11
	s_nop 1
	v_cndmask_b32_e64 v0, 0, v0, s[8:9]
	v_cmp_nlt_f32_e64 s[8:9], s15, v11
	v_ashrrev_i32_e32 v11, 31, v10
	s_nop 0
	v_cndmask_b32_e64 v0, v8, v0, s[8:9]
	v_cndmask_b32_e64 v73, 0, v0, s[6:7]
	v_ldexp_f32 v0, v1, v2
	v_mul_f32_e32 v1, 0x3fb8aa3b, v12
	v_fma_f32 v2, v12, s10, -v1
	v_rndne_f32_e32 v3, v1
	v_fmac_f32_e32 v2, 0x32a5705f, v12
	v_sub_f32_e32 v1, v1, v3
	v_add_f32_e32 v1, v1, v2
	v_exp_f32_e32 v1, v1
	v_cvt_i32_f32_e32 v2, v3
	v_cmp_ngt_f32_e64 s[8:9], s14, v4
	s_nop 1
	v_cndmask_b32_e64 v0, 0, v0, s[8:9]
	v_cmp_nlt_f32_e64 s[8:9], s15, v4
	s_nop 1
	v_cndmask_b32_e64 v0, v8, v0, s[8:9]
	v_cndmask_b32_e32 v75, 0, v0, vcc
	v_ldexp_f32 v0, v1, v2
	v_sub_f32_e32 v1, v5, v37
	v_mul_f32_e32 v2, 0x3fb8aa3b, v1
	v_fma_f32 v3, v1, s10, -v2
	v_rndne_f32_e32 v4, v2
	v_fmac_f32_e32 v3, 0x32a5705f, v1
	v_sub_f32_e32 v2, v2, v4
	v_add_f32_e32 v2, v2, v3
	v_exp_f32_e32 v2, v2
	v_cvt_i32_f32_e32 v3, v4
	v_cmp_ngt_f32_e64 s[8:9], s14, v12
	s_nop 1
	v_cndmask_b32_e64 v0, 0, v0, s[8:9]
	v_cmp_nlt_f32_e64 s[8:9], s15, v12
	v_mov_b32_e32 v12, s11
	s_nop 0
	v_cndmask_b32_e64 v0, v8, v0, s[8:9]
	v_cndmask_b32_e64 v77, 0, v0, s[6:7]
	v_ldexp_f32 v0, v2, v3
	v_sub_f32_e32 v2, v13, v37
	v_mul_f32_e32 v3, 0x3fb8aa3b, v2
	v_fma_f32 v4, v2, s10, -v3
	v_rndne_f32_e32 v5, v3
	v_fmac_f32_e32 v4, 0x32a5705f, v2
	v_sub_f32_e32 v3, v3, v5
	v_add_f32_e32 v3, v3, v4
	v_exp_f32_e32 v3, v3
	v_cvt_i32_f32_e32 v4, v5
	v_cmp_ngt_f32_e64 s[8:9], s14, v1
	v_mov_b32_e32 v13, 0
	s_nop 0
	v_cndmask_b32_e64 v0, 0, v0, s[8:9]
	v_cmp_nlt_f32_e64 s[8:9], s15, v1
	v_sub_f32_e32 v1, v6, v38
	s_nop 0
	v_cndmask_b32_e64 v0, v8, v0, s[8:9]
	v_cndmask_b32_e32 v79, 0, v0, vcc
	v_ldexp_f32 v0, v3, v4
	v_mul_f32_e32 v3, 0x3fb8aa3b, v1
	v_fma_f32 v4, v1, s10, -v3
	v_rndne_f32_e32 v5, v3
	v_fmac_f32_e32 v4, 0x32a5705f, v1
	v_sub_f32_e32 v3, v3, v5
	v_add_f32_e32 v3, v3, v4
	v_exp_f32_e32 v3, v3
	v_cvt_i32_f32_e32 v4, v5
	v_cmp_ngt_f32_e64 s[8:9], s14, v2
	s_nop 1
	v_cndmask_b32_e64 v0, 0, v0, s[8:9]
	v_cmp_nlt_f32_e64 s[8:9], s15, v2
	v_sub_f32_e32 v2, v14, v38
	s_nop 0
	v_cndmask_b32_e64 v0, v8, v0, s[8:9]
	v_cndmask_b32_e64 v81, 0, v0, s[6:7]
	v_ldexp_f32 v0, v3, v4
	v_mul_f32_e32 v3, 0x3fb8aa3b, v2
	v_fma_f32 v4, v2, s10, -v3
	v_rndne_f32_e32 v5, v3
	v_fmac_f32_e32 v4, 0x32a5705f, v2
	v_sub_f32_e32 v3, v3, v5
	v_add_f32_e32 v3, v3, v4
	v_exp_f32_e32 v3, v3
	v_cvt_i32_f32_e32 v4, v5
	v_cmp_ngt_f32_e64 s[8:9], s14, v1
	s_nop 1
	v_cndmask_b32_e64 v0, 0, v0, s[8:9]
	v_cmp_nlt_f32_e64 s[8:9], s15, v1
	v_sub_f32_e32 v1, v7, v39
	s_nop 0
	v_cndmask_b32_e64 v0, v8, v0, s[8:9]
	v_cndmask_b32_e32 v14, 0, v0, vcc
	v_ldexp_f32 v0, v3, v4
	v_mul_f32_e32 v3, 0x3fb8aa3b, v1
	v_fma_f32 v4, v1, s10, -v3
	v_rndne_f32_e32 v5, v3
	v_fmac_f32_e32 v4, 0x32a5705f, v1
	v_sub_f32_e32 v3, v3, v5
	v_add_f32_e32 v3, v3, v4
	v_exp_f32_e32 v3, v3
	v_cvt_i32_f32_e32 v4, v5
	v_cmp_ngt_f32_e64 s[8:9], s14, v2
	s_nop 1
	v_cndmask_b32_e64 v0, 0, v0, s[8:9]
	v_cmp_nlt_f32_e64 s[8:9], s15, v2
	v_sub_f32_e32 v2, v15, v39
	s_nop 0
	v_cndmask_b32_e64 v0, v8, v0, s[8:9]
	v_cndmask_b32_e64 v82, 0, v0, s[6:7]
	v_ldexp_f32 v0, v3, v4
	v_mul_f32_e32 v3, 0x3fb8aa3b, v2
	v_fma_f32 v4, v2, s10, -v3
	v_rndne_f32_e32 v5, v3
	v_fmac_f32_e32 v4, 0x32a5705f, v2
	v_sub_f32_e32 v3, v3, v5
	v_add_f32_e32 v3, v3, v4
	v_exp_f32_e32 v3, v3
	v_cvt_i32_f32_e32 v4, v5
	v_cmp_ngt_f32_e64 s[8:9], s14, v1
	s_nop 1
	v_cndmask_b32_e64 v0, 0, v0, s[8:9]
	v_cmp_nlt_f32_e64 s[8:9], s15, v1
	v_cvt_pk_f16_f32 v1, v43, v71
	s_nop 0
	v_cndmask_b32_e64 v0, v8, v0, s[8:9]
	v_cndmask_b32_e32 v15, 0, v0, vcc
	v_ldexp_f32 v0, v3, v4
	v_cmp_ngt_f32_e32 vcc, s14, v2
	v_add_u32_e32 v4, 0x2400, v64
	v_lshl_add_u32 v5, v40, 4, v4
	v_cndmask_b32_e32 v0, 0, v0, vcc
	v_cmp_nlt_f32_e32 vcc, s15, v2
	v_cvt_pk_f16_f32 v3, v14, v15
	v_cvt_pk_f16_f32 v2, v75, v79
	v_cndmask_b32_e32 v0, v8, v0, vcc
	v_cndmask_b32_e64 v93, 0, v0, s[6:7]
	s_mul_hi_i32 s7, s28, s2
	s_mul_i32 s6, s28, s2
	s_lshl_b64 s[6:7], s[6:7], 2
	v_cvt_pk_f16_f32 v0, v41, v70
	s_add_u32 s6, s18, s6
	ds_write_b128 v5, v[0:3]
	v_lshl_add_u32 v4, v45, 4, v4
	v_cvt_pk_f16_f32 v3, v82, v93
	v_cvt_pk_f16_f32 v2, v77, v81
	;; [unrolled: 1-line block ×4, first 2 shown]
	s_addc_u32 s7, s19, s7
	ds_write_b128 v4, v[0:3]
	v_lshl_add_u64 v[0:1], v[10:11], 2, s[6:7]
	v_mov_b32_e32 v45, 0
	v_lshl_add_u64 v[0:1], v[0:1], 0, v[44:45]
	scratch_store_dword off, v45, off
	v_cndmask_b32_e64 v1, v12, v1, s[4:5]
	v_cndmask_b32_e64 v0, v13, v0, s[4:5]
	flat_load_dwordx4 v[4:7], v[0:1]
	v_rndne_f32_e32 v0, v47
	v_sub_f32_e32 v1, v47, v0
	v_add_f32_e32 v1, v1, v66
	v_exp_f32_e32 v1, v1
	v_cvt_i32_f32_e32 v2, v0
	v_cmp_ngt_f32_e32 vcc, s14, v24
	v_add_f32_e32 v0, v41, v46
	v_lshl_add_u32 v10, s2, 5, v10
	v_ldexp_f32 v1, v1, v2
	v_cndmask_b32_e32 v1, 0, v1, vcc
	v_cmp_nlt_f32_e32 vcc, s15, v24
	v_sub_f32_e32 v2, v25, v33
	v_mul_f32_e32 v3, 0x3fb8aa3b, v2
	v_cndmask_b32_e32 v1, v8, v1, vcc
	v_fmac_f32_e32 v0, v16, v1
	v_fma_f32 v11, v2, s10, -v3
	v_rndne_f32_e32 v16, v3
	v_fmac_f32_e32 v11, 0x32a5705f, v2
	v_sub_f32_e32 v3, v3, v16
	v_add_f32_e32 v3, v3, v11
	v_exp_f32_e32 v3, v3
	v_cvt_i32_f32_e32 v11, v16
	v_cvt_f16_f32_e32 v1, v1
	v_cmp_ngt_f32_e32 vcc, s14, v2
	s_mov_b32 s4, 0x10001
	v_ldexp_f32 v3, v3, v11
	v_cndmask_b32_e32 v3, 0, v3, vcc
	v_cmp_nlt_f32_e32 vcc, s15, v2
	v_mul_u32_u24_e32 v1, 0x10001, v1
	v_pk_mul_f16 v41, v80, v1
	v_cndmask_b32_e32 v2, v8, v3, vcc
	v_sub_f32_e32 v3, v26, v34
	v_add_f32_e32 v1, v70, v9
	v_mul_f32_e32 v9, 0x3fb8aa3b, v3
	v_fma_f32 v11, v3, s10, -v9
	v_rndne_f32_e32 v16, v9
	v_fmac_f32_e32 v11, 0x32a5705f, v3
	v_sub_f32_e32 v9, v9, v16
	v_add_f32_e32 v9, v9, v11
	v_exp_f32_e32 v9, v9
	v_cvt_i32_f32_e32 v11, v16
	v_cmp_ngt_f32_e32 vcc, s14, v3
	v_fmac_f32_e32 v1, v17, v2
	v_cvt_f16_f32_e32 v2, v2
	v_ldexp_f32 v9, v9, v11
	v_cndmask_b32_e32 v9, 0, v9, vcc
	v_cmp_nlt_f32_e32 vcc, s15, v3
	v_mul_u32_u24_e32 v2, 0x10001, v2
	v_pk_mul_f16 v26, v78, v2
	v_cndmask_b32_e32 v3, v8, v9, vcc
	v_sub_f32_e32 v9, v27, v35
	v_mul_f32_e32 v11, 0x3fb8aa3b, v9
	v_fma_f32 v16, v9, s10, -v11
	v_rndne_f32_e32 v17, v11
	v_fmac_f32_e32 v16, 0x32a5705f, v9
	v_sub_f32_e32 v11, v11, v17
	v_add_f32_e32 v11, v11, v16
	v_exp_f32_e32 v11, v11
	v_cvt_i32_f32_e32 v16, v17
	v_cmp_ngt_f32_e32 vcc, s14, v9
	v_add_f32_e32 v2, v43, v42
	v_fmac_f32_e32 v2, v18, v3
	v_ldexp_f32 v11, v11, v16
	v_cndmask_b32_e32 v11, 0, v11, vcc
	v_cmp_nlt_f32_e32 vcc, s15, v9
	v_lshl_or_b32 v16, v85, 7, v44
	v_cvt_f16_f32_e32 v3, v3
	v_cndmask_b32_e32 v9, v8, v11, vcc
	v_ashrrev_i32_e32 v11, 31, v10
	v_lshl_add_u64 v[10:11], v[10:11], 2, s[6:7]
	v_lshl_add_u64 v[10:11], v[10:11], 0, v[44:45]
	v_mul_u32_u24_e32 v3, 0x10001, v3
	v_pk_mul_f16 v27, v76, v3
	v_add_f32_e32 v3, v71, v73
	v_fmac_f32_e32 v3, v19, v9
	v_cvt_f16_f32_e32 v9, v9
	s_waitcnt vmcnt(0) lgkmcnt(0)
	ds_write_b128 v16, v[4:7]
	scratch_store_dword off, v45, off
	scratch_store_dwordx3 off, v[94:96], off offset:4
	v_cndmask_b32_e64 v5, v12, v11, s[12:13]
	v_cndmask_b32_e64 v4, v13, v10, s[12:13]
	flat_load_dwordx4 v[10:13], v[4:5]
	v_sub_f32_e32 v5, v28, v36
	v_mul_f32_e32 v4, 0x3fb8aa3b, v5
	v_fma_f32 v6, v5, s10, -v4
	v_rndne_f32_e32 v7, v4
	v_fmac_f32_e32 v6, 0x32a5705f, v5
	v_sub_f32_e32 v4, v4, v7
	v_add_f32_e32 v4, v4, v6
	v_exp_f32_e32 v6, v4
	v_cvt_i32_f32_e32 v7, v7
	v_cmp_ngt_f32_e32 vcc, s14, v5
	v_mul_u32_u24_e32 v4, 0x10001, v9
	v_pk_mul_f16 v28, v74, v4
	v_ldexp_f32 v6, v6, v7
	v_cndmask_b32_e32 v6, 0, v6, vcc
	v_cmp_nlt_f32_e32 vcc, s15, v5
	v_add_f32_e32 v4, v75, v77
	s_nop 0
	v_cndmask_b32_e32 v5, v8, v6, vcc
	v_sub_f32_e32 v6, v29, v37
	v_mul_f32_e32 v7, 0x3fb8aa3b, v6
	v_fma_f32 v9, v6, s10, -v7
	v_rndne_f32_e32 v16, v7
	v_fmac_f32_e32 v9, 0x32a5705f, v6
	v_sub_f32_e32 v7, v7, v16
	v_add_f32_e32 v7, v7, v9
	v_exp_f32_e32 v7, v7
	v_cvt_i32_f32_e32 v9, v16
	v_cmp_ngt_f32_e32 vcc, s14, v6
	v_fmac_f32_e32 v4, v20, v5
	v_cvt_f16_f32_e32 v5, v5
	v_ldexp_f32 v7, v7, v9
	v_sub_f32_e32 v9, v30, v38
	v_mul_f32_e32 v16, 0x3fb8aa3b, v9
	v_cndmask_b32_e32 v7, 0, v7, vcc
	v_cmp_nlt_f32_e32 vcc, s15, v6
	v_fma_f32 v17, v9, s10, -v16
	v_rndne_f32_e32 v18, v16
	v_cndmask_b32_e32 v6, v8, v7, vcc
	v_fmac_f32_e32 v17, 0x32a5705f, v9
	v_sub_f32_e32 v16, v16, v18
	v_cvt_f16_f32_e32 v7, v6
	v_add_f32_e32 v16, v16, v17
	v_exp_f32_e32 v16, v16
	v_cvt_i32_f32_e32 v17, v18
	v_mul_u32_u24_e32 v5, 0x10001, v5
	v_pk_mul_f16 v29, v72, v5
	v_add_f32_e32 v5, v79, v81
	v_fmac_f32_e32 v5, v21, v6
	v_mul_u32_u24_e32 v6, 0x10001, v7
	v_pk_mul_f16 v30, v69, v6
	v_ldexp_f32 v6, v16, v17
	v_cmp_ngt_f32_e32 vcc, s14, v9
	v_sub_f32_e32 v16, v31, v39
	s_nop 0
	v_cndmask_b32_e32 v6, 0, v6, vcc
	v_cmp_nlt_f32_e32 vcc, s15, v9
	s_nop 1
	v_cndmask_b32_e32 v7, v8, v6, vcc
	v_mul_f32_e32 v6, 0x3fb8aa3b, v16
	v_fma_f32 v17, v16, s10, -v6
	v_rndne_f32_e32 v18, v6
	v_fmac_f32_e32 v17, 0x32a5705f, v16
	v_sub_f32_e32 v6, v6, v18
	v_add_f32_e32 v6, v6, v17
	v_cvt_f16_f32_e32 v9, v7
	v_exp_f32_e32 v17, v6
	v_cvt_i32_f32_e32 v18, v18
	v_add_f32_e32 v6, v14, v82
	v_fmac_f32_e32 v6, v22, v7
	v_mul_u32_u24_e32 v7, 0x10001, v9
	v_ldexp_f32 v9, v17, v18
	v_cmp_ngt_f32_e32 vcc, s14, v16
	v_pk_mul_f16 v31, v68, v7
	v_add_f32_e32 v7, v15, v93
	v_cndmask_b32_e32 v9, 0, v9, vcc
	v_cmp_nlt_f32_e32 vcc, s15, v16
	s_nop 1
	v_cndmask_b32_e32 v8, v8, v9, vcc
	v_cvt_f16_f32_e32 v9, v8
	v_fmac_f32_e32 v7, v23, v8
	v_mul_u32_u24_e32 v8, 0x10001, v9
	v_pk_mul_f16 v42, v67, v8
	v_lshl_or_b32 v8, v84, 7, v44
	s_waitcnt vmcnt(0) lgkmcnt(0)
	ds_write_b128 v8, v[10:13]
	s_waitcnt lgkmcnt(0)
	s_barrier
	ds_read_b128 v[8:11], v64 offset:9216
	ds_read2_b32 v[24:25], v65 offset1:32
	ds_read_b128 v[12:15], v64 offset:9232
	ds_read_b128 v[16:19], v64 offset:9248
	;; [unrolled: 1-line block ×3, first 2 shown]
	s_waitcnt lgkmcnt(4)
	v_mul_u32_u24_sdwa v43, v8, s4 dst_sel:DWORD dst_unused:UNUSED_PAD src0_sel:WORD_0 src1_sel:DWORD
	v_mul_u32_u24_sdwa v8, v8, s4 dst_sel:DWORD dst_unused:UNUSED_PAD src0_sel:WORD_1 src1_sel:DWORD
	v_mul_u32_u24_sdwa v44, v9, s4 dst_sel:DWORD dst_unused:UNUSED_PAD src0_sel:WORD_0 src1_sel:DWORD
	v_mul_u32_u24_sdwa v9, v9, s4 dst_sel:DWORD dst_unused:UNUSED_PAD src0_sel:WORD_1 src1_sel:DWORD
	v_mul_u32_u24_sdwa v45, v10, s4 dst_sel:DWORD dst_unused:UNUSED_PAD src0_sel:WORD_0 src1_sel:DWORD
	v_mul_u32_u24_sdwa v10, v10, s4 dst_sel:DWORD dst_unused:UNUSED_PAD src0_sel:WORD_1 src1_sel:DWORD
	v_mul_u32_u24_sdwa v46, v11, s4 dst_sel:DWORD dst_unused:UNUSED_PAD src0_sel:WORD_0 src1_sel:DWORD
	v_mul_u32_u24_sdwa v11, v11, s4 dst_sel:DWORD dst_unused:UNUSED_PAD src0_sel:WORD_1 src1_sel:DWORD
	s_waitcnt lgkmcnt(3)
	v_pk_fma_f16 v41, v24, v43, v41
	v_pk_fma_f16 v8, v24, v8, v26
	;; [unrolled: 1-line block ×8, first 2 shown]
	s_waitcnt lgkmcnt(2)
	v_mul_u32_u24_sdwa v24, v12, s4 dst_sel:DWORD dst_unused:UNUSED_PAD src0_sel:WORD_0 src1_sel:DWORD
	v_mul_u32_u24_sdwa v12, v12, s4 dst_sel:DWORD dst_unused:UNUSED_PAD src0_sel:WORD_1 src1_sel:DWORD
	v_mul_u32_u24_sdwa v29, v13, s4 dst_sel:DWORD dst_unused:UNUSED_PAD src0_sel:WORD_0 src1_sel:DWORD
	v_mul_u32_u24_sdwa v13, v13, s4 dst_sel:DWORD dst_unused:UNUSED_PAD src0_sel:WORD_1 src1_sel:DWORD
	v_pk_fma_f16 v8, v25, v12, v8
	v_pk_fma_f16 v9, v25, v13, v9
	ds_read2_b32 v[12:13], v65 offset0:64 offset1:96
	v_mul_u32_u24_sdwa v30, v14, s4 dst_sel:DWORD dst_unused:UNUSED_PAD src0_sel:WORD_0 src1_sel:DWORD
	v_mul_u32_u24_sdwa v14, v14, s4 dst_sel:DWORD dst_unused:UNUSED_PAD src0_sel:WORD_1 src1_sel:DWORD
	v_mul_u32_u24_sdwa v31, v15, s4 dst_sel:DWORD dst_unused:UNUSED_PAD src0_sel:WORD_0 src1_sel:DWORD
	v_mul_u32_u24_sdwa v15, v15, s4 dst_sel:DWORD dst_unused:UNUSED_PAD src0_sel:WORD_1 src1_sel:DWORD
	v_pk_fma_f16 v24, v25, v24, v41
	v_pk_fma_f16 v26, v25, v29, v26
	;; [unrolled: 1-line block ×6, first 2 shown]
	s_waitcnt lgkmcnt(2)
	v_mul_u32_u24_sdwa v15, v16, s4 dst_sel:DWORD dst_unused:UNUSED_PAD src0_sel:WORD_0 src1_sel:DWORD
	v_mul_u32_u24_sdwa v16, v16, s4 dst_sel:DWORD dst_unused:UNUSED_PAD src0_sel:WORD_1 src1_sel:DWORD
	v_mul_u32_u24_sdwa v25, v17, s4 dst_sel:DWORD dst_unused:UNUSED_PAD src0_sel:WORD_0 src1_sel:DWORD
	v_mul_u32_u24_sdwa v17, v17, s4 dst_sel:DWORD dst_unused:UNUSED_PAD src0_sel:WORD_1 src1_sel:DWORD
	;; [unrolled: 2-line block ×4, first 2 shown]
	s_waitcnt lgkmcnt(0)
	v_pk_fma_f16 v15, v12, v15, v24
	v_pk_fma_f16 v8, v12, v16, v8
	;; [unrolled: 1-line block ×8, first 2 shown]
	v_mul_u32_u24_sdwa v11, v20, s4 dst_sel:DWORD dst_unused:UNUSED_PAD src0_sel:WORD_0 src1_sel:DWORD
	v_mul_u32_u24_sdwa v18, v20, s4 dst_sel:DWORD dst_unused:UNUSED_PAD src0_sel:WORD_1 src1_sel:DWORD
	v_mul_u32_u24_sdwa v19, v21, s4 dst_sel:DWORD dst_unused:UNUSED_PAD src0_sel:WORD_0 src1_sel:DWORD
	v_mul_u32_u24_sdwa v20, v21, s4 dst_sel:DWORD dst_unused:UNUSED_PAD src0_sel:WORD_1 src1_sel:DWORD
	;; [unrolled: 2-line block ×4, first 2 shown]
	v_pk_fma_f16 v25, v13, v11, v15
	v_pk_fma_f16 v18, v13, v18, v8
	;; [unrolled: 1-line block ×4, first 2 shown]
	ds_read_b128 v[8:11], v64 offset:9280
	v_pk_fma_f16 v19, v13, v19, v16
	v_pk_fma_f16 v21, v13, v21, v17
	;; [unrolled: 1-line block ×4, first 2 shown]
	ds_read2_b32 v[16:17], v65 offset0:128 offset1:160
	ds_read_b128 v[12:15], v64 offset:9296
	s_waitcnt lgkmcnt(2)
	v_mul_u32_u24_sdwa v26, v8, s4 dst_sel:DWORD dst_unused:UNUSED_PAD src0_sel:WORD_0 src1_sel:DWORD
	v_mul_u32_u24_sdwa v8, v8, s4 dst_sel:DWORD dst_unused:UNUSED_PAD src0_sel:WORD_1 src1_sel:DWORD
	v_mul_u32_u24_sdwa v27, v9, s4 dst_sel:DWORD dst_unused:UNUSED_PAD src0_sel:WORD_0 src1_sel:DWORD
	v_mul_u32_u24_sdwa v9, v9, s4 dst_sel:DWORD dst_unused:UNUSED_PAD src0_sel:WORD_1 src1_sel:DWORD
	;; [unrolled: 2-line block ×4, first 2 shown]
	s_waitcnt lgkmcnt(1)
	v_pk_fma_f16 v25, v16, v26, v25
	v_pk_fma_f16 v8, v16, v8, v18
	v_pk_fma_f16 v18, v16, v27, v19
	v_pk_fma_f16 v9, v16, v9, v20
	v_pk_fma_f16 v19, v16, v28, v21
	v_pk_fma_f16 v10, v16, v10, v22
	v_pk_fma_f16 v20, v16, v29, v24
	v_pk_fma_f16 v16, v16, v11, v23
	s_waitcnt lgkmcnt(0)
	v_mul_u32_u24_sdwa v11, v12, s4 dst_sel:DWORD dst_unused:UNUSED_PAD src0_sel:WORD_0 src1_sel:DWORD
	v_mul_u32_u24_sdwa v12, v12, s4 dst_sel:DWORD dst_unused:UNUSED_PAD src0_sel:WORD_1 src1_sel:DWORD
	v_mul_u32_u24_sdwa v21, v13, s4 dst_sel:DWORD dst_unused:UNUSED_PAD src0_sel:WORD_0 src1_sel:DWORD
	v_mul_u32_u24_sdwa v13, v13, s4 dst_sel:DWORD dst_unused:UNUSED_PAD src0_sel:WORD_1 src1_sel:DWORD
	;; [unrolled: 2-line block ×4, first 2 shown]
	v_pk_fma_f16 v24, v17, v11, v25
	v_pk_fma_f16 v25, v17, v12, v8
	;; [unrolled: 1-line block ×6, first 2 shown]
	ds_read_b128 v[8:11], v64 offset:9312
	v_pk_fma_f16 v20, v17, v23, v20
	v_pk_fma_f16 v23, v17, v15, v16
	ds_read2_b32 v[16:17], v65 offset0:192 offset1:224
	ds_read_b128 v[12:15], v64 offset:9328
	s_waitcnt lgkmcnt(2)
	v_mul_u32_u24_sdwa v26, v8, s4 dst_sel:DWORD dst_unused:UNUSED_PAD src0_sel:WORD_0 src1_sel:DWORD
	v_mul_u32_u24_sdwa v8, v8, s4 dst_sel:DWORD dst_unused:UNUSED_PAD src0_sel:WORD_1 src1_sel:DWORD
	v_mul_u32_u24_sdwa v27, v9, s4 dst_sel:DWORD dst_unused:UNUSED_PAD src0_sel:WORD_0 src1_sel:DWORD
	v_mul_u32_u24_sdwa v9, v9, s4 dst_sel:DWORD dst_unused:UNUSED_PAD src0_sel:WORD_1 src1_sel:DWORD
	;; [unrolled: 2-line block ×4, first 2 shown]
	s_waitcnt lgkmcnt(1)
	v_pk_fma_f16 v24, v16, v26, v24
	v_pk_fma_f16 v8, v16, v8, v25
	;; [unrolled: 1-line block ×8, first 2 shown]
	s_waitcnt lgkmcnt(0)
	v_mul_u32_u24_sdwa v11, v12, s4 dst_sel:DWORD dst_unused:UNUSED_PAD src0_sel:WORD_0 src1_sel:DWORD
	v_mul_u32_u24_sdwa v12, v12, s4 dst_sel:DWORD dst_unused:UNUSED_PAD src0_sel:WORD_1 src1_sel:DWORD
	v_mul_u32_u24_sdwa v21, v13, s4 dst_sel:DWORD dst_unused:UNUSED_PAD src0_sel:WORD_0 src1_sel:DWORD
	v_mul_u32_u24_sdwa v13, v13, s4 dst_sel:DWORD dst_unused:UNUSED_PAD src0_sel:WORD_1 src1_sel:DWORD
	;; [unrolled: 2-line block ×4, first 2 shown]
	v_pk_fma_f16 v24, v17, v11, v24
	v_pk_fma_f16 v25, v17, v12, v8
	;; [unrolled: 1-line block ×6, first 2 shown]
	ds_read_b128 v[8:11], v64 offset:9344
	v_add_u32_e32 v26, 0x400, v65
	v_pk_fma_f16 v20, v17, v23, v20
	v_pk_fma_f16 v23, v17, v15, v16
	ds_read2_b32 v[16:17], v26 offset1:32
	ds_read_b128 v[12:15], v64 offset:9360
	s_waitcnt lgkmcnt(2)
	v_mul_u32_u24_sdwa v27, v8, s4 dst_sel:DWORD dst_unused:UNUSED_PAD src0_sel:WORD_0 src1_sel:DWORD
	v_mul_u32_u24_sdwa v8, v8, s4 dst_sel:DWORD dst_unused:UNUSED_PAD src0_sel:WORD_1 src1_sel:DWORD
	v_mul_u32_u24_sdwa v28, v9, s4 dst_sel:DWORD dst_unused:UNUSED_PAD src0_sel:WORD_0 src1_sel:DWORD
	v_mul_u32_u24_sdwa v9, v9, s4 dst_sel:DWORD dst_unused:UNUSED_PAD src0_sel:WORD_1 src1_sel:DWORD
	v_mul_u32_u24_sdwa v29, v10, s4 dst_sel:DWORD dst_unused:UNUSED_PAD src0_sel:WORD_0 src1_sel:DWORD
	v_mul_u32_u24_sdwa v10, v10, s4 dst_sel:DWORD dst_unused:UNUSED_PAD src0_sel:WORD_1 src1_sel:DWORD
	v_mul_u32_u24_sdwa v30, v11, s4 dst_sel:DWORD dst_unused:UNUSED_PAD src0_sel:WORD_0 src1_sel:DWORD
	v_mul_u32_u24_sdwa v11, v11, s4 dst_sel:DWORD dst_unused:UNUSED_PAD src0_sel:WORD_1 src1_sel:DWORD
	s_waitcnt lgkmcnt(1)
	v_pk_fma_f16 v24, v16, v27, v24
	v_pk_fma_f16 v8, v16, v8, v25
	v_pk_fma_f16 v18, v16, v28, v18
	v_pk_fma_f16 v9, v16, v9, v21
	v_pk_fma_f16 v19, v16, v29, v19
	v_pk_fma_f16 v10, v16, v10, v22
	v_pk_fma_f16 v20, v16, v30, v20
	v_pk_fma_f16 v16, v16, v11, v23
	s_waitcnt lgkmcnt(0)
	v_mul_u32_u24_sdwa v11, v12, s4 dst_sel:DWORD dst_unused:UNUSED_PAD src0_sel:WORD_0 src1_sel:DWORD
	v_mul_u32_u24_sdwa v12, v12, s4 dst_sel:DWORD dst_unused:UNUSED_PAD src0_sel:WORD_1 src1_sel:DWORD
	v_mul_u32_u24_sdwa v21, v13, s4 dst_sel:DWORD dst_unused:UNUSED_PAD src0_sel:WORD_0 src1_sel:DWORD
	v_mul_u32_u24_sdwa v13, v13, s4 dst_sel:DWORD dst_unused:UNUSED_PAD src0_sel:WORD_1 src1_sel:DWORD
	v_mul_u32_u24_sdwa v22, v14, s4 dst_sel:DWORD dst_unused:UNUSED_PAD src0_sel:WORD_0 src1_sel:DWORD
	v_mul_u32_u24_sdwa v14, v14, s4 dst_sel:DWORD dst_unused:UNUSED_PAD src0_sel:WORD_1 src1_sel:DWORD
	v_mul_u32_u24_sdwa v23, v15, s4 dst_sel:DWORD dst_unused:UNUSED_PAD src0_sel:WORD_0 src1_sel:DWORD
	v_mul_u32_u24_sdwa v15, v15, s4 dst_sel:DWORD dst_unused:UNUSED_PAD src0_sel:WORD_1 src1_sel:DWORD
	v_pk_fma_f16 v24, v17, v11, v24
	v_pk_fma_f16 v25, v17, v12, v8
	v_pk_fma_f16 v18, v17, v21, v18
	v_pk_fma_f16 v21, v17, v13, v9
	v_pk_fma_f16 v19, v17, v22, v19
	v_pk_fma_f16 v22, v17, v14, v10
	ds_read_b128 v[8:11], v64 offset:9376
	v_pk_fma_f16 v20, v17, v23, v20
	v_pk_fma_f16 v23, v17, v15, v16
	ds_read2_b32 v[16:17], v26 offset0:64 offset1:96
	ds_read_b128 v[12:15], v64 offset:9392
	s_waitcnt lgkmcnt(2)
	v_mul_u32_u24_sdwa v27, v8, s4 dst_sel:DWORD dst_unused:UNUSED_PAD src0_sel:WORD_0 src1_sel:DWORD
	v_mul_u32_u24_sdwa v8, v8, s4 dst_sel:DWORD dst_unused:UNUSED_PAD src0_sel:WORD_1 src1_sel:DWORD
	v_mul_u32_u24_sdwa v28, v9, s4 dst_sel:DWORD dst_unused:UNUSED_PAD src0_sel:WORD_0 src1_sel:DWORD
	v_mul_u32_u24_sdwa v9, v9, s4 dst_sel:DWORD dst_unused:UNUSED_PAD src0_sel:WORD_1 src1_sel:DWORD
	v_mul_u32_u24_sdwa v29, v10, s4 dst_sel:DWORD dst_unused:UNUSED_PAD src0_sel:WORD_0 src1_sel:DWORD
	v_mul_u32_u24_sdwa v10, v10, s4 dst_sel:DWORD dst_unused:UNUSED_PAD src0_sel:WORD_1 src1_sel:DWORD
	v_mul_u32_u24_sdwa v30, v11, s4 dst_sel:DWORD dst_unused:UNUSED_PAD src0_sel:WORD_0 src1_sel:DWORD
	v_mul_u32_u24_sdwa v11, v11, s4 dst_sel:DWORD dst_unused:UNUSED_PAD src0_sel:WORD_1 src1_sel:DWORD
	s_waitcnt lgkmcnt(1)
	v_pk_fma_f16 v24, v16, v27, v24
	v_pk_fma_f16 v8, v16, v8, v25
	v_pk_fma_f16 v18, v16, v28, v18
	v_pk_fma_f16 v9, v16, v9, v21
	v_pk_fma_f16 v19, v16, v29, v19
	v_pk_fma_f16 v10, v16, v10, v22
	v_pk_fma_f16 v20, v16, v30, v20
	v_pk_fma_f16 v16, v16, v11, v23
	s_waitcnt lgkmcnt(0)
	v_mul_u32_u24_sdwa v11, v12, s4 dst_sel:DWORD dst_unused:UNUSED_PAD src0_sel:WORD_0 src1_sel:DWORD
	v_mul_u32_u24_sdwa v12, v12, s4 dst_sel:DWORD dst_unused:UNUSED_PAD src0_sel:WORD_1 src1_sel:DWORD
	v_mul_u32_u24_sdwa v21, v13, s4 dst_sel:DWORD dst_unused:UNUSED_PAD src0_sel:WORD_0 src1_sel:DWORD
	v_mul_u32_u24_sdwa v13, v13, s4 dst_sel:DWORD dst_unused:UNUSED_PAD src0_sel:WORD_1 src1_sel:DWORD
	v_mul_u32_u24_sdwa v22, v14, s4 dst_sel:DWORD dst_unused:UNUSED_PAD src0_sel:WORD_0 src1_sel:DWORD
	v_mul_u32_u24_sdwa v14, v14, s4 dst_sel:DWORD dst_unused:UNUSED_PAD src0_sel:WORD_1 src1_sel:DWORD
	v_mul_u32_u24_sdwa v23, v15, s4 dst_sel:DWORD dst_unused:UNUSED_PAD src0_sel:WORD_0 src1_sel:DWORD
	v_mul_u32_u24_sdwa v15, v15, s4 dst_sel:DWORD dst_unused:UNUSED_PAD src0_sel:WORD_1 src1_sel:DWORD
	v_pk_fma_f16 v24, v17, v11, v24
	v_pk_fma_f16 v25, v17, v12, v8
	v_pk_fma_f16 v18, v17, v21, v18
	v_pk_fma_f16 v21, v17, v13, v9
	v_pk_fma_f16 v19, v17, v22, v19
	v_pk_fma_f16 v22, v17, v14, v10
	ds_read_b128 v[8:11], v64 offset:9408
	v_pk_fma_f16 v20, v17, v23, v20
	v_pk_fma_f16 v23, v17, v15, v16
	ds_read2_b32 v[16:17], v26 offset0:128 offset1:160
	;; [unrolled: 38-line block ×3, first 2 shown]
	ds_read_b128 v[12:15], v64 offset:9456
	s_waitcnt lgkmcnt(2)
	v_mul_u32_u24_sdwa v26, v8, s4 dst_sel:DWORD dst_unused:UNUSED_PAD src0_sel:WORD_0 src1_sel:DWORD
	v_mul_u32_u24_sdwa v8, v8, s4 dst_sel:DWORD dst_unused:UNUSED_PAD src0_sel:WORD_1 src1_sel:DWORD
	v_mul_u32_u24_sdwa v27, v9, s4 dst_sel:DWORD dst_unused:UNUSED_PAD src0_sel:WORD_0 src1_sel:DWORD
	v_mul_u32_u24_sdwa v9, v9, s4 dst_sel:DWORD dst_unused:UNUSED_PAD src0_sel:WORD_1 src1_sel:DWORD
	;; [unrolled: 2-line block ×4, first 2 shown]
	s_waitcnt lgkmcnt(1)
	v_pk_fma_f16 v24, v16, v26, v24
	v_pk_fma_f16 v8, v16, v8, v25
	;; [unrolled: 1-line block ×8, first 2 shown]
	s_waitcnt lgkmcnt(0)
	v_mul_u32_u24_sdwa v11, v12, s4 dst_sel:DWORD dst_unused:UNUSED_PAD src0_sel:WORD_0 src1_sel:DWORD
	v_mul_u32_u24_sdwa v12, v12, s4 dst_sel:DWORD dst_unused:UNUSED_PAD src0_sel:WORD_1 src1_sel:DWORD
	v_mul_u32_u24_sdwa v21, v13, s4 dst_sel:DWORD dst_unused:UNUSED_PAD src0_sel:WORD_0 src1_sel:DWORD
	v_mul_u32_u24_sdwa v13, v13, s4 dst_sel:DWORD dst_unused:UNUSED_PAD src0_sel:WORD_1 src1_sel:DWORD
	;; [unrolled: 2-line block ×4, first 2 shown]
	v_pk_fma_f16 v24, v17, v11, v24
	v_pk_fma_f16 v25, v17, v12, v8
	;; [unrolled: 1-line block ×6, first 2 shown]
	ds_read_b128 v[8:11], v64 offset:9472
	v_add_u32_e32 v26, 0x800, v65
	v_pk_fma_f16 v20, v17, v23, v20
	v_pk_fma_f16 v23, v17, v15, v16
	ds_read2_b32 v[16:17], v26 offset1:32
	ds_read_b128 v[12:15], v64 offset:9488
	s_waitcnt lgkmcnt(2)
	v_mul_u32_u24_sdwa v27, v8, s4 dst_sel:DWORD dst_unused:UNUSED_PAD src0_sel:WORD_0 src1_sel:DWORD
	v_mul_u32_u24_sdwa v8, v8, s4 dst_sel:DWORD dst_unused:UNUSED_PAD src0_sel:WORD_1 src1_sel:DWORD
	v_mul_u32_u24_sdwa v28, v9, s4 dst_sel:DWORD dst_unused:UNUSED_PAD src0_sel:WORD_0 src1_sel:DWORD
	v_mul_u32_u24_sdwa v9, v9, s4 dst_sel:DWORD dst_unused:UNUSED_PAD src0_sel:WORD_1 src1_sel:DWORD
	v_mul_u32_u24_sdwa v29, v10, s4 dst_sel:DWORD dst_unused:UNUSED_PAD src0_sel:WORD_0 src1_sel:DWORD
	v_mul_u32_u24_sdwa v10, v10, s4 dst_sel:DWORD dst_unused:UNUSED_PAD src0_sel:WORD_1 src1_sel:DWORD
	v_mul_u32_u24_sdwa v30, v11, s4 dst_sel:DWORD dst_unused:UNUSED_PAD src0_sel:WORD_0 src1_sel:DWORD
	v_mul_u32_u24_sdwa v11, v11, s4 dst_sel:DWORD dst_unused:UNUSED_PAD src0_sel:WORD_1 src1_sel:DWORD
	s_waitcnt lgkmcnt(1)
	v_pk_fma_f16 v24, v16, v27, v24
	v_pk_fma_f16 v8, v16, v8, v25
	v_pk_fma_f16 v18, v16, v28, v18
	v_pk_fma_f16 v9, v16, v9, v21
	v_pk_fma_f16 v19, v16, v29, v19
	v_pk_fma_f16 v10, v16, v10, v22
	v_pk_fma_f16 v20, v16, v30, v20
	v_pk_fma_f16 v16, v16, v11, v23
	s_waitcnt lgkmcnt(0)
	v_mul_u32_u24_sdwa v11, v12, s4 dst_sel:DWORD dst_unused:UNUSED_PAD src0_sel:WORD_0 src1_sel:DWORD
	v_mul_u32_u24_sdwa v12, v12, s4 dst_sel:DWORD dst_unused:UNUSED_PAD src0_sel:WORD_1 src1_sel:DWORD
	v_mul_u32_u24_sdwa v21, v13, s4 dst_sel:DWORD dst_unused:UNUSED_PAD src0_sel:WORD_0 src1_sel:DWORD
	v_mul_u32_u24_sdwa v13, v13, s4 dst_sel:DWORD dst_unused:UNUSED_PAD src0_sel:WORD_1 src1_sel:DWORD
	v_mul_u32_u24_sdwa v22, v14, s4 dst_sel:DWORD dst_unused:UNUSED_PAD src0_sel:WORD_0 src1_sel:DWORD
	v_mul_u32_u24_sdwa v14, v14, s4 dst_sel:DWORD dst_unused:UNUSED_PAD src0_sel:WORD_1 src1_sel:DWORD
	v_mul_u32_u24_sdwa v23, v15, s4 dst_sel:DWORD dst_unused:UNUSED_PAD src0_sel:WORD_0 src1_sel:DWORD
	v_mul_u32_u24_sdwa v15, v15, s4 dst_sel:DWORD dst_unused:UNUSED_PAD src0_sel:WORD_1 src1_sel:DWORD
	v_pk_fma_f16 v24, v17, v11, v24
	v_pk_fma_f16 v25, v17, v12, v8
	v_pk_fma_f16 v18, v17, v21, v18
	v_pk_fma_f16 v21, v17, v13, v9
	v_pk_fma_f16 v19, v17, v22, v19
	v_pk_fma_f16 v22, v17, v14, v10
	ds_read_b128 v[8:11], v64 offset:9504
	v_pk_fma_f16 v20, v17, v23, v20
	v_pk_fma_f16 v23, v17, v15, v16
	ds_read2_b32 v[16:17], v26 offset0:64 offset1:96
	ds_read_b128 v[12:15], v64 offset:9520
	s_waitcnt lgkmcnt(2)
	v_mul_u32_u24_sdwa v27, v8, s4 dst_sel:DWORD dst_unused:UNUSED_PAD src0_sel:WORD_0 src1_sel:DWORD
	v_mul_u32_u24_sdwa v8, v8, s4 dst_sel:DWORD dst_unused:UNUSED_PAD src0_sel:WORD_1 src1_sel:DWORD
	v_mul_u32_u24_sdwa v28, v9, s4 dst_sel:DWORD dst_unused:UNUSED_PAD src0_sel:WORD_0 src1_sel:DWORD
	v_mul_u32_u24_sdwa v9, v9, s4 dst_sel:DWORD dst_unused:UNUSED_PAD src0_sel:WORD_1 src1_sel:DWORD
	v_mul_u32_u24_sdwa v29, v10, s4 dst_sel:DWORD dst_unused:UNUSED_PAD src0_sel:WORD_0 src1_sel:DWORD
	v_mul_u32_u24_sdwa v10, v10, s4 dst_sel:DWORD dst_unused:UNUSED_PAD src0_sel:WORD_1 src1_sel:DWORD
	v_mul_u32_u24_sdwa v30, v11, s4 dst_sel:DWORD dst_unused:UNUSED_PAD src0_sel:WORD_0 src1_sel:DWORD
	v_mul_u32_u24_sdwa v11, v11, s4 dst_sel:DWORD dst_unused:UNUSED_PAD src0_sel:WORD_1 src1_sel:DWORD
	s_waitcnt lgkmcnt(1)
	v_pk_fma_f16 v24, v16, v27, v24
	v_pk_fma_f16 v8, v16, v8, v25
	v_pk_fma_f16 v18, v16, v28, v18
	v_pk_fma_f16 v9, v16, v9, v21
	v_pk_fma_f16 v19, v16, v29, v19
	v_pk_fma_f16 v10, v16, v10, v22
	v_pk_fma_f16 v20, v16, v30, v20
	v_pk_fma_f16 v16, v16, v11, v23
	s_waitcnt lgkmcnt(0)
	v_mul_u32_u24_sdwa v11, v12, s4 dst_sel:DWORD dst_unused:UNUSED_PAD src0_sel:WORD_0 src1_sel:DWORD
	v_mul_u32_u24_sdwa v12, v12, s4 dst_sel:DWORD dst_unused:UNUSED_PAD src0_sel:WORD_1 src1_sel:DWORD
	v_mul_u32_u24_sdwa v21, v13, s4 dst_sel:DWORD dst_unused:UNUSED_PAD src0_sel:WORD_0 src1_sel:DWORD
	v_mul_u32_u24_sdwa v13, v13, s4 dst_sel:DWORD dst_unused:UNUSED_PAD src0_sel:WORD_1 src1_sel:DWORD
	v_mul_u32_u24_sdwa v22, v14, s4 dst_sel:DWORD dst_unused:UNUSED_PAD src0_sel:WORD_0 src1_sel:DWORD
	v_mul_u32_u24_sdwa v14, v14, s4 dst_sel:DWORD dst_unused:UNUSED_PAD src0_sel:WORD_1 src1_sel:DWORD
	v_mul_u32_u24_sdwa v23, v15, s4 dst_sel:DWORD dst_unused:UNUSED_PAD src0_sel:WORD_0 src1_sel:DWORD
	v_mul_u32_u24_sdwa v15, v15, s4 dst_sel:DWORD dst_unused:UNUSED_PAD src0_sel:WORD_1 src1_sel:DWORD
	v_pk_fma_f16 v24, v17, v11, v24
	v_pk_fma_f16 v25, v17, v12, v8
	v_pk_fma_f16 v18, v17, v21, v18
	v_pk_fma_f16 v21, v17, v13, v9
	v_pk_fma_f16 v19, v17, v22, v19
	v_pk_fma_f16 v22, v17, v14, v10
	ds_read_b128 v[8:11], v64 offset:9536
	v_pk_fma_f16 v20, v17, v23, v20
	v_pk_fma_f16 v23, v17, v15, v16
	ds_read2_b32 v[16:17], v26 offset0:128 offset1:160
	;; [unrolled: 38-line block ×3, first 2 shown]
	ds_read_b128 v[12:15], v64 offset:9584
	s_waitcnt lgkmcnt(2)
	v_mul_u32_u24_sdwa v26, v8, s4 dst_sel:DWORD dst_unused:UNUSED_PAD src0_sel:WORD_0 src1_sel:DWORD
	v_mul_u32_u24_sdwa v8, v8, s4 dst_sel:DWORD dst_unused:UNUSED_PAD src0_sel:WORD_1 src1_sel:DWORD
	v_mul_u32_u24_sdwa v27, v9, s4 dst_sel:DWORD dst_unused:UNUSED_PAD src0_sel:WORD_0 src1_sel:DWORD
	v_mul_u32_u24_sdwa v9, v9, s4 dst_sel:DWORD dst_unused:UNUSED_PAD src0_sel:WORD_1 src1_sel:DWORD
	v_mul_u32_u24_sdwa v28, v10, s4 dst_sel:DWORD dst_unused:UNUSED_PAD src0_sel:WORD_0 src1_sel:DWORD
	v_mul_u32_u24_sdwa v10, v10, s4 dst_sel:DWORD dst_unused:UNUSED_PAD src0_sel:WORD_1 src1_sel:DWORD
	v_mul_u32_u24_sdwa v29, v11, s4 dst_sel:DWORD dst_unused:UNUSED_PAD src0_sel:WORD_0 src1_sel:DWORD
	v_mul_u32_u24_sdwa v11, v11, s4 dst_sel:DWORD dst_unused:UNUSED_PAD src0_sel:WORD_1 src1_sel:DWORD
	s_waitcnt lgkmcnt(1)
	v_pk_fma_f16 v24, v16, v26, v24
	v_pk_fma_f16 v8, v16, v8, v25
	v_pk_fma_f16 v18, v16, v27, v18
	v_pk_fma_f16 v9, v16, v9, v21
	v_pk_fma_f16 v19, v16, v28, v19
	v_pk_fma_f16 v10, v16, v10, v22
	v_pk_fma_f16 v20, v16, v29, v20
	v_pk_fma_f16 v16, v16, v11, v23
	s_waitcnt lgkmcnt(0)
	v_mul_u32_u24_sdwa v11, v12, s4 dst_sel:DWORD dst_unused:UNUSED_PAD src0_sel:WORD_0 src1_sel:DWORD
	v_mul_u32_u24_sdwa v12, v12, s4 dst_sel:DWORD dst_unused:UNUSED_PAD src0_sel:WORD_1 src1_sel:DWORD
	v_mul_u32_u24_sdwa v21, v13, s4 dst_sel:DWORD dst_unused:UNUSED_PAD src0_sel:WORD_0 src1_sel:DWORD
	v_mul_u32_u24_sdwa v13, v13, s4 dst_sel:DWORD dst_unused:UNUSED_PAD src0_sel:WORD_1 src1_sel:DWORD
	;; [unrolled: 2-line block ×4, first 2 shown]
	v_pk_fma_f16 v24, v17, v11, v24
	v_pk_fma_f16 v25, v17, v12, v8
	;; [unrolled: 1-line block ×6, first 2 shown]
	ds_read_b128 v[8:11], v64 offset:9600
	v_add_u32_e32 v26, 0xc00, v65
	v_pk_fma_f16 v20, v17, v23, v20
	v_pk_fma_f16 v23, v17, v15, v16
	ds_read2_b32 v[16:17], v26 offset1:32
	ds_read_b128 v[12:15], v64 offset:9616
	s_waitcnt lgkmcnt(2)
	v_mul_u32_u24_sdwa v27, v8, s4 dst_sel:DWORD dst_unused:UNUSED_PAD src0_sel:WORD_0 src1_sel:DWORD
	v_mul_u32_u24_sdwa v8, v8, s4 dst_sel:DWORD dst_unused:UNUSED_PAD src0_sel:WORD_1 src1_sel:DWORD
	v_mul_u32_u24_sdwa v28, v9, s4 dst_sel:DWORD dst_unused:UNUSED_PAD src0_sel:WORD_0 src1_sel:DWORD
	v_mul_u32_u24_sdwa v9, v9, s4 dst_sel:DWORD dst_unused:UNUSED_PAD src0_sel:WORD_1 src1_sel:DWORD
	v_mul_u32_u24_sdwa v29, v10, s4 dst_sel:DWORD dst_unused:UNUSED_PAD src0_sel:WORD_0 src1_sel:DWORD
	v_mul_u32_u24_sdwa v10, v10, s4 dst_sel:DWORD dst_unused:UNUSED_PAD src0_sel:WORD_1 src1_sel:DWORD
	v_mul_u32_u24_sdwa v30, v11, s4 dst_sel:DWORD dst_unused:UNUSED_PAD src0_sel:WORD_0 src1_sel:DWORD
	v_mul_u32_u24_sdwa v11, v11, s4 dst_sel:DWORD dst_unused:UNUSED_PAD src0_sel:WORD_1 src1_sel:DWORD
	s_waitcnt lgkmcnt(1)
	v_pk_fma_f16 v24, v16, v27, v24
	v_pk_fma_f16 v8, v16, v8, v25
	v_pk_fma_f16 v18, v16, v28, v18
	v_pk_fma_f16 v9, v16, v9, v21
	v_pk_fma_f16 v19, v16, v29, v19
	v_pk_fma_f16 v10, v16, v10, v22
	v_pk_fma_f16 v20, v16, v30, v20
	v_pk_fma_f16 v16, v16, v11, v23
	s_waitcnt lgkmcnt(0)
	v_mul_u32_u24_sdwa v11, v12, s4 dst_sel:DWORD dst_unused:UNUSED_PAD src0_sel:WORD_0 src1_sel:DWORD
	v_mul_u32_u24_sdwa v12, v12, s4 dst_sel:DWORD dst_unused:UNUSED_PAD src0_sel:WORD_1 src1_sel:DWORD
	v_mul_u32_u24_sdwa v21, v13, s4 dst_sel:DWORD dst_unused:UNUSED_PAD src0_sel:WORD_0 src1_sel:DWORD
	v_mul_u32_u24_sdwa v13, v13, s4 dst_sel:DWORD dst_unused:UNUSED_PAD src0_sel:WORD_1 src1_sel:DWORD
	v_mul_u32_u24_sdwa v22, v14, s4 dst_sel:DWORD dst_unused:UNUSED_PAD src0_sel:WORD_0 src1_sel:DWORD
	v_mul_u32_u24_sdwa v14, v14, s4 dst_sel:DWORD dst_unused:UNUSED_PAD src0_sel:WORD_1 src1_sel:DWORD
	v_mul_u32_u24_sdwa v23, v15, s4 dst_sel:DWORD dst_unused:UNUSED_PAD src0_sel:WORD_0 src1_sel:DWORD
	v_mul_u32_u24_sdwa v15, v15, s4 dst_sel:DWORD dst_unused:UNUSED_PAD src0_sel:WORD_1 src1_sel:DWORD
	v_pk_fma_f16 v24, v17, v11, v24
	v_pk_fma_f16 v25, v17, v12, v8
	v_pk_fma_f16 v18, v17, v21, v18
	v_pk_fma_f16 v21, v17, v13, v9
	v_pk_fma_f16 v19, v17, v22, v19
	v_pk_fma_f16 v22, v17, v14, v10
	ds_read_b128 v[8:11], v64 offset:9632
	v_pk_fma_f16 v20, v17, v23, v20
	v_pk_fma_f16 v23, v17, v15, v16
	ds_read2_b32 v[16:17], v26 offset0:64 offset1:96
	ds_read_b128 v[12:15], v64 offset:9648
	s_waitcnt lgkmcnt(2)
	v_mul_u32_u24_sdwa v27, v8, s4 dst_sel:DWORD dst_unused:UNUSED_PAD src0_sel:WORD_0 src1_sel:DWORD
	v_mul_u32_u24_sdwa v8, v8, s4 dst_sel:DWORD dst_unused:UNUSED_PAD src0_sel:WORD_1 src1_sel:DWORD
	v_mul_u32_u24_sdwa v28, v9, s4 dst_sel:DWORD dst_unused:UNUSED_PAD src0_sel:WORD_0 src1_sel:DWORD
	v_mul_u32_u24_sdwa v9, v9, s4 dst_sel:DWORD dst_unused:UNUSED_PAD src0_sel:WORD_1 src1_sel:DWORD
	v_mul_u32_u24_sdwa v29, v10, s4 dst_sel:DWORD dst_unused:UNUSED_PAD src0_sel:WORD_0 src1_sel:DWORD
	v_mul_u32_u24_sdwa v10, v10, s4 dst_sel:DWORD dst_unused:UNUSED_PAD src0_sel:WORD_1 src1_sel:DWORD
	v_mul_u32_u24_sdwa v30, v11, s4 dst_sel:DWORD dst_unused:UNUSED_PAD src0_sel:WORD_0 src1_sel:DWORD
	v_mul_u32_u24_sdwa v11, v11, s4 dst_sel:DWORD dst_unused:UNUSED_PAD src0_sel:WORD_1 src1_sel:DWORD
	s_waitcnt lgkmcnt(1)
	v_pk_fma_f16 v24, v16, v27, v24
	v_pk_fma_f16 v8, v16, v8, v25
	v_pk_fma_f16 v18, v16, v28, v18
	v_pk_fma_f16 v9, v16, v9, v21
	v_pk_fma_f16 v19, v16, v29, v19
	v_pk_fma_f16 v10, v16, v10, v22
	v_pk_fma_f16 v20, v16, v30, v20
	v_pk_fma_f16 v16, v16, v11, v23
	s_waitcnt lgkmcnt(0)
	v_mul_u32_u24_sdwa v11, v12, s4 dst_sel:DWORD dst_unused:UNUSED_PAD src0_sel:WORD_0 src1_sel:DWORD
	v_mul_u32_u24_sdwa v12, v12, s4 dst_sel:DWORD dst_unused:UNUSED_PAD src0_sel:WORD_1 src1_sel:DWORD
	v_mul_u32_u24_sdwa v21, v13, s4 dst_sel:DWORD dst_unused:UNUSED_PAD src0_sel:WORD_0 src1_sel:DWORD
	v_mul_u32_u24_sdwa v13, v13, s4 dst_sel:DWORD dst_unused:UNUSED_PAD src0_sel:WORD_1 src1_sel:DWORD
	v_mul_u32_u24_sdwa v22, v14, s4 dst_sel:DWORD dst_unused:UNUSED_PAD src0_sel:WORD_0 src1_sel:DWORD
	v_mul_u32_u24_sdwa v14, v14, s4 dst_sel:DWORD dst_unused:UNUSED_PAD src0_sel:WORD_1 src1_sel:DWORD
	v_mul_u32_u24_sdwa v23, v15, s4 dst_sel:DWORD dst_unused:UNUSED_PAD src0_sel:WORD_0 src1_sel:DWORD
	v_mul_u32_u24_sdwa v15, v15, s4 dst_sel:DWORD dst_unused:UNUSED_PAD src0_sel:WORD_1 src1_sel:DWORD
	v_pk_fma_f16 v24, v17, v11, v24
	v_pk_fma_f16 v25, v17, v12, v8
	v_pk_fma_f16 v18, v17, v21, v18
	v_pk_fma_f16 v21, v17, v13, v9
	v_pk_fma_f16 v19, v17, v22, v19
	v_pk_fma_f16 v22, v17, v14, v10
	ds_read_b128 v[8:11], v64 offset:9664
	v_pk_fma_f16 v20, v17, v23, v20
	v_pk_fma_f16 v23, v17, v15, v16
	ds_read2_b32 v[16:17], v26 offset0:128 offset1:160
	;; [unrolled: 38-line block ×3, first 2 shown]
	ds_read_b128 v[12:15], v64 offset:9712
	s_waitcnt lgkmcnt(2)
	v_mul_u32_u24_sdwa v26, v8, s4 dst_sel:DWORD dst_unused:UNUSED_PAD src0_sel:WORD_0 src1_sel:DWORD
	v_mul_u32_u24_sdwa v8, v8, s4 dst_sel:DWORD dst_unused:UNUSED_PAD src0_sel:WORD_1 src1_sel:DWORD
	v_mul_u32_u24_sdwa v27, v9, s4 dst_sel:DWORD dst_unused:UNUSED_PAD src0_sel:WORD_0 src1_sel:DWORD
	v_mul_u32_u24_sdwa v9, v9, s4 dst_sel:DWORD dst_unused:UNUSED_PAD src0_sel:WORD_1 src1_sel:DWORD
	;; [unrolled: 2-line block ×4, first 2 shown]
	s_waitcnt lgkmcnt(1)
	v_pk_fma_f16 v24, v16, v26, v24
	v_pk_fma_f16 v8, v16, v8, v25
	;; [unrolled: 1-line block ×8, first 2 shown]
	s_waitcnt lgkmcnt(0)
	v_mul_u32_u24_sdwa v11, v12, s4 dst_sel:DWORD dst_unused:UNUSED_PAD src0_sel:WORD_0 src1_sel:DWORD
	v_mul_u32_u24_sdwa v12, v12, s4 dst_sel:DWORD dst_unused:UNUSED_PAD src0_sel:WORD_1 src1_sel:DWORD
	v_mul_u32_u24_sdwa v21, v13, s4 dst_sel:DWORD dst_unused:UNUSED_PAD src0_sel:WORD_0 src1_sel:DWORD
	v_mul_u32_u24_sdwa v13, v13, s4 dst_sel:DWORD dst_unused:UNUSED_PAD src0_sel:WORD_1 src1_sel:DWORD
	;; [unrolled: 2-line block ×4, first 2 shown]
	v_pk_fma_f16 v24, v17, v11, v24
	v_pk_fma_f16 v25, v17, v12, v8
	;; [unrolled: 1-line block ×6, first 2 shown]
	ds_read_b128 v[8:11], v64 offset:9728
	v_add_u32_e32 v26, 0x1000, v65
	v_pk_fma_f16 v20, v17, v23, v20
	v_pk_fma_f16 v23, v17, v15, v16
	ds_read2_b32 v[16:17], v26 offset1:32
	ds_read_b128 v[12:15], v64 offset:9744
	s_waitcnt lgkmcnt(2)
	v_mul_u32_u24_sdwa v27, v8, s4 dst_sel:DWORD dst_unused:UNUSED_PAD src0_sel:WORD_0 src1_sel:DWORD
	v_mul_u32_u24_sdwa v8, v8, s4 dst_sel:DWORD dst_unused:UNUSED_PAD src0_sel:WORD_1 src1_sel:DWORD
	v_mul_u32_u24_sdwa v28, v9, s4 dst_sel:DWORD dst_unused:UNUSED_PAD src0_sel:WORD_0 src1_sel:DWORD
	v_mul_u32_u24_sdwa v9, v9, s4 dst_sel:DWORD dst_unused:UNUSED_PAD src0_sel:WORD_1 src1_sel:DWORD
	v_mul_u32_u24_sdwa v29, v10, s4 dst_sel:DWORD dst_unused:UNUSED_PAD src0_sel:WORD_0 src1_sel:DWORD
	v_mul_u32_u24_sdwa v10, v10, s4 dst_sel:DWORD dst_unused:UNUSED_PAD src0_sel:WORD_1 src1_sel:DWORD
	v_mul_u32_u24_sdwa v30, v11, s4 dst_sel:DWORD dst_unused:UNUSED_PAD src0_sel:WORD_0 src1_sel:DWORD
	v_mul_u32_u24_sdwa v11, v11, s4 dst_sel:DWORD dst_unused:UNUSED_PAD src0_sel:WORD_1 src1_sel:DWORD
	s_waitcnt lgkmcnt(1)
	v_pk_fma_f16 v24, v16, v27, v24
	v_pk_fma_f16 v8, v16, v8, v25
	v_pk_fma_f16 v18, v16, v28, v18
	v_pk_fma_f16 v9, v16, v9, v21
	v_pk_fma_f16 v19, v16, v29, v19
	v_pk_fma_f16 v10, v16, v10, v22
	v_pk_fma_f16 v20, v16, v30, v20
	v_pk_fma_f16 v16, v16, v11, v23
	s_waitcnt lgkmcnt(0)
	v_mul_u32_u24_sdwa v11, v12, s4 dst_sel:DWORD dst_unused:UNUSED_PAD src0_sel:WORD_0 src1_sel:DWORD
	v_mul_u32_u24_sdwa v12, v12, s4 dst_sel:DWORD dst_unused:UNUSED_PAD src0_sel:WORD_1 src1_sel:DWORD
	v_mul_u32_u24_sdwa v21, v13, s4 dst_sel:DWORD dst_unused:UNUSED_PAD src0_sel:WORD_0 src1_sel:DWORD
	v_mul_u32_u24_sdwa v13, v13, s4 dst_sel:DWORD dst_unused:UNUSED_PAD src0_sel:WORD_1 src1_sel:DWORD
	v_mul_u32_u24_sdwa v22, v14, s4 dst_sel:DWORD dst_unused:UNUSED_PAD src0_sel:WORD_0 src1_sel:DWORD
	v_mul_u32_u24_sdwa v14, v14, s4 dst_sel:DWORD dst_unused:UNUSED_PAD src0_sel:WORD_1 src1_sel:DWORD
	v_mul_u32_u24_sdwa v23, v15, s4 dst_sel:DWORD dst_unused:UNUSED_PAD src0_sel:WORD_0 src1_sel:DWORD
	v_mul_u32_u24_sdwa v15, v15, s4 dst_sel:DWORD dst_unused:UNUSED_PAD src0_sel:WORD_1 src1_sel:DWORD
	v_pk_fma_f16 v24, v17, v11, v24
	v_pk_fma_f16 v25, v17, v12, v8
	v_pk_fma_f16 v18, v17, v21, v18
	v_pk_fma_f16 v21, v17, v13, v9
	v_pk_fma_f16 v19, v17, v22, v19
	v_pk_fma_f16 v22, v17, v14, v10
	ds_read_b128 v[8:11], v64 offset:9760
	v_pk_fma_f16 v20, v17, v23, v20
	v_pk_fma_f16 v23, v17, v15, v16
	ds_read2_b32 v[16:17], v26 offset0:64 offset1:96
	ds_read_b128 v[12:15], v64 offset:9776
	s_waitcnt lgkmcnt(2)
	v_mul_u32_u24_sdwa v27, v8, s4 dst_sel:DWORD dst_unused:UNUSED_PAD src0_sel:WORD_0 src1_sel:DWORD
	v_mul_u32_u24_sdwa v8, v8, s4 dst_sel:DWORD dst_unused:UNUSED_PAD src0_sel:WORD_1 src1_sel:DWORD
	v_mul_u32_u24_sdwa v28, v9, s4 dst_sel:DWORD dst_unused:UNUSED_PAD src0_sel:WORD_0 src1_sel:DWORD
	v_mul_u32_u24_sdwa v9, v9, s4 dst_sel:DWORD dst_unused:UNUSED_PAD src0_sel:WORD_1 src1_sel:DWORD
	v_mul_u32_u24_sdwa v29, v10, s4 dst_sel:DWORD dst_unused:UNUSED_PAD src0_sel:WORD_0 src1_sel:DWORD
	v_mul_u32_u24_sdwa v10, v10, s4 dst_sel:DWORD dst_unused:UNUSED_PAD src0_sel:WORD_1 src1_sel:DWORD
	v_mul_u32_u24_sdwa v30, v11, s4 dst_sel:DWORD dst_unused:UNUSED_PAD src0_sel:WORD_0 src1_sel:DWORD
	v_mul_u32_u24_sdwa v11, v11, s4 dst_sel:DWORD dst_unused:UNUSED_PAD src0_sel:WORD_1 src1_sel:DWORD
	s_waitcnt lgkmcnt(1)
	v_pk_fma_f16 v24, v16, v27, v24
	v_pk_fma_f16 v8, v16, v8, v25
	v_pk_fma_f16 v18, v16, v28, v18
	v_pk_fma_f16 v9, v16, v9, v21
	v_pk_fma_f16 v19, v16, v29, v19
	v_pk_fma_f16 v10, v16, v10, v22
	v_pk_fma_f16 v20, v16, v30, v20
	v_pk_fma_f16 v16, v16, v11, v23
	s_waitcnt lgkmcnt(0)
	v_mul_u32_u24_sdwa v11, v12, s4 dst_sel:DWORD dst_unused:UNUSED_PAD src0_sel:WORD_0 src1_sel:DWORD
	v_mul_u32_u24_sdwa v12, v12, s4 dst_sel:DWORD dst_unused:UNUSED_PAD src0_sel:WORD_1 src1_sel:DWORD
	v_mul_u32_u24_sdwa v21, v13, s4 dst_sel:DWORD dst_unused:UNUSED_PAD src0_sel:WORD_0 src1_sel:DWORD
	v_mul_u32_u24_sdwa v13, v13, s4 dst_sel:DWORD dst_unused:UNUSED_PAD src0_sel:WORD_1 src1_sel:DWORD
	v_mul_u32_u24_sdwa v22, v14, s4 dst_sel:DWORD dst_unused:UNUSED_PAD src0_sel:WORD_0 src1_sel:DWORD
	v_mul_u32_u24_sdwa v14, v14, s4 dst_sel:DWORD dst_unused:UNUSED_PAD src0_sel:WORD_1 src1_sel:DWORD
	v_mul_u32_u24_sdwa v23, v15, s4 dst_sel:DWORD dst_unused:UNUSED_PAD src0_sel:WORD_0 src1_sel:DWORD
	v_mul_u32_u24_sdwa v15, v15, s4 dst_sel:DWORD dst_unused:UNUSED_PAD src0_sel:WORD_1 src1_sel:DWORD
	v_pk_fma_f16 v24, v17, v11, v24
	v_pk_fma_f16 v25, v17, v12, v8
	v_pk_fma_f16 v18, v17, v21, v18
	v_pk_fma_f16 v21, v17, v13, v9
	v_pk_fma_f16 v19, v17, v22, v19
	v_pk_fma_f16 v22, v17, v14, v10
	ds_read_b128 v[8:11], v64 offset:9792
	v_pk_fma_f16 v20, v17, v23, v20
	v_pk_fma_f16 v23, v17, v15, v16
	ds_read2_b32 v[16:17], v26 offset0:128 offset1:160
	;; [unrolled: 38-line block ×3, first 2 shown]
	ds_read_b128 v[12:15], v64 offset:9840
	s_waitcnt lgkmcnt(2)
	v_mul_u32_u24_sdwa v26, v8, s4 dst_sel:DWORD dst_unused:UNUSED_PAD src0_sel:WORD_0 src1_sel:DWORD
	v_mul_u32_u24_sdwa v8, v8, s4 dst_sel:DWORD dst_unused:UNUSED_PAD src0_sel:WORD_1 src1_sel:DWORD
	v_mul_u32_u24_sdwa v27, v9, s4 dst_sel:DWORD dst_unused:UNUSED_PAD src0_sel:WORD_0 src1_sel:DWORD
	v_mul_u32_u24_sdwa v9, v9, s4 dst_sel:DWORD dst_unused:UNUSED_PAD src0_sel:WORD_1 src1_sel:DWORD
	;; [unrolled: 2-line block ×4, first 2 shown]
	s_waitcnt lgkmcnt(1)
	v_pk_fma_f16 v24, v16, v26, v24
	v_pk_fma_f16 v8, v16, v8, v25
	;; [unrolled: 1-line block ×8, first 2 shown]
	s_waitcnt lgkmcnt(0)
	v_mul_u32_u24_sdwa v11, v12, s4 dst_sel:DWORD dst_unused:UNUSED_PAD src0_sel:WORD_0 src1_sel:DWORD
	v_mul_u32_u24_sdwa v12, v12, s4 dst_sel:DWORD dst_unused:UNUSED_PAD src0_sel:WORD_1 src1_sel:DWORD
	v_mul_u32_u24_sdwa v21, v13, s4 dst_sel:DWORD dst_unused:UNUSED_PAD src0_sel:WORD_0 src1_sel:DWORD
	v_mul_u32_u24_sdwa v13, v13, s4 dst_sel:DWORD dst_unused:UNUSED_PAD src0_sel:WORD_1 src1_sel:DWORD
	;; [unrolled: 2-line block ×4, first 2 shown]
	v_pk_fma_f16 v24, v17, v11, v24
	v_pk_fma_f16 v25, v17, v12, v8
	;; [unrolled: 1-line block ×6, first 2 shown]
	ds_read_b128 v[8:11], v64 offset:9856
	v_add_u32_e32 v26, 0x1400, v65
	v_pk_fma_f16 v20, v17, v23, v20
	v_pk_fma_f16 v23, v17, v15, v16
	ds_read2_b32 v[16:17], v26 offset1:32
	ds_read_b128 v[12:15], v64 offset:9872
	s_waitcnt lgkmcnt(2)
	v_mul_u32_u24_sdwa v27, v8, s4 dst_sel:DWORD dst_unused:UNUSED_PAD src0_sel:WORD_0 src1_sel:DWORD
	v_mul_u32_u24_sdwa v8, v8, s4 dst_sel:DWORD dst_unused:UNUSED_PAD src0_sel:WORD_1 src1_sel:DWORD
	v_mul_u32_u24_sdwa v28, v9, s4 dst_sel:DWORD dst_unused:UNUSED_PAD src0_sel:WORD_0 src1_sel:DWORD
	v_mul_u32_u24_sdwa v9, v9, s4 dst_sel:DWORD dst_unused:UNUSED_PAD src0_sel:WORD_1 src1_sel:DWORD
	v_mul_u32_u24_sdwa v29, v10, s4 dst_sel:DWORD dst_unused:UNUSED_PAD src0_sel:WORD_0 src1_sel:DWORD
	v_mul_u32_u24_sdwa v10, v10, s4 dst_sel:DWORD dst_unused:UNUSED_PAD src0_sel:WORD_1 src1_sel:DWORD
	v_mul_u32_u24_sdwa v30, v11, s4 dst_sel:DWORD dst_unused:UNUSED_PAD src0_sel:WORD_0 src1_sel:DWORD
	v_mul_u32_u24_sdwa v11, v11, s4 dst_sel:DWORD dst_unused:UNUSED_PAD src0_sel:WORD_1 src1_sel:DWORD
	s_waitcnt lgkmcnt(1)
	v_pk_fma_f16 v24, v16, v27, v24
	v_pk_fma_f16 v8, v16, v8, v25
	v_pk_fma_f16 v18, v16, v28, v18
	v_pk_fma_f16 v9, v16, v9, v21
	v_pk_fma_f16 v19, v16, v29, v19
	v_pk_fma_f16 v10, v16, v10, v22
	v_pk_fma_f16 v20, v16, v30, v20
	v_pk_fma_f16 v16, v16, v11, v23
	s_waitcnt lgkmcnt(0)
	v_mul_u32_u24_sdwa v11, v12, s4 dst_sel:DWORD dst_unused:UNUSED_PAD src0_sel:WORD_0 src1_sel:DWORD
	v_mul_u32_u24_sdwa v12, v12, s4 dst_sel:DWORD dst_unused:UNUSED_PAD src0_sel:WORD_1 src1_sel:DWORD
	v_mul_u32_u24_sdwa v21, v13, s4 dst_sel:DWORD dst_unused:UNUSED_PAD src0_sel:WORD_0 src1_sel:DWORD
	v_mul_u32_u24_sdwa v13, v13, s4 dst_sel:DWORD dst_unused:UNUSED_PAD src0_sel:WORD_1 src1_sel:DWORD
	v_mul_u32_u24_sdwa v22, v14, s4 dst_sel:DWORD dst_unused:UNUSED_PAD src0_sel:WORD_0 src1_sel:DWORD
	v_mul_u32_u24_sdwa v14, v14, s4 dst_sel:DWORD dst_unused:UNUSED_PAD src0_sel:WORD_1 src1_sel:DWORD
	v_mul_u32_u24_sdwa v23, v15, s4 dst_sel:DWORD dst_unused:UNUSED_PAD src0_sel:WORD_0 src1_sel:DWORD
	v_mul_u32_u24_sdwa v15, v15, s4 dst_sel:DWORD dst_unused:UNUSED_PAD src0_sel:WORD_1 src1_sel:DWORD
	v_pk_fma_f16 v24, v17, v11, v24
	v_pk_fma_f16 v25, v17, v12, v8
	v_pk_fma_f16 v18, v17, v21, v18
	v_pk_fma_f16 v21, v17, v13, v9
	v_pk_fma_f16 v19, v17, v22, v19
	v_pk_fma_f16 v22, v17, v14, v10
	ds_read_b128 v[8:11], v64 offset:9888
	v_pk_fma_f16 v20, v17, v23, v20
	v_pk_fma_f16 v23, v17, v15, v16
	ds_read2_b32 v[16:17], v26 offset0:64 offset1:96
	ds_read_b128 v[12:15], v64 offset:9904
	s_waitcnt lgkmcnt(2)
	v_mul_u32_u24_sdwa v27, v8, s4 dst_sel:DWORD dst_unused:UNUSED_PAD src0_sel:WORD_0 src1_sel:DWORD
	v_mul_u32_u24_sdwa v8, v8, s4 dst_sel:DWORD dst_unused:UNUSED_PAD src0_sel:WORD_1 src1_sel:DWORD
	v_mul_u32_u24_sdwa v28, v9, s4 dst_sel:DWORD dst_unused:UNUSED_PAD src0_sel:WORD_0 src1_sel:DWORD
	v_mul_u32_u24_sdwa v9, v9, s4 dst_sel:DWORD dst_unused:UNUSED_PAD src0_sel:WORD_1 src1_sel:DWORD
	v_mul_u32_u24_sdwa v29, v10, s4 dst_sel:DWORD dst_unused:UNUSED_PAD src0_sel:WORD_0 src1_sel:DWORD
	v_mul_u32_u24_sdwa v10, v10, s4 dst_sel:DWORD dst_unused:UNUSED_PAD src0_sel:WORD_1 src1_sel:DWORD
	v_mul_u32_u24_sdwa v30, v11, s4 dst_sel:DWORD dst_unused:UNUSED_PAD src0_sel:WORD_0 src1_sel:DWORD
	v_mul_u32_u24_sdwa v11, v11, s4 dst_sel:DWORD dst_unused:UNUSED_PAD src0_sel:WORD_1 src1_sel:DWORD
	s_waitcnt lgkmcnt(1)
	v_pk_fma_f16 v24, v16, v27, v24
	v_pk_fma_f16 v8, v16, v8, v25
	v_pk_fma_f16 v18, v16, v28, v18
	v_pk_fma_f16 v9, v16, v9, v21
	v_pk_fma_f16 v19, v16, v29, v19
	v_pk_fma_f16 v10, v16, v10, v22
	v_pk_fma_f16 v20, v16, v30, v20
	v_pk_fma_f16 v16, v16, v11, v23
	s_waitcnt lgkmcnt(0)
	v_mul_u32_u24_sdwa v11, v12, s4 dst_sel:DWORD dst_unused:UNUSED_PAD src0_sel:WORD_0 src1_sel:DWORD
	v_mul_u32_u24_sdwa v12, v12, s4 dst_sel:DWORD dst_unused:UNUSED_PAD src0_sel:WORD_1 src1_sel:DWORD
	v_mul_u32_u24_sdwa v21, v13, s4 dst_sel:DWORD dst_unused:UNUSED_PAD src0_sel:WORD_0 src1_sel:DWORD
	v_mul_u32_u24_sdwa v13, v13, s4 dst_sel:DWORD dst_unused:UNUSED_PAD src0_sel:WORD_1 src1_sel:DWORD
	v_mul_u32_u24_sdwa v22, v14, s4 dst_sel:DWORD dst_unused:UNUSED_PAD src0_sel:WORD_0 src1_sel:DWORD
	v_mul_u32_u24_sdwa v14, v14, s4 dst_sel:DWORD dst_unused:UNUSED_PAD src0_sel:WORD_1 src1_sel:DWORD
	v_mul_u32_u24_sdwa v23, v15, s4 dst_sel:DWORD dst_unused:UNUSED_PAD src0_sel:WORD_0 src1_sel:DWORD
	v_mul_u32_u24_sdwa v15, v15, s4 dst_sel:DWORD dst_unused:UNUSED_PAD src0_sel:WORD_1 src1_sel:DWORD
	v_pk_fma_f16 v24, v17, v11, v24
	v_pk_fma_f16 v25, v17, v12, v8
	v_pk_fma_f16 v18, v17, v21, v18
	v_pk_fma_f16 v21, v17, v13, v9
	v_pk_fma_f16 v19, v17, v22, v19
	v_pk_fma_f16 v22, v17, v14, v10
	ds_read_b128 v[8:11], v64 offset:9920
	v_pk_fma_f16 v20, v17, v23, v20
	v_pk_fma_f16 v23, v17, v15, v16
	ds_read2_b32 v[16:17], v26 offset0:128 offset1:160
	;; [unrolled: 38-line block ×3, first 2 shown]
	ds_read_b128 v[12:15], v64 offset:9968
	s_waitcnt lgkmcnt(2)
	v_mul_u32_u24_sdwa v26, v8, s4 dst_sel:DWORD dst_unused:UNUSED_PAD src0_sel:WORD_0 src1_sel:DWORD
	v_mul_u32_u24_sdwa v8, v8, s4 dst_sel:DWORD dst_unused:UNUSED_PAD src0_sel:WORD_1 src1_sel:DWORD
	v_mul_u32_u24_sdwa v27, v9, s4 dst_sel:DWORD dst_unused:UNUSED_PAD src0_sel:WORD_0 src1_sel:DWORD
	v_mul_u32_u24_sdwa v9, v9, s4 dst_sel:DWORD dst_unused:UNUSED_PAD src0_sel:WORD_1 src1_sel:DWORD
	;; [unrolled: 2-line block ×4, first 2 shown]
	s_waitcnt lgkmcnt(1)
	v_pk_fma_f16 v24, v16, v26, v24
	v_pk_fma_f16 v8, v16, v8, v25
	;; [unrolled: 1-line block ×8, first 2 shown]
	s_waitcnt lgkmcnt(0)
	v_mul_u32_u24_sdwa v11, v12, s4 dst_sel:DWORD dst_unused:UNUSED_PAD src0_sel:WORD_0 src1_sel:DWORD
	v_mul_u32_u24_sdwa v12, v12, s4 dst_sel:DWORD dst_unused:UNUSED_PAD src0_sel:WORD_1 src1_sel:DWORD
	v_mul_u32_u24_sdwa v21, v13, s4 dst_sel:DWORD dst_unused:UNUSED_PAD src0_sel:WORD_0 src1_sel:DWORD
	v_mul_u32_u24_sdwa v13, v13, s4 dst_sel:DWORD dst_unused:UNUSED_PAD src0_sel:WORD_1 src1_sel:DWORD
	;; [unrolled: 2-line block ×4, first 2 shown]
	v_pk_fma_f16 v24, v17, v11, v24
	v_pk_fma_f16 v25, v17, v12, v8
	;; [unrolled: 1-line block ×6, first 2 shown]
	ds_read_b128 v[8:11], v64 offset:9984
	v_add_u32_e32 v26, 0x1800, v65
	v_pk_fma_f16 v20, v17, v23, v20
	v_pk_fma_f16 v23, v17, v15, v16
	ds_read2_b32 v[16:17], v26 offset1:32
	ds_read_b128 v[12:15], v64 offset:10000
	s_waitcnt lgkmcnt(2)
	v_mul_u32_u24_sdwa v27, v8, s4 dst_sel:DWORD dst_unused:UNUSED_PAD src0_sel:WORD_0 src1_sel:DWORD
	v_mul_u32_u24_sdwa v8, v8, s4 dst_sel:DWORD dst_unused:UNUSED_PAD src0_sel:WORD_1 src1_sel:DWORD
	v_mul_u32_u24_sdwa v28, v9, s4 dst_sel:DWORD dst_unused:UNUSED_PAD src0_sel:WORD_0 src1_sel:DWORD
	v_mul_u32_u24_sdwa v9, v9, s4 dst_sel:DWORD dst_unused:UNUSED_PAD src0_sel:WORD_1 src1_sel:DWORD
	v_mul_u32_u24_sdwa v29, v10, s4 dst_sel:DWORD dst_unused:UNUSED_PAD src0_sel:WORD_0 src1_sel:DWORD
	v_mul_u32_u24_sdwa v10, v10, s4 dst_sel:DWORD dst_unused:UNUSED_PAD src0_sel:WORD_1 src1_sel:DWORD
	v_mul_u32_u24_sdwa v30, v11, s4 dst_sel:DWORD dst_unused:UNUSED_PAD src0_sel:WORD_0 src1_sel:DWORD
	v_mul_u32_u24_sdwa v11, v11, s4 dst_sel:DWORD dst_unused:UNUSED_PAD src0_sel:WORD_1 src1_sel:DWORD
	s_waitcnt lgkmcnt(1)
	v_pk_fma_f16 v24, v16, v27, v24
	v_pk_fma_f16 v8, v16, v8, v25
	v_pk_fma_f16 v18, v16, v28, v18
	v_pk_fma_f16 v9, v16, v9, v21
	v_pk_fma_f16 v19, v16, v29, v19
	v_pk_fma_f16 v10, v16, v10, v22
	v_pk_fma_f16 v20, v16, v30, v20
	v_pk_fma_f16 v16, v16, v11, v23
	s_waitcnt lgkmcnt(0)
	v_mul_u32_u24_sdwa v11, v12, s4 dst_sel:DWORD dst_unused:UNUSED_PAD src0_sel:WORD_0 src1_sel:DWORD
	v_mul_u32_u24_sdwa v12, v12, s4 dst_sel:DWORD dst_unused:UNUSED_PAD src0_sel:WORD_1 src1_sel:DWORD
	v_mul_u32_u24_sdwa v21, v13, s4 dst_sel:DWORD dst_unused:UNUSED_PAD src0_sel:WORD_0 src1_sel:DWORD
	v_mul_u32_u24_sdwa v13, v13, s4 dst_sel:DWORD dst_unused:UNUSED_PAD src0_sel:WORD_1 src1_sel:DWORD
	v_mul_u32_u24_sdwa v22, v14, s4 dst_sel:DWORD dst_unused:UNUSED_PAD src0_sel:WORD_0 src1_sel:DWORD
	v_mul_u32_u24_sdwa v14, v14, s4 dst_sel:DWORD dst_unused:UNUSED_PAD src0_sel:WORD_1 src1_sel:DWORD
	v_mul_u32_u24_sdwa v23, v15, s4 dst_sel:DWORD dst_unused:UNUSED_PAD src0_sel:WORD_0 src1_sel:DWORD
	v_mul_u32_u24_sdwa v15, v15, s4 dst_sel:DWORD dst_unused:UNUSED_PAD src0_sel:WORD_1 src1_sel:DWORD
	v_pk_fma_f16 v24, v17, v11, v24
	v_pk_fma_f16 v25, v17, v12, v8
	v_pk_fma_f16 v18, v17, v21, v18
	v_pk_fma_f16 v21, v17, v13, v9
	v_pk_fma_f16 v19, v17, v22, v19
	v_pk_fma_f16 v22, v17, v14, v10
	ds_read_b128 v[8:11], v64 offset:10016
	v_pk_fma_f16 v20, v17, v23, v20
	v_pk_fma_f16 v23, v17, v15, v16
	ds_read2_b32 v[16:17], v26 offset0:64 offset1:96
	ds_read_b128 v[12:15], v64 offset:10032
	s_waitcnt lgkmcnt(2)
	v_mul_u32_u24_sdwa v27, v8, s4 dst_sel:DWORD dst_unused:UNUSED_PAD src0_sel:WORD_0 src1_sel:DWORD
	v_mul_u32_u24_sdwa v8, v8, s4 dst_sel:DWORD dst_unused:UNUSED_PAD src0_sel:WORD_1 src1_sel:DWORD
	v_mul_u32_u24_sdwa v28, v9, s4 dst_sel:DWORD dst_unused:UNUSED_PAD src0_sel:WORD_0 src1_sel:DWORD
	v_mul_u32_u24_sdwa v9, v9, s4 dst_sel:DWORD dst_unused:UNUSED_PAD src0_sel:WORD_1 src1_sel:DWORD
	v_mul_u32_u24_sdwa v29, v10, s4 dst_sel:DWORD dst_unused:UNUSED_PAD src0_sel:WORD_0 src1_sel:DWORD
	v_mul_u32_u24_sdwa v10, v10, s4 dst_sel:DWORD dst_unused:UNUSED_PAD src0_sel:WORD_1 src1_sel:DWORD
	v_mul_u32_u24_sdwa v30, v11, s4 dst_sel:DWORD dst_unused:UNUSED_PAD src0_sel:WORD_0 src1_sel:DWORD
	v_mul_u32_u24_sdwa v11, v11, s4 dst_sel:DWORD dst_unused:UNUSED_PAD src0_sel:WORD_1 src1_sel:DWORD
	s_waitcnt lgkmcnt(1)
	v_pk_fma_f16 v24, v16, v27, v24
	v_pk_fma_f16 v8, v16, v8, v25
	v_pk_fma_f16 v18, v16, v28, v18
	v_pk_fma_f16 v9, v16, v9, v21
	v_pk_fma_f16 v19, v16, v29, v19
	v_pk_fma_f16 v10, v16, v10, v22
	v_pk_fma_f16 v20, v16, v30, v20
	v_pk_fma_f16 v16, v16, v11, v23
	s_waitcnt lgkmcnt(0)
	v_mul_u32_u24_sdwa v11, v12, s4 dst_sel:DWORD dst_unused:UNUSED_PAD src0_sel:WORD_0 src1_sel:DWORD
	v_mul_u32_u24_sdwa v12, v12, s4 dst_sel:DWORD dst_unused:UNUSED_PAD src0_sel:WORD_1 src1_sel:DWORD
	v_mul_u32_u24_sdwa v21, v13, s4 dst_sel:DWORD dst_unused:UNUSED_PAD src0_sel:WORD_0 src1_sel:DWORD
	v_mul_u32_u24_sdwa v13, v13, s4 dst_sel:DWORD dst_unused:UNUSED_PAD src0_sel:WORD_1 src1_sel:DWORD
	v_mul_u32_u24_sdwa v22, v14, s4 dst_sel:DWORD dst_unused:UNUSED_PAD src0_sel:WORD_0 src1_sel:DWORD
	v_mul_u32_u24_sdwa v14, v14, s4 dst_sel:DWORD dst_unused:UNUSED_PAD src0_sel:WORD_1 src1_sel:DWORD
	v_mul_u32_u24_sdwa v23, v15, s4 dst_sel:DWORD dst_unused:UNUSED_PAD src0_sel:WORD_0 src1_sel:DWORD
	v_mul_u32_u24_sdwa v15, v15, s4 dst_sel:DWORD dst_unused:UNUSED_PAD src0_sel:WORD_1 src1_sel:DWORD
	v_pk_fma_f16 v24, v17, v11, v24
	v_pk_fma_f16 v25, v17, v12, v8
	v_pk_fma_f16 v18, v17, v21, v18
	v_pk_fma_f16 v21, v17, v13, v9
	v_pk_fma_f16 v19, v17, v22, v19
	v_pk_fma_f16 v22, v17, v14, v10
	ds_read_b128 v[8:11], v64 offset:10048
	v_pk_fma_f16 v20, v17, v23, v20
	v_pk_fma_f16 v23, v17, v15, v16
	ds_read2_b32 v[16:17], v26 offset0:128 offset1:160
	;; [unrolled: 38-line block ×3, first 2 shown]
	ds_read_b128 v[12:15], v64 offset:10096
	s_waitcnt lgkmcnt(2)
	v_mul_u32_u24_sdwa v26, v8, s4 dst_sel:DWORD dst_unused:UNUSED_PAD src0_sel:WORD_0 src1_sel:DWORD
	v_mul_u32_u24_sdwa v8, v8, s4 dst_sel:DWORD dst_unused:UNUSED_PAD src0_sel:WORD_1 src1_sel:DWORD
	v_mul_u32_u24_sdwa v27, v9, s4 dst_sel:DWORD dst_unused:UNUSED_PAD src0_sel:WORD_0 src1_sel:DWORD
	v_mul_u32_u24_sdwa v9, v9, s4 dst_sel:DWORD dst_unused:UNUSED_PAD src0_sel:WORD_1 src1_sel:DWORD
	;; [unrolled: 2-line block ×4, first 2 shown]
	s_waitcnt lgkmcnt(1)
	v_pk_fma_f16 v24, v16, v26, v24
	v_pk_fma_f16 v8, v16, v8, v25
	;; [unrolled: 1-line block ×8, first 2 shown]
	s_waitcnt lgkmcnt(0)
	v_mul_u32_u24_sdwa v11, v12, s4 dst_sel:DWORD dst_unused:UNUSED_PAD src0_sel:WORD_0 src1_sel:DWORD
	v_mul_u32_u24_sdwa v12, v12, s4 dst_sel:DWORD dst_unused:UNUSED_PAD src0_sel:WORD_1 src1_sel:DWORD
	v_mul_u32_u24_sdwa v21, v13, s4 dst_sel:DWORD dst_unused:UNUSED_PAD src0_sel:WORD_0 src1_sel:DWORD
	v_mul_u32_u24_sdwa v13, v13, s4 dst_sel:DWORD dst_unused:UNUSED_PAD src0_sel:WORD_1 src1_sel:DWORD
	;; [unrolled: 2-line block ×4, first 2 shown]
	v_pk_fma_f16 v24, v17, v11, v24
	v_pk_fma_f16 v25, v17, v12, v8
	;; [unrolled: 1-line block ×6, first 2 shown]
	ds_read_b128 v[8:11], v64 offset:10112
	v_add_u32_e32 v26, 0x1c00, v65
	v_pk_fma_f16 v20, v17, v23, v20
	v_pk_fma_f16 v23, v17, v15, v16
	ds_read2_b32 v[16:17], v26 offset1:32
	ds_read_b128 v[12:15], v64 offset:10128
	s_waitcnt lgkmcnt(2)
	v_mul_u32_u24_sdwa v27, v8, s4 dst_sel:DWORD dst_unused:UNUSED_PAD src0_sel:WORD_0 src1_sel:DWORD
	v_mul_u32_u24_sdwa v8, v8, s4 dst_sel:DWORD dst_unused:UNUSED_PAD src0_sel:WORD_1 src1_sel:DWORD
	v_mul_u32_u24_sdwa v28, v9, s4 dst_sel:DWORD dst_unused:UNUSED_PAD src0_sel:WORD_0 src1_sel:DWORD
	v_mul_u32_u24_sdwa v9, v9, s4 dst_sel:DWORD dst_unused:UNUSED_PAD src0_sel:WORD_1 src1_sel:DWORD
	v_mul_u32_u24_sdwa v29, v10, s4 dst_sel:DWORD dst_unused:UNUSED_PAD src0_sel:WORD_0 src1_sel:DWORD
	v_mul_u32_u24_sdwa v10, v10, s4 dst_sel:DWORD dst_unused:UNUSED_PAD src0_sel:WORD_1 src1_sel:DWORD
	v_mul_u32_u24_sdwa v30, v11, s4 dst_sel:DWORD dst_unused:UNUSED_PAD src0_sel:WORD_0 src1_sel:DWORD
	v_mul_u32_u24_sdwa v11, v11, s4 dst_sel:DWORD dst_unused:UNUSED_PAD src0_sel:WORD_1 src1_sel:DWORD
	s_waitcnt lgkmcnt(1)
	v_pk_fma_f16 v24, v16, v27, v24
	v_pk_fma_f16 v8, v16, v8, v25
	v_pk_fma_f16 v18, v16, v28, v18
	v_pk_fma_f16 v9, v16, v9, v21
	v_pk_fma_f16 v19, v16, v29, v19
	v_pk_fma_f16 v10, v16, v10, v22
	v_pk_fma_f16 v20, v16, v30, v20
	v_pk_fma_f16 v16, v16, v11, v23
	s_waitcnt lgkmcnt(0)
	v_mul_u32_u24_sdwa v11, v12, s4 dst_sel:DWORD dst_unused:UNUSED_PAD src0_sel:WORD_0 src1_sel:DWORD
	v_mul_u32_u24_sdwa v12, v12, s4 dst_sel:DWORD dst_unused:UNUSED_PAD src0_sel:WORD_1 src1_sel:DWORD
	v_mul_u32_u24_sdwa v21, v13, s4 dst_sel:DWORD dst_unused:UNUSED_PAD src0_sel:WORD_0 src1_sel:DWORD
	v_mul_u32_u24_sdwa v13, v13, s4 dst_sel:DWORD dst_unused:UNUSED_PAD src0_sel:WORD_1 src1_sel:DWORD
	v_mul_u32_u24_sdwa v22, v14, s4 dst_sel:DWORD dst_unused:UNUSED_PAD src0_sel:WORD_0 src1_sel:DWORD
	v_mul_u32_u24_sdwa v14, v14, s4 dst_sel:DWORD dst_unused:UNUSED_PAD src0_sel:WORD_1 src1_sel:DWORD
	v_mul_u32_u24_sdwa v23, v15, s4 dst_sel:DWORD dst_unused:UNUSED_PAD src0_sel:WORD_0 src1_sel:DWORD
	v_mul_u32_u24_sdwa v15, v15, s4 dst_sel:DWORD dst_unused:UNUSED_PAD src0_sel:WORD_1 src1_sel:DWORD
	v_pk_fma_f16 v24, v17, v11, v24
	v_pk_fma_f16 v25, v17, v12, v8
	v_pk_fma_f16 v18, v17, v21, v18
	v_pk_fma_f16 v21, v17, v13, v9
	v_pk_fma_f16 v19, v17, v22, v19
	v_pk_fma_f16 v22, v17, v14, v10
	ds_read_b128 v[8:11], v64 offset:10144
	v_pk_fma_f16 v20, v17, v23, v20
	v_pk_fma_f16 v23, v17, v15, v16
	ds_read2_b32 v[16:17], v26 offset0:64 offset1:96
	ds_read_b128 v[12:15], v64 offset:10160
	s_waitcnt lgkmcnt(2)
	v_mul_u32_u24_sdwa v27, v8, s4 dst_sel:DWORD dst_unused:UNUSED_PAD src0_sel:WORD_0 src1_sel:DWORD
	v_mul_u32_u24_sdwa v8, v8, s4 dst_sel:DWORD dst_unused:UNUSED_PAD src0_sel:WORD_1 src1_sel:DWORD
	v_mul_u32_u24_sdwa v28, v9, s4 dst_sel:DWORD dst_unused:UNUSED_PAD src0_sel:WORD_0 src1_sel:DWORD
	v_mul_u32_u24_sdwa v9, v9, s4 dst_sel:DWORD dst_unused:UNUSED_PAD src0_sel:WORD_1 src1_sel:DWORD
	v_mul_u32_u24_sdwa v29, v10, s4 dst_sel:DWORD dst_unused:UNUSED_PAD src0_sel:WORD_0 src1_sel:DWORD
	v_mul_u32_u24_sdwa v10, v10, s4 dst_sel:DWORD dst_unused:UNUSED_PAD src0_sel:WORD_1 src1_sel:DWORD
	v_mul_u32_u24_sdwa v30, v11, s4 dst_sel:DWORD dst_unused:UNUSED_PAD src0_sel:WORD_0 src1_sel:DWORD
	v_mul_u32_u24_sdwa v11, v11, s4 dst_sel:DWORD dst_unused:UNUSED_PAD src0_sel:WORD_1 src1_sel:DWORD
	s_waitcnt lgkmcnt(1)
	v_pk_fma_f16 v24, v16, v27, v24
	v_pk_fma_f16 v8, v16, v8, v25
	v_pk_fma_f16 v18, v16, v28, v18
	v_pk_fma_f16 v9, v16, v9, v21
	v_pk_fma_f16 v19, v16, v29, v19
	v_pk_fma_f16 v10, v16, v10, v22
	v_pk_fma_f16 v20, v16, v30, v20
	v_pk_fma_f16 v16, v16, v11, v23
	s_waitcnt lgkmcnt(0)
	v_mul_u32_u24_sdwa v11, v12, s4 dst_sel:DWORD dst_unused:UNUSED_PAD src0_sel:WORD_0 src1_sel:DWORD
	v_mul_u32_u24_sdwa v12, v12, s4 dst_sel:DWORD dst_unused:UNUSED_PAD src0_sel:WORD_1 src1_sel:DWORD
	v_mul_u32_u24_sdwa v21, v13, s4 dst_sel:DWORD dst_unused:UNUSED_PAD src0_sel:WORD_0 src1_sel:DWORD
	v_mul_u32_u24_sdwa v13, v13, s4 dst_sel:DWORD dst_unused:UNUSED_PAD src0_sel:WORD_1 src1_sel:DWORD
	v_mul_u32_u24_sdwa v22, v14, s4 dst_sel:DWORD dst_unused:UNUSED_PAD src0_sel:WORD_0 src1_sel:DWORD
	v_mul_u32_u24_sdwa v14, v14, s4 dst_sel:DWORD dst_unused:UNUSED_PAD src0_sel:WORD_1 src1_sel:DWORD
	v_mul_u32_u24_sdwa v23, v15, s4 dst_sel:DWORD dst_unused:UNUSED_PAD src0_sel:WORD_0 src1_sel:DWORD
	v_mul_u32_u24_sdwa v15, v15, s4 dst_sel:DWORD dst_unused:UNUSED_PAD src0_sel:WORD_1 src1_sel:DWORD
	v_pk_fma_f16 v24, v17, v11, v24
	v_pk_fma_f16 v25, v17, v12, v8
	v_pk_fma_f16 v18, v17, v21, v18
	v_pk_fma_f16 v21, v17, v13, v9
	v_pk_fma_f16 v19, v17, v22, v19
	v_pk_fma_f16 v22, v17, v14, v10
	ds_read_b128 v[8:11], v64 offset:10176
	v_pk_fma_f16 v20, v17, v23, v20
	v_pk_fma_f16 v23, v17, v15, v16
	ds_read2_b32 v[16:17], v26 offset0:128 offset1:160
	;; [unrolled: 38-line block ×3, first 2 shown]
	ds_read_b128 v[12:15], v64 offset:10224
	s_waitcnt lgkmcnt(0)
	v_mul_u32_u24_sdwa v26, v8, s4 dst_sel:DWORD dst_unused:UNUSED_PAD src0_sel:WORD_0 src1_sel:DWORD
	v_mul_u32_u24_sdwa v8, v8, s4 dst_sel:DWORD dst_unused:UNUSED_PAD src0_sel:WORD_1 src1_sel:DWORD
	v_mul_u32_u24_sdwa v27, v9, s4 dst_sel:DWORD dst_unused:UNUSED_PAD src0_sel:WORD_0 src1_sel:DWORD
	v_mul_u32_u24_sdwa v9, v9, s4 dst_sel:DWORD dst_unused:UNUSED_PAD src0_sel:WORD_1 src1_sel:DWORD
	;; [unrolled: 2-line block ×4, first 2 shown]
	v_pk_fma_f16 v24, v16, v26, v24
	v_pk_fma_f16 v8, v16, v8, v25
	;; [unrolled: 1-line block ×8, first 2 shown]
	v_mul_u32_u24_sdwa v16, v12, s4 dst_sel:DWORD dst_unused:UNUSED_PAD src0_sel:WORD_0 src1_sel:DWORD
	v_mul_u32_u24_sdwa v12, v12, s4 dst_sel:DWORD dst_unused:UNUSED_PAD src0_sel:WORD_1 src1_sel:DWORD
	v_mul_u32_u24_sdwa v21, v13, s4 dst_sel:DWORD dst_unused:UNUSED_PAD src0_sel:WORD_0 src1_sel:DWORD
	v_mul_u32_u24_sdwa v13, v13, s4 dst_sel:DWORD dst_unused:UNUSED_PAD src0_sel:WORD_1 src1_sel:DWORD
	;; [unrolled: 2-line block ×4, first 2 shown]
	v_pk_fma_f16 v80, v17, v16, v24
	v_pk_fma_f16 v78, v17, v12, v8
	;; [unrolled: 1-line block ×8, first 2 shown]
	v_mov_b64_e32 v[24:25], v[32:33]
	v_mov_b64_e32 v[22:23], v[6:7]
	;; [unrolled: 1-line block ×8, first 2 shown]
	s_barrier
.LBB52_128:
	v_cmp_lt_i32_e32 vcc, v89, v87
	s_cmp_eq_u64 s[16:17], 0
	s_cselect_b64 s[4:5], -1, 0
	v_cndmask_b32_e32 v0, v86, v89, vcc
	v_lshlrev_b32_e32 v9, 2, v0
	ds_bpermute_b32 v4, v9, v18
	ds_bpermute_b32 v5, v9, v19
	ds_bpermute_b32 v0, v9, v16
	ds_bpermute_b32 v1, v9, v17
	v_cmp_lt_i32_e32 vcc, v92, v87
	ds_bpermute_b32 v10, v9, v22
	s_waitcnt lgkmcnt(3)
	v_pk_add_f32 v[4:5], v[18:19], v[4:5]
	v_cndmask_b32_e32 v2, v86, v92, vcc
	v_cmp_lt_i32_e32 vcc, v90, v87
	v_lshlrev_b32_e32 v15, 2, v2
	s_waitcnt lgkmcnt(1)
	v_pk_add_f32 v[0:1], v[16:17], v[0:1]
	v_cndmask_b32_e32 v2, v86, v90, vcc
	v_cmp_lt_i32_e32 vcc, v91, v87
	ds_bpermute_b32 v7, v15, v5
	v_lshlrev_b32_e32 v32, 2, v2
	v_cndmask_b32_e32 v6, v86, v91, vcc
	v_lshlrev_b32_e32 v17, 2, v6
	ds_bpermute_b32 v6, v15, v4
	ds_bpermute_b32 v11, v9, v23
	v_cmp_lt_i32_e32 vcc, v88, v87
	ds_bpermute_b32 v2, v15, v0
	ds_bpermute_b32 v3, v15, v1
	s_waitcnt lgkmcnt(3)
	v_pk_add_f32 v[4:5], v[4:5], v[6:7]
	ds_bpermute_b32 v6, v32, v4
	ds_bpermute_b32 v7, v32, v5
	s_waitcnt lgkmcnt(4)
	v_pk_add_f32 v[10:11], v[22:23], v[10:11]
	v_cndmask_b32_e32 v8, v86, v88, vcc
	ds_bpermute_b32 v14, v15, v10
	v_lshlrev_b32_e32 v33, 2, v8
	s_waitcnt lgkmcnt(1)
	v_pk_add_f32 v[4:5], v[4:5], v[6:7]
	ds_bpermute_b32 v6, v9, v20
	ds_bpermute_b32 v7, v9, v21
	;; [unrolled: 1-line block ×4, first 2 shown]
	v_pk_add_f32 v[0:1], v[0:1], v[2:3]
	ds_bpermute_b32 v2, v32, v0
	s_waitcnt lgkmcnt(3)
	v_pk_add_f32 v[6:7], v[20:21], v[6:7]
	ds_bpermute_b32 v12, v15, v6
	ds_bpermute_b32 v13, v15, v7
	;; [unrolled: 1-line block ×4, first 2 shown]
	s_waitcnt lgkmcnt(5)
	v_pk_add_f32 v[4:5], v[4:5], v[8:9]
	ds_bpermute_b32 v16, v33, v4
	s_waitcnt lgkmcnt(3)
	v_pk_add_f32 v[6:7], v[6:7], v[12:13]
	s_waitcnt lgkmcnt(2)
	v_pk_add_f32 v[10:11], v[10:11], v[14:15]
	ds_bpermute_b32 v8, v32, v6
	ds_bpermute_b32 v9, v32, v7
	;; [unrolled: 1-line block ×4, first 2 shown]
	s_waitcnt lgkmcnt(5)
	v_pk_add_f32 v[0:1], v[0:1], v[2:3]
	ds_bpermute_b32 v2, v17, v0
	s_waitcnt lgkmcnt(3)
	v_pk_add_f32 v[6:7], v[6:7], v[8:9]
	ds_bpermute_b32 v3, v17, v1
	;; [unrolled: 3-line block ×3, first 2 shown]
	ds_bpermute_b32 v9, v17, v7
	ds_bpermute_b32 v12, v17, v10
	;; [unrolled: 1-line block ×3, first 2 shown]
	s_waitcnt lgkmcnt(4)
	v_pk_add_f32 v[0:1], v[0:1], v[2:3]
	ds_bpermute_b32 v2, v33, v0
	s_waitcnt lgkmcnt(3)
	v_pk_add_f32 v[6:7], v[6:7], v[8:9]
	ds_bpermute_b32 v3, v33, v1
	;; [unrolled: 3-line block ×3, first 2 shown]
	ds_bpermute_b32 v8, v33, v6
	ds_bpermute_b32 v9, v33, v7
	ds_bpermute_b32 v20, v33, v18
	ds_bpermute_b32 v21, v33, v19
	s_cmp_lg_u32 s3, 0
	s_cselect_b64 s[6:7], -1, 0
	s_or_b64 s[4:5], s[6:7], s[4:5]
	s_waitcnt lgkmcnt(5)
	v_pk_add_f32 v[14:15], v[0:1], v[2:3]
	s_waitcnt lgkmcnt(4)
	v_pk_add_f32 v[12:13], v[4:5], v[16:17]
	;; [unrolled: 2-line block ×4, first 2 shown]
	s_and_b64 vcc, exec, s[4:5]
	s_cbranch_vccnz .LBB52_130
; %bb.129:
	s_lshl_b64 s[4:5], s[34:35], 2
	s_add_u32 s4, s16, s4
	s_addc_u32 s5, s17, s5
	v_mov_b32_e32 v0, 0
	global_load_dword v32, v0, s[4:5]
	v_max_f32_e32 v0, v24, v24
	v_max_f32_e32 v1, v25, v25
	s_mov_b32 s5, 0x3fb8aa3b
	v_max_f32_e32 v2, v26, v26
	s_mov_b32 s2, 0xc2ce8ed0
	s_mov_b32 s4, 0x42b17218
	v_mov_b32_e32 v33, 0x7f800000
	s_waitcnt vmcnt(0)
	v_max_f32_e32 v7, v32, v32
	v_max_f32_e32 v0, v0, v7
	v_sub_f32_e32 v3, v24, v0
	v_max_f32_e32 v1, v1, v7
	v_sub_f32_e32 v4, v32, v0
	v_mul_f32_e32 v16, 0x3fb8aa3b, v3
	v_max_f32_e32 v2, v2, v7
	v_sub_f32_e32 v5, v25, v1
	v_mul_f32_e32 v17, 0x3fb8aa3b, v4
	v_fma_f32 v24, v3, s5, -v16
	v_rndne_f32_e32 v25, v16
	v_sub_f32_e32 v6, v32, v1
	v_sub_f32_e32 v20, v26, v2
	v_mul_f32_e32 v18, 0x3fb8aa3b, v5
	v_fma_f32 v26, v4, s5, -v17
	v_rndne_f32_e32 v34, v17
	v_fmac_f32_e32 v24, 0x32a5705f, v3
	v_sub_f32_e32 v16, v16, v25
	v_mul_f32_e32 v19, 0x3fb8aa3b, v6
	v_fma_f32 v35, v5, s5, -v18
	v_rndne_f32_e32 v36, v18
	v_fmac_f32_e32 v26, 0x32a5705f, v4
	v_sub_f32_e32 v17, v17, v34
	v_add_f32_e32 v16, v16, v24
	v_mul_f32_e32 v22, 0x3fb8aa3b, v20
	v_fma_f32 v37, v6, s5, -v19
	v_rndne_f32_e32 v38, v19
	v_cvt_i32_f32_e32 v25, v25
	v_fmac_f32_e32 v35, 0x32a5705f, v5
	v_sub_f32_e32 v18, v18, v36
	v_add_f32_e32 v17, v17, v26
	v_exp_f32_e32 v16, v16
	v_fma_f32 v39, v20, s5, -v22
	v_rndne_f32_e32 v41, v22
	v_cvt_i32_f32_e32 v34, v34
	v_fmac_f32_e32 v37, 0x32a5705f, v6
	v_sub_f32_e32 v19, v19, v38
	v_add_f32_e32 v18, v18, v35
	v_exp_f32_e32 v17, v17
	v_cvt_i32_f32_e32 v36, v36
	v_fmac_f32_e32 v39, 0x32a5705f, v20
	v_sub_f32_e32 v22, v22, v41
	v_add_f32_e32 v19, v19, v37
	v_exp_f32_e32 v18, v18
	v_cvt_i32_f32_e32 v38, v38
	v_add_f32_e32 v22, v22, v39
	v_exp_f32_e32 v19, v19
	v_cvt_i32_f32_e32 v41, v41
	v_exp_f32_e32 v22, v22
	v_ldexp_f32 v16, v16, v25
	v_cmp_ngt_f32_e32 vcc, s2, v3
	v_ldexp_f32 v17, v17, v34
	v_ldexp_f32 v18, v18, v36
	v_cndmask_b32_e32 v16, 0, v16, vcc
	v_cmp_ngt_f32_e32 vcc, s2, v4
	v_ldexp_f32 v19, v19, v38
	v_ldexp_f32 v22, v22, v41
	v_cndmask_b32_e32 v17, 0, v17, vcc
	v_cmp_ngt_f32_e32 vcc, s2, v5
	v_sub_f32_e32 v21, v32, v2
	v_mul_f32_e32 v23, 0x3fb8aa3b, v21
	v_cndmask_b32_e32 v24, 0, v18, vcc
	v_cmp_ngt_f32_e32 vcc, s2, v6
	v_fma_f32 v42, v21, s5, -v23
	v_rndne_f32_e32 v43, v23
	v_cndmask_b32_e32 v19, 0, v19, vcc
	v_cmp_ngt_f32_e32 vcc, s2, v20
	v_fmac_f32_e32 v42, 0x32a5705f, v21
	v_sub_f32_e32 v23, v23, v43
	v_cndmask_b32_e32 v22, 0, v22, vcc
	v_cmp_nlt_f32_e32 vcc, s4, v3
	v_add_f32_e32 v23, v23, v42
	v_cvt_i32_f32_e32 v43, v43
	v_cndmask_b32_e32 v16, v33, v16, vcc
	v_cvt_f16_f32_e32 v3, v16
	v_cmp_nlt_f32_e32 vcc, s4, v4
	v_exp_f32_e32 v23, v23
	v_mul_u32_u24_e32 v3, 0x10001, v3
	v_cndmask_b32_e32 v18, v33, v17, vcc
	v_cmp_nlt_f32_e32 vcc, s4, v5
	v_pk_mul_f16 v80, v80, v3
	v_max_f32_e32 v3, v27, v27
	v_cndmask_b32_e32 v17, v33, v24, vcc
	v_cvt_f16_f32_e32 v4, v17
	v_cmp_nlt_f32_e32 vcc, s4, v6
	v_max_f32_e32 v3, v3, v7
	v_sub_f32_e32 v6, v27, v3
	v_cndmask_b32_e32 v19, v33, v19, vcc
	v_cmp_nlt_f32_e32 vcc, s4, v20
	v_ldexp_f32 v23, v23, v43
	v_mul_u32_u24_e32 v4, 0x10001, v4
	v_cndmask_b32_e32 v20, v33, v22, vcc
	v_cmp_ngt_f32_e32 vcc, s2, v21
	v_mul_f32_e32 v22, 0x3fb8aa3b, v6
	v_pk_mul_f16 v78, v78, v4
	v_cndmask_b32_e32 v4, 0, v23, vcc
	v_fma_f32 v23, v6, s5, -v22
	v_rndne_f32_e32 v24, v22
	v_cvt_f16_f32_e32 v5, v20
	v_fmac_f32_e32 v23, 0x32a5705f, v6
	v_sub_f32_e32 v22, v22, v24
	v_add_f32_e32 v22, v22, v23
	v_exp_f32_e32 v23, v22
	v_cvt_i32_f32_e32 v24, v24
	v_cmp_nlt_f32_e32 vcc, s4, v21
	v_pk_fma_f32 v[14:15], v[14:15], v[16:17], v[18:19]
	s_nop 0
	v_cndmask_b32_e32 v22, v33, v4, vcc
	v_mul_u32_u24_e32 v4, 0x10001, v5
	v_sub_f32_e32 v5, v32, v3
	v_mul_f32_e32 v21, 0x3fb8aa3b, v5
	v_pk_mul_f16 v76, v76, v4
	v_ldexp_f32 v4, v23, v24
	v_fma_f32 v23, v5, s5, -v21
	v_rndne_f32_e32 v24, v21
	v_fmac_f32_e32 v23, 0x32a5705f, v5
	v_sub_f32_e32 v21, v21, v24
	v_add_f32_e32 v21, v21, v23
	v_exp_f32_e32 v23, v21
	v_cvt_i32_f32_e32 v24, v24
	v_cmp_ngt_f32_e32 vcc, s2, v6
	s_nop 1
	v_cndmask_b32_e32 v4, 0, v4, vcc
	v_cmp_nlt_f32_e32 vcc, s4, v6
	s_nop 1
	v_cndmask_b32_e32 v21, v33, v4, vcc
	v_ldexp_f32 v4, v23, v24
	v_cmp_ngt_f32_e32 vcc, s2, v5
	v_cvt_f16_f32_e32 v24, v21
	s_nop 0
	v_cndmask_b32_e32 v6, 0, v4, vcc
	v_max_f32_e32 v4, v28, v28
	v_max_f32_e32 v4, v4, v7
	v_sub_f32_e32 v25, v28, v4
	v_mul_f32_e32 v23, 0x3fb8aa3b, v25
	v_fma_f32 v26, v25, s5, -v23
	v_rndne_f32_e32 v27, v23
	v_fmac_f32_e32 v26, 0x32a5705f, v25
	v_sub_f32_e32 v23, v23, v27
	v_add_f32_e32 v23, v23, v26
	v_exp_f32_e32 v26, v23
	v_cvt_i32_f32_e32 v27, v27
	v_cmp_nlt_f32_e32 vcc, s4, v5
	v_mul_u32_u24_e32 v5, 0x10001, v24
	v_pk_mul_f16 v74, v74, v5
	v_cndmask_b32_e32 v23, v33, v6, vcc
	v_sub_f32_e32 v6, v32, v4
	v_mul_f32_e32 v24, 0x3fb8aa3b, v6
	v_ldexp_f32 v5, v26, v27
	v_fma_f32 v26, v6, s5, -v24
	v_rndne_f32_e32 v27, v24
	v_fmac_f32_e32 v26, 0x32a5705f, v6
	v_sub_f32_e32 v24, v24, v27
	v_add_f32_e32 v24, v24, v26
	v_exp_f32_e32 v26, v24
	v_cvt_i32_f32_e32 v27, v27
	v_cmp_ngt_f32_e32 vcc, s2, v25
	v_pk_fma_f32 v[12:13], v[12:13], v[20:21], v[22:23]
	s_nop 0
	v_cndmask_b32_e32 v5, 0, v5, vcc
	v_cmp_nlt_f32_e32 vcc, s4, v25
	s_nop 1
	v_cndmask_b32_e32 v24, v33, v5, vcc
	v_ldexp_f32 v5, v26, v27
	v_cmp_ngt_f32_e32 vcc, s2, v6
	v_cvt_f16_f32_e32 v27, v24
	s_nop 0
	v_cndmask_b32_e32 v25, 0, v5, vcc
	v_max_f32_e32 v5, v29, v29
	v_max_f32_e32 v5, v5, v7
	v_sub_f32_e32 v28, v29, v5
	v_mul_f32_e32 v26, 0x3fb8aa3b, v28
	v_fma_f32 v29, v28, s5, -v26
	v_rndne_f32_e32 v34, v26
	v_fmac_f32_e32 v29, 0x32a5705f, v28
	v_sub_f32_e32 v26, v26, v34
	v_add_f32_e32 v26, v26, v29
	v_exp_f32_e32 v29, v26
	v_cvt_i32_f32_e32 v34, v34
	v_cmp_nlt_f32_e32 vcc, s4, v6
	v_mul_u32_u24_e32 v6, 0x10001, v27
	v_sub_f32_e32 v27, v32, v5
	v_cndmask_b32_e32 v26, v33, v25, vcc
	v_mul_f32_e32 v25, 0x3fb8aa3b, v27
	v_pk_mul_f16 v72, v72, v6
	v_ldexp_f32 v6, v29, v34
	v_fma_f32 v29, v27, s5, -v25
	v_rndne_f32_e32 v34, v25
	v_fmac_f32_e32 v29, 0x32a5705f, v27
	v_sub_f32_e32 v25, v25, v34
	v_add_f32_e32 v25, v25, v29
	v_exp_f32_e32 v29, v25
	v_cvt_i32_f32_e32 v34, v34
	v_cmp_ngt_f32_e32 vcc, s2, v28
	s_nop 1
	v_cndmask_b32_e32 v6, 0, v6, vcc
	v_cmp_nlt_f32_e32 vcc, s4, v28
	s_nop 1
	v_cndmask_b32_e32 v25, v33, v6, vcc
	v_ldexp_f32 v6, v29, v34
	v_cmp_ngt_f32_e32 vcc, s2, v27
	v_cvt_f16_f32_e32 v29, v25
	s_nop 0
	v_cndmask_b32_e32 v28, 0, v6, vcc
	v_max_f32_e32 v6, v30, v30
	v_max_f32_e32 v6, v6, v7
	v_sub_f32_e32 v30, v30, v6
	v_mul_f32_e32 v34, 0x3fb8aa3b, v30
	v_fma_f32 v35, v30, s5, -v34
	v_rndne_f32_e32 v36, v34
	v_fmac_f32_e32 v35, 0x32a5705f, v30
	v_sub_f32_e32 v34, v34, v36
	v_add_f32_e32 v34, v34, v35
	v_exp_f32_e32 v34, v34
	v_cvt_i32_f32_e32 v35, v36
	v_cmp_nlt_f32_e32 vcc, s4, v27
	s_nop 1
	v_cndmask_b32_e32 v27, v33, v28, vcc
	v_mul_u32_u24_e32 v28, 0x10001, v29
	v_sub_f32_e32 v29, v32, v6
	v_pk_mul_f16 v69, v69, v28
	v_ldexp_f32 v28, v34, v35
	v_mul_f32_e32 v34, 0x3fb8aa3b, v29
	v_fma_f32 v35, v29, s5, -v34
	v_rndne_f32_e32 v36, v34
	v_fmac_f32_e32 v35, 0x32a5705f, v29
	v_sub_f32_e32 v34, v34, v36
	v_add_f32_e32 v34, v34, v35
	v_exp_f32_e32 v34, v34
	v_cvt_i32_f32_e32 v35, v36
	v_cmp_ngt_f32_e32 vcc, s2, v30
	v_pk_fma_f32 v[10:11], v[10:11], v[24:25], v[26:27]
	s_nop 0
	v_cndmask_b32_e32 v28, 0, v28, vcc
	v_cmp_nlt_f32_e32 vcc, s4, v30
	v_ldexp_f32 v30, v34, v35
	v_max_f32_e32 v35, v31, v31
	v_max_f32_e32 v7, v35, v7
	v_sub_f32_e32 v31, v31, v7
	v_mul_f32_e32 v35, 0x3fb8aa3b, v31
	v_fma_f32 v36, v31, s5, -v35
	v_rndne_f32_e32 v37, v35
	v_cndmask_b32_e32 v28, v33, v28, vcc
	v_fmac_f32_e32 v36, 0x32a5705f, v31
	v_sub_f32_e32 v35, v35, v37
	v_cvt_f16_f32_e32 v34, v28
	v_add_f32_e32 v35, v35, v36
	v_exp_f32_e32 v35, v35
	v_cvt_i32_f32_e32 v36, v37
	v_cmp_ngt_f32_e32 vcc, s2, v29
	v_sub_f32_e32 v32, v32, v7
	s_nop 0
	v_cndmask_b32_e32 v30, 0, v30, vcc
	v_cmp_nlt_f32_e32 vcc, s4, v29
	v_mul_u32_u24_e32 v29, 0x10001, v34
	v_mul_f32_e32 v34, 0x3fb8aa3b, v32
	v_pk_mul_f16 v68, v68, v29
	v_ldexp_f32 v29, v35, v36
	v_fma_f32 v35, v32, s5, -v34
	v_rndne_f32_e32 v36, v34
	v_fmac_f32_e32 v35, 0x32a5705f, v32
	v_sub_f32_e32 v34, v34, v36
	v_add_f32_e32 v34, v34, v35
	v_cndmask_b32_e32 v30, v33, v30, vcc
	v_exp_f32_e32 v34, v34
	v_cvt_i32_f32_e32 v35, v36
	v_cmp_ngt_f32_e32 vcc, s2, v31
	s_nop 1
	v_cndmask_b32_e32 v29, 0, v29, vcc
	v_cmp_nlt_f32_e32 vcc, s4, v31
	v_ldexp_f32 v31, v34, v35
	s_nop 0
	v_cndmask_b32_e32 v29, v33, v29, vcc
	v_cvt_f16_f32_e32 v16, v29
	v_cmp_ngt_f32_e32 vcc, s2, v32
	v_mul_u32_u24_e32 v16, 0x10001, v16
	s_nop 0
	v_cndmask_b32_e32 v31, 0, v31, vcc
	v_cmp_nlt_f32_e32 vcc, s4, v32
	v_pk_mul_f16 v67, v67, v16
	s_nop 0
	v_cndmask_b32_e32 v31, v33, v31, vcc
	v_pk_fma_f32 v[8:9], v[8:9], v[28:29], v[30:31]
	v_mov_b64_e32 v[30:31], v[6:7]
	v_mov_b64_e32 v[28:29], v[4:5]
	;; [unrolled: 1-line block ×4, first 2 shown]
.LBB52_130:
	v_cmp_gt_i32_e32 vcc, s26, v63
	s_and_saveexec_b64 s[4:5], vcc
	s_cbranch_execz .LBB52_170
; %bb.131:
	s_load_dword s2, s[0:1], 0xd4
	v_mov_b32_e32 v0, 1.0
	s_waitcnt lgkmcnt(0)
	s_cmp_lg_u32 s2, 1
	s_cselect_b64 s[0:1], -1, 0
	s_cmp_eq_u32 s2, 1
	s_cselect_b64 s[6:7], -1, 0
	s_and_b64 vcc, exec, s[0:1]
	s_cbranch_vccnz .LBB52_133
; %bb.132:
	v_div_scale_f32 v0, s[4:5], v14, v14, 1.0
	v_rcp_f32_e32 v1, v0
	v_div_scale_f32 v2, vcc, 1.0, v14, 1.0
	v_fma_f32 v3, -v0, v1, 1.0
	v_fmac_f32_e32 v1, v3, v1
	v_mul_f32_e32 v3, v2, v1
	v_fma_f32 v4, -v0, v3, v2
	v_fmac_f32_e32 v3, v4, v1
	v_fma_f32 v0, -v0, v3, v2
	v_div_fmas_f32 v0, v0, v1, v3
	v_div_fixup_f32 v0, v0, v14, 1.0
.LBB52_133:
	s_mul_i32 s8, s33, s26
	s_add_i32 s8, s8, s29
	v_add_u32_e32 v1, s8, v61
	v_mul_lo_u32 v1, v1, s27
	v_add_u32_e32 v1, s34, v1
	v_cvt_f32_f16_sdwa v5, v80 dst_sel:DWORD dst_unused:UNUSED_PAD src0_sel:WORD_1
	v_cvt_f32_f16_e32 v4, v80
	v_mul_lo_u32 v1, s2, v1
	v_add_u32_e32 v2, s3, v1
	v_cmp_eq_u32_e32 vcc, 0, v40
	v_lshl_add_u32 v6, v2, 6, v83
	v_mov_b32_e32 v7, 0
	v_lshl_add_u64 v[6:7], v[6:7], 2, s[20:21]
	v_pk_mul_f32 v[0:1], v[0:1], v[4:5] op_sel_hi:[0,1]
	s_and_b64 s[4:5], vcc, s[0:1]
	global_store_dwordx2 v[6:7], v[0:1], off
	s_and_saveexec_b64 s[0:1], s[4:5]
	s_cbranch_execz .LBB52_135
; %bb.134:
	v_ashrrev_i32_e32 v3, 31, v2
	v_lshl_add_u64 v[0:1], v[2:3], 3, s[22:23]
	v_mov_b32_e32 v2, v24
	v_mov_b32_e32 v3, v14
	global_store_dwordx2 v[0:1], v[2:3], off
.LBB52_135:
	s_or_b64 exec, exec, s[0:1]
	v_cmp_gt_i32_e32 vcc, s26, v62
	s_and_b64 exec, exec, vcc
	s_cbranch_execz .LBB52_170
; %bb.136:
	v_cndmask_b32_e64 v0, 0, 1, s[6:7]
	v_cmp_ne_u32_e64 s[0:1], 1, v0
	s_andn2_b64 vcc, exec, s[6:7]
	v_mov_b32_e32 v0, 1.0
	s_cbranch_vccnz .LBB52_138
; %bb.137:
	v_div_scale_f32 v0, s[6:7], v15, v15, 1.0
	v_rcp_f32_e32 v1, v0
	v_div_scale_f32 v2, vcc, 1.0, v15, 1.0
	v_fma_f32 v3, -v0, v1, 1.0
	v_fmac_f32_e32 v1, v3, v1
	v_mul_f32_e32 v3, v2, v1
	v_fma_f32 v4, -v0, v3, v2
	v_fmac_f32_e32 v3, v4, v1
	v_fma_f32 v0, -v0, v3, v2
	v_div_fmas_f32 v0, v0, v1, v3
	v_div_fixup_f32 v0, v0, v15, 1.0
.LBB52_138:
	v_add_u32_e32 v1, s8, v60
	v_mul_lo_u32 v1, v1, s27
	v_add_u32_e32 v1, s34, v1
	v_cvt_f32_f16_sdwa v5, v78 dst_sel:DWORD dst_unused:UNUSED_PAD src0_sel:WORD_1
	v_cvt_f32_f16_e32 v4, v78
	v_mul_lo_u32 v1, s2, v1
	v_add_u32_e32 v2, s3, v1
	v_lshl_add_u32 v6, v2, 6, v83
	v_mov_b32_e32 v7, 0
	v_lshl_add_u64 v[6:7], v[6:7], 2, s[20:21]
	v_pk_mul_f32 v[0:1], v[0:1], v[4:5] op_sel_hi:[0,1]
	global_store_dwordx2 v[6:7], v[0:1], off
	s_and_saveexec_b64 s[6:7], s[4:5]
	s_cbranch_execz .LBB52_140
; %bb.139:
	v_ashrrev_i32_e32 v3, 31, v2
	v_lshl_add_u64 v[0:1], v[2:3], 3, s[22:23]
	v_mov_b32_e32 v14, v25
	global_store_dwordx2 v[0:1], v[14:15], off
.LBB52_140:
	s_or_b64 exec, exec, s[6:7]
	v_cmp_gt_i32_e32 vcc, s26, v59
	s_and_b64 exec, exec, vcc
	s_cbranch_execz .LBB52_170
; %bb.141:
	s_and_b64 vcc, exec, s[0:1]
	v_mov_b32_e32 v0, 1.0
	s_cbranch_vccnz .LBB52_143
; %bb.142:
	v_div_scale_f32 v0, s[6:7], v12, v12, 1.0
	v_rcp_f32_e32 v1, v0
	v_div_scale_f32 v2, vcc, 1.0, v12, 1.0
	v_fma_f32 v3, -v0, v1, 1.0
	v_fmac_f32_e32 v1, v3, v1
	v_mul_f32_e32 v3, v2, v1
	v_fma_f32 v4, -v0, v3, v2
	v_fmac_f32_e32 v3, v4, v1
	v_fma_f32 v0, -v0, v3, v2
	v_div_fmas_f32 v0, v0, v1, v3
	v_div_fixup_f32 v0, v0, v12, 1.0
.LBB52_143:
	v_add_u32_e32 v1, s8, v58
	v_mul_lo_u32 v1, v1, s27
	v_add_u32_e32 v1, s34, v1
	v_cvt_f32_f16_sdwa v5, v76 dst_sel:DWORD dst_unused:UNUSED_PAD src0_sel:WORD_1
	v_cvt_f32_f16_e32 v4, v76
	v_mul_lo_u32 v1, s2, v1
	v_add_u32_e32 v2, s3, v1
	v_lshl_add_u32 v6, v2, 6, v83
	v_mov_b32_e32 v7, 0
	v_lshl_add_u64 v[6:7], v[6:7], 2, s[20:21]
	v_pk_mul_f32 v[0:1], v[0:1], v[4:5] op_sel_hi:[0,1]
	global_store_dwordx2 v[6:7], v[0:1], off
	s_and_saveexec_b64 s[6:7], s[4:5]
	s_cbranch_execz .LBB52_145
; %bb.144:
	v_ashrrev_i32_e32 v3, 31, v2
	v_lshl_add_u64 v[0:1], v[2:3], 3, s[22:23]
	v_mov_b32_e32 v2, v26
	v_mov_b32_e32 v3, v12
	global_store_dwordx2 v[0:1], v[2:3], off
.LBB52_145:
	s_or_b64 exec, exec, s[6:7]
	v_cmp_gt_i32_e32 vcc, s26, v57
	s_and_b64 exec, exec, vcc
	s_cbranch_execz .LBB52_170
; %bb.146:
	s_and_b64 vcc, exec, s[0:1]
	v_mov_b32_e32 v0, 1.0
	s_cbranch_vccnz .LBB52_148
; %bb.147:
	v_div_scale_f32 v0, s[6:7], v13, v13, 1.0
	v_rcp_f32_e32 v1, v0
	v_div_scale_f32 v2, vcc, 1.0, v13, 1.0
	v_fma_f32 v3, -v0, v1, 1.0
	v_fmac_f32_e32 v1, v3, v1
	v_mul_f32_e32 v3, v2, v1
	v_fma_f32 v4, -v0, v3, v2
	v_fmac_f32_e32 v3, v4, v1
	v_fma_f32 v0, -v0, v3, v2
	v_div_fmas_f32 v0, v0, v1, v3
	v_div_fixup_f32 v0, v0, v13, 1.0
.LBB52_148:
	v_add_u32_e32 v1, s8, v56
	v_mul_lo_u32 v1, v1, s27
	v_add_u32_e32 v1, s34, v1
	v_cvt_f32_f16_sdwa v5, v74 dst_sel:DWORD dst_unused:UNUSED_PAD src0_sel:WORD_1
	v_cvt_f32_f16_e32 v4, v74
	v_mul_lo_u32 v1, s2, v1
	v_add_u32_e32 v2, s3, v1
	v_lshl_add_u32 v6, v2, 6, v83
	v_mov_b32_e32 v7, 0
	v_lshl_add_u64 v[6:7], v[6:7], 2, s[20:21]
	v_pk_mul_f32 v[0:1], v[0:1], v[4:5] op_sel_hi:[0,1]
	global_store_dwordx2 v[6:7], v[0:1], off
	s_and_saveexec_b64 s[6:7], s[4:5]
	s_cbranch_execz .LBB52_150
; %bb.149:
	v_ashrrev_i32_e32 v3, 31, v2
	v_lshl_add_u64 v[0:1], v[2:3], 3, s[22:23]
	v_mov_b32_e32 v12, v27
	global_store_dwordx2 v[0:1], v[12:13], off
.LBB52_150:
	s_or_b64 exec, exec, s[6:7]
	v_cmp_gt_i32_e32 vcc, s26, v55
	s_and_b64 exec, exec, vcc
	s_cbranch_execz .LBB52_170
; %bb.151:
	s_and_b64 vcc, exec, s[0:1]
	v_mov_b32_e32 v0, 1.0
	s_cbranch_vccnz .LBB52_153
; %bb.152:
	v_div_scale_f32 v0, s[6:7], v10, v10, 1.0
	v_rcp_f32_e32 v1, v0
	v_div_scale_f32 v2, vcc, 1.0, v10, 1.0
	v_fma_f32 v3, -v0, v1, 1.0
	v_fmac_f32_e32 v1, v3, v1
	v_mul_f32_e32 v3, v2, v1
	v_fma_f32 v4, -v0, v3, v2
	v_fmac_f32_e32 v3, v4, v1
	v_fma_f32 v0, -v0, v3, v2
	v_div_fmas_f32 v0, v0, v1, v3
	v_div_fixup_f32 v0, v0, v10, 1.0
.LBB52_153:
	v_add_u32_e32 v1, s8, v54
	v_mul_lo_u32 v1, v1, s27
	v_add_u32_e32 v1, s34, v1
	v_cvt_f32_f16_sdwa v5, v72 dst_sel:DWORD dst_unused:UNUSED_PAD src0_sel:WORD_1
	v_cvt_f32_f16_e32 v4, v72
	v_mul_lo_u32 v1, s2, v1
	v_add_u32_e32 v2, s3, v1
	v_lshl_add_u32 v6, v2, 6, v83
	v_mov_b32_e32 v7, 0
	v_lshl_add_u64 v[6:7], v[6:7], 2, s[20:21]
	v_pk_mul_f32 v[0:1], v[0:1], v[4:5] op_sel_hi:[0,1]
	global_store_dwordx2 v[6:7], v[0:1], off
	s_and_saveexec_b64 s[6:7], s[4:5]
	s_cbranch_execz .LBB52_155
; %bb.154:
	v_ashrrev_i32_e32 v3, 31, v2
	v_lshl_add_u64 v[0:1], v[2:3], 3, s[22:23]
	v_mov_b32_e32 v2, v28
	v_mov_b32_e32 v3, v10
	global_store_dwordx2 v[0:1], v[2:3], off
.LBB52_155:
	s_or_b64 exec, exec, s[6:7]
	v_cmp_gt_i32_e32 vcc, s26, v53
	s_and_b64 exec, exec, vcc
	s_cbranch_execz .LBB52_170
; %bb.156:
	s_and_b64 vcc, exec, s[0:1]
	v_mov_b32_e32 v0, 1.0
	s_cbranch_vccnz .LBB52_158
; %bb.157:
	v_div_scale_f32 v0, s[6:7], v11, v11, 1.0
	v_rcp_f32_e32 v1, v0
	v_div_scale_f32 v2, vcc, 1.0, v11, 1.0
	v_fma_f32 v3, -v0, v1, 1.0
	v_fmac_f32_e32 v1, v3, v1
	v_mul_f32_e32 v3, v2, v1
	v_fma_f32 v4, -v0, v3, v2
	v_fmac_f32_e32 v3, v4, v1
	v_fma_f32 v0, -v0, v3, v2
	v_div_fmas_f32 v0, v0, v1, v3
	v_div_fixup_f32 v0, v0, v11, 1.0
.LBB52_158:
	v_add_u32_e32 v1, s8, v52
	v_mul_lo_u32 v1, v1, s27
	v_add_u32_e32 v1, s34, v1
	v_cvt_f32_f16_sdwa v5, v69 dst_sel:DWORD dst_unused:UNUSED_PAD src0_sel:WORD_1
	v_cvt_f32_f16_e32 v4, v69
	v_mul_lo_u32 v1, s2, v1
	v_add_u32_e32 v2, s3, v1
	v_lshl_add_u32 v6, v2, 6, v83
	v_mov_b32_e32 v7, 0
	v_lshl_add_u64 v[6:7], v[6:7], 2, s[20:21]
	v_pk_mul_f32 v[0:1], v[0:1], v[4:5] op_sel_hi:[0,1]
	global_store_dwordx2 v[6:7], v[0:1], off
	s_and_saveexec_b64 s[6:7], s[4:5]
	s_cbranch_execz .LBB52_160
; %bb.159:
	v_ashrrev_i32_e32 v3, 31, v2
	v_lshl_add_u64 v[0:1], v[2:3], 3, s[22:23]
	v_mov_b32_e32 v10, v29
	global_store_dwordx2 v[0:1], v[10:11], off
.LBB52_160:
	s_or_b64 exec, exec, s[6:7]
	v_cmp_gt_i32_e32 vcc, s26, v51
	s_and_b64 exec, exec, vcc
	s_cbranch_execz .LBB52_170
; %bb.161:
	s_and_b64 vcc, exec, s[0:1]
	v_mov_b32_e32 v0, 1.0
	s_cbranch_vccnz .LBB52_163
; %bb.162:
	v_div_scale_f32 v0, s[6:7], v8, v8, 1.0
	v_rcp_f32_e32 v1, v0
	v_div_scale_f32 v2, vcc, 1.0, v8, 1.0
	v_fma_f32 v3, -v0, v1, 1.0
	v_fmac_f32_e32 v1, v3, v1
	v_mul_f32_e32 v3, v2, v1
	v_fma_f32 v4, -v0, v3, v2
	v_fmac_f32_e32 v3, v4, v1
	v_fma_f32 v0, -v0, v3, v2
	v_div_fmas_f32 v0, v0, v1, v3
	v_div_fixup_f32 v0, v0, v8, 1.0
.LBB52_163:
	v_add_u32_e32 v1, s8, v50
	v_mul_lo_u32 v1, v1, s27
	v_add_u32_e32 v1, s34, v1
	v_cvt_f32_f16_sdwa v5, v68 dst_sel:DWORD dst_unused:UNUSED_PAD src0_sel:WORD_1
	v_cvt_f32_f16_e32 v4, v68
	v_mul_lo_u32 v1, s2, v1
	v_add_u32_e32 v2, s3, v1
	v_lshl_add_u32 v6, v2, 6, v83
	v_mov_b32_e32 v7, 0
	v_lshl_add_u64 v[6:7], v[6:7], 2, s[20:21]
	v_pk_mul_f32 v[0:1], v[0:1], v[4:5] op_sel_hi:[0,1]
	global_store_dwordx2 v[6:7], v[0:1], off
	s_and_saveexec_b64 s[6:7], s[4:5]
	s_cbranch_execz .LBB52_165
; %bb.164:
	v_ashrrev_i32_e32 v3, 31, v2
	v_lshl_add_u64 v[0:1], v[2:3], 3, s[22:23]
	v_mov_b32_e32 v2, v30
	v_mov_b32_e32 v3, v8
	global_store_dwordx2 v[0:1], v[2:3], off
.LBB52_165:
	s_or_b64 exec, exec, s[6:7]
	v_cmp_gt_i32_e32 vcc, s26, v49
	s_and_b64 exec, exec, vcc
	s_cbranch_execz .LBB52_170
; %bb.166:
	s_and_b64 vcc, exec, s[0:1]
	v_mov_b32_e32 v0, 1.0
	s_cbranch_vccnz .LBB52_168
; %bb.167:
	v_div_scale_f32 v0, s[0:1], v9, v9, 1.0
	v_rcp_f32_e32 v1, v0
	v_div_scale_f32 v2, vcc, 1.0, v9, 1.0
	v_fma_f32 v3, -v0, v1, 1.0
	v_fmac_f32_e32 v1, v3, v1
	v_mul_f32_e32 v3, v2, v1
	v_fma_f32 v4, -v0, v3, v2
	v_fmac_f32_e32 v3, v4, v1
	v_fma_f32 v0, -v0, v3, v2
	v_div_fmas_f32 v0, v0, v1, v3
	v_div_fixup_f32 v0, v0, v9, 1.0
.LBB52_168:
	v_add_u32_e32 v1, s8, v48
	v_mul_lo_u32 v1, v1, s27
	v_add_u32_e32 v1, s34, v1
	v_cvt_f32_f16_sdwa v5, v67 dst_sel:DWORD dst_unused:UNUSED_PAD src0_sel:WORD_1
	v_cvt_f32_f16_e32 v4, v67
	v_mul_lo_u32 v1, s2, v1
	v_add_u32_e32 v2, s3, v1
	v_lshl_add_u32 v6, v2, 6, v83
	v_mov_b32_e32 v7, 0
	v_lshl_add_u64 v[6:7], v[6:7], 2, s[20:21]
	v_pk_mul_f32 v[0:1], v[0:1], v[4:5] op_sel_hi:[0,1]
	global_store_dwordx2 v[6:7], v[0:1], off
	s_and_b64 exec, exec, s[4:5]
	s_cbranch_execz .LBB52_170
; %bb.169:
	v_ashrrev_i32_e32 v3, 31, v2
	v_lshl_add_u64 v[0:1], v[2:3], 3, s[22:23]
	v_mov_b32_e32 v8, v31
	global_store_dwordx2 v[0:1], v[8:9], off
.LBB52_170:
	s_endpgm
	.section	.rodata,"a",@progbits
	.p2align	6, 0x0
	.amdhsa_kernel _ZL15flash_attn_tileILi64ELi64ELi64ELi1ELb0EEvPKcS1_S1_S1_S1_PKiPfP15HIP_vector_typeIfLj2EEffffjfiS5_IjLj3EEiiiiiiiiiiiliiliiiiil
		.amdhsa_group_segment_fixed_size 25600
		.amdhsa_private_segment_fixed_size 32
		.amdhsa_kernarg_size 464
		.amdhsa_user_sgpr_count 2
		.amdhsa_user_sgpr_dispatch_ptr 0
		.amdhsa_user_sgpr_queue_ptr 0
		.amdhsa_user_sgpr_kernarg_segment_ptr 1
		.amdhsa_user_sgpr_dispatch_id 0
		.amdhsa_user_sgpr_kernarg_preload_length 0
		.amdhsa_user_sgpr_kernarg_preload_offset 0
		.amdhsa_user_sgpr_private_segment_size 0
		.amdhsa_uses_dynamic_stack 0
		.amdhsa_enable_private_segment 1
		.amdhsa_system_sgpr_workgroup_id_x 1
		.amdhsa_system_sgpr_workgroup_id_y 1
		.amdhsa_system_sgpr_workgroup_id_z 1
		.amdhsa_system_sgpr_workgroup_info 0
		.amdhsa_system_vgpr_workitem_id 1
		.amdhsa_next_free_vgpr 140
		.amdhsa_next_free_sgpr 91
		.amdhsa_accum_offset 140
		.amdhsa_reserve_vcc 1
		.amdhsa_float_round_mode_32 0
		.amdhsa_float_round_mode_16_64 0
		.amdhsa_float_denorm_mode_32 3
		.amdhsa_float_denorm_mode_16_64 3
		.amdhsa_dx10_clamp 1
		.amdhsa_ieee_mode 1
		.amdhsa_fp16_overflow 0
		.amdhsa_tg_split 0
		.amdhsa_exception_fp_ieee_invalid_op 0
		.amdhsa_exception_fp_denorm_src 0
		.amdhsa_exception_fp_ieee_div_zero 0
		.amdhsa_exception_fp_ieee_overflow 0
		.amdhsa_exception_fp_ieee_underflow 0
		.amdhsa_exception_fp_ieee_inexact 0
		.amdhsa_exception_int_div_zero 0
	.end_amdhsa_kernel
	.section	.text._ZL15flash_attn_tileILi64ELi64ELi64ELi1ELb0EEvPKcS1_S1_S1_S1_PKiPfP15HIP_vector_typeIfLj2EEffffjfiS5_IjLj3EEiiiiiiiiiiiliiliiiiil,"axG",@progbits,_ZL15flash_attn_tileILi64ELi64ELi64ELi1ELb0EEvPKcS1_S1_S1_S1_PKiPfP15HIP_vector_typeIfLj2EEffffjfiS5_IjLj3EEiiiiiiiiiiiliiliiiiil,comdat
.Lfunc_end52:
	.size	_ZL15flash_attn_tileILi64ELi64ELi64ELi1ELb0EEvPKcS1_S1_S1_S1_PKiPfP15HIP_vector_typeIfLj2EEffffjfiS5_IjLj3EEiiiiiiiiiiiliiliiiiil, .Lfunc_end52-_ZL15flash_attn_tileILi64ELi64ELi64ELi1ELb0EEvPKcS1_S1_S1_S1_PKiPfP15HIP_vector_typeIfLj2EEffffjfiS5_IjLj3EEiiiiiiiiiiiliiliiiiil
                                        ; -- End function
	.set _ZL15flash_attn_tileILi64ELi64ELi64ELi1ELb0EEvPKcS1_S1_S1_S1_PKiPfP15HIP_vector_typeIfLj2EEffffjfiS5_IjLj3EEiiiiiiiiiiiliiliiiiil.num_vgpr, 140
	.set _ZL15flash_attn_tileILi64ELi64ELi64ELi1ELb0EEvPKcS1_S1_S1_S1_PKiPfP15HIP_vector_typeIfLj2EEffffjfiS5_IjLj3EEiiiiiiiiiiiliiliiiiil.num_agpr, 0
	.set _ZL15flash_attn_tileILi64ELi64ELi64ELi1ELb0EEvPKcS1_S1_S1_S1_PKiPfP15HIP_vector_typeIfLj2EEffffjfiS5_IjLj3EEiiiiiiiiiiiliiliiiiil.numbered_sgpr, 48
	.set _ZL15flash_attn_tileILi64ELi64ELi64ELi1ELb0EEvPKcS1_S1_S1_S1_PKiPfP15HIP_vector_typeIfLj2EEffffjfiS5_IjLj3EEiiiiiiiiiiiliiliiiiil.num_named_barrier, 0
	.set _ZL15flash_attn_tileILi64ELi64ELi64ELi1ELb0EEvPKcS1_S1_S1_S1_PKiPfP15HIP_vector_typeIfLj2EEffffjfiS5_IjLj3EEiiiiiiiiiiiliiliiiiil.private_seg_size, 32
	.set _ZL15flash_attn_tileILi64ELi64ELi64ELi1ELb0EEvPKcS1_S1_S1_S1_PKiPfP15HIP_vector_typeIfLj2EEffffjfiS5_IjLj3EEiiiiiiiiiiiliiliiiiil.uses_vcc, 1
	.set _ZL15flash_attn_tileILi64ELi64ELi64ELi1ELb0EEvPKcS1_S1_S1_S1_PKiPfP15HIP_vector_typeIfLj2EEffffjfiS5_IjLj3EEiiiiiiiiiiiliiliiiiil.uses_flat_scratch, 0
	.set _ZL15flash_attn_tileILi64ELi64ELi64ELi1ELb0EEvPKcS1_S1_S1_S1_PKiPfP15HIP_vector_typeIfLj2EEffffjfiS5_IjLj3EEiiiiiiiiiiiliiliiiiil.has_dyn_sized_stack, 0
	.set _ZL15flash_attn_tileILi64ELi64ELi64ELi1ELb0EEvPKcS1_S1_S1_S1_PKiPfP15HIP_vector_typeIfLj2EEffffjfiS5_IjLj3EEiiiiiiiiiiiliiliiiiil.has_recursion, 0
	.set _ZL15flash_attn_tileILi64ELi64ELi64ELi1ELb0EEvPKcS1_S1_S1_S1_PKiPfP15HIP_vector_typeIfLj2EEffffjfiS5_IjLj3EEiiiiiiiiiiiliiliiiiil.has_indirect_call, 0
	.section	.AMDGPU.csdata,"",@progbits
; Kernel info:
; codeLenInByte = 57852
; TotalNumSgprs: 54
; NumVgprs: 140
; NumAgprs: 0
; TotalNumVgprs: 140
; ScratchSize: 32
; MemoryBound: 0
; FloatMode: 240
; IeeeMode: 1
; LDSByteSize: 25600 bytes/workgroup (compile time only)
; SGPRBlocks: 12
; VGPRBlocks: 17
; NumSGPRsForWavesPerEU: 97
; NumVGPRsForWavesPerEU: 140
; AccumOffset: 140
; Occupancy: 3
; WaveLimiterHint : 0
; COMPUTE_PGM_RSRC2:SCRATCH_EN: 1
; COMPUTE_PGM_RSRC2:USER_SGPR: 2
; COMPUTE_PGM_RSRC2:TRAP_HANDLER: 0
; COMPUTE_PGM_RSRC2:TGID_X_EN: 1
; COMPUTE_PGM_RSRC2:TGID_Y_EN: 1
; COMPUTE_PGM_RSRC2:TGID_Z_EN: 1
; COMPUTE_PGM_RSRC2:TIDIG_COMP_CNT: 1
; COMPUTE_PGM_RSRC3_GFX90A:ACCUM_OFFSET: 34
; COMPUTE_PGM_RSRC3_GFX90A:TG_SPLIT: 0
	.section	.text._ZL25flash_attn_mask_to_KV_maxILi64EEvPK7__half2Piiii,"axG",@progbits,_ZL25flash_attn_mask_to_KV_maxILi64EEvPK7__half2Piiii,comdat
	.globl	_ZL25flash_attn_mask_to_KV_maxILi64EEvPK7__half2Piiii ; -- Begin function _ZL25flash_attn_mask_to_KV_maxILi64EEvPK7__half2Piiii
	.p2align	8
	.type	_ZL25flash_attn_mask_to_KV_maxILi64EEvPK7__half2Piiii,@function
_ZL25flash_attn_mask_to_KV_maxILi64EEvPK7__half2Piiii: ; @_ZL25flash_attn_mask_to_KV_maxILi64EEvPK7__half2Piiii
; %bb.0:
	s_load_dwordx4 s[4:7], s[0:1], 0x0
	v_cmp_gt_u32_e32 vcc, 32, v0
	s_and_saveexec_b64 s[8:9], vcc
; %bb.1:
	v_lshlrev_b32_e32 v1, 2, v0
	v_mov_b32_e32 v2, 1
	ds_write_b32 v1, v2
; %bb.2:
	s_or_b64 exec, exec, s[8:9]
	s_load_dwordx4 s[8:11], s[0:1], 0x10
	s_load_dword s33, s[0:1], 0x20
	v_and_b32_e32 v2, 31, v0
	v_lshlrev_b32_e32 v6, 2, v2
	v_lshrrev_b32_e32 v1, 3, v0
	s_waitcnt lgkmcnt(0)
	s_mul_i32 s1, s2, s9
	s_mul_i32 s0, s10, s3
	s_lshl_b32 s1, s1, 6
	s_add_i32 s0, s0, s1
	s_ashr_i32 s1, s0, 31
	s_lshl_b64 s[0:1], s[0:1], 2
	s_add_u32 s10, s4, s0
	s_addc_u32 s11, s5, s1
	v_cmp_eq_u32_e64 s[0:1], 0, v2
	v_mbcnt_lo_u32_b32 v2, -1, 0
	s_lshl_b32 s8, s8, 8
	s_mov_b64 s[12:13], 0
	v_mov_b32_e32 v3, 0
	s_movk_i32 s98, 0x204
	v_mbcnt_hi_u32_b32 v7, -1, v2
	s_barrier
                                        ; implicit-def: $sgpr4_sgpr5
	s_branch .LBB53_5
.LBB53_3:                               ;   in Loop: Header=BB53_5 Depth=1
	s_or_b64 exec, exec, s[14:15]
	s_waitcnt lgkmcnt(0)
	s_barrier
	ds_read_b32 v10, v6
	s_waitcnt lgkmcnt(0)
	s_barrier
	ds_bpermute_b32 v2, v2, v10
	v_cmp_ne_u32_e32 vcc, 0, v10
	s_waitcnt lgkmcnt(0)
	v_cmp_ne_u32_e64 s[4:5], 0, v2
	s_and_b64 s[4:5], vcc, s[4:5]
	s_nop 0
	v_cndmask_b32_e64 v2, 0, 1, s[4:5]
	ds_bpermute_b32 v2, v4, v2
	s_waitcnt lgkmcnt(0)
	v_cmp_ne_u32_e32 vcc, 0, v2
	s_and_b64 s[4:5], vcc, s[4:5]
	v_cndmask_b32_e64 v2, 0, 1, s[4:5]
	ds_bpermute_b32 v2, v5, v2
	s_waitcnt lgkmcnt(0)
	v_cmp_ne_u32_e32 vcc, 0, v2
	s_and_b64 s[4:5], vcc, s[4:5]
	v_cndmask_b32_e64 v2, 0, 1, s[4:5]
	ds_bpermute_b32 v2, v8, v2
	s_waitcnt lgkmcnt(0)
	v_cmp_ne_u32_e32 vcc, 0, v2
	s_and_b64 s[4:5], vcc, s[4:5]
	v_cndmask_b32_e64 v2, 0, 1, s[4:5]
	ds_bpermute_b32 v2, v9, v2
	s_xor_b64 s[4:5], s[4:5], -1
	s_waitcnt lgkmcnt(0)
	v_cmp_eq_u32_e32 vcc, 0, v2
	s_or_b64 s[4:5], vcc, s[4:5]
.LBB53_4:                               ;   in Loop: Header=BB53_5 Depth=1
	s_and_b64 s[14:15], exec, s[4:5]
	s_or_b64 s[12:13], s[14:15], s[12:13]
	v_mov_b32_e32 v2, s8
	s_mov_b32 s8, s99
	s_andn2_b64 exec, exec, s[12:13]
	s_cbranch_execz .LBB53_260
.LBB53_5:                               ; =>This Inner Loop Header: Depth=1
	s_add_i32 s99, s8, 0xffffff00
	s_or_b64 s[4:5], s[4:5], exec
	s_cmp_lt_i32 s99, 0
	s_cbranch_scc1 .LBB53_4
; %bb.6:                                ;   in Loop: Header=BB53_5 Depth=1
	s_lshr_b32 s4, s99, 1
	v_add_u32_e32 v2, s4, v0
	v_lshl_add_u64 v[4:5], v[2:3], 2, s[10:11]
	global_load_dword v4, v[4:5], off
	v_mov_b32_e32 v5, 0
	s_waitcnt vmcnt(0)
	v_cmp_class_f16_e64 s[4:5], v4, s98
	v_cmp_class_f16_sdwa s[14:15], v4, s98 src0_sel:WORD_1 src1_sel:DWORD
	s_and_b64 s[14:15], s[4:5], s[14:15]
	s_and_saveexec_b64 s[4:5], s[14:15]
	s_cbranch_execz .LBB53_258
; %bb.7:                                ;   in Loop: Header=BB53_5 Depth=1
	v_add_u32_e32 v4, s9, v2
	v_ashrrev_i32_e32 v5, 31, v4
	v_lshl_add_u64 v[8:9], v[4:5], 2, s[10:11]
	global_load_dword v2, v[8:9], off
	v_mov_b32_e32 v5, 0
	s_waitcnt vmcnt(0)
	v_cmp_class_f16_e64 s[16:17], v2, s98
	s_and_saveexec_b64 s[14:15], s[16:17]
	s_cbranch_execz .LBB53_257
; %bb.8:                                ;   in Loop: Header=BB53_5 Depth=1
	v_cmp_class_f16_sdwa s[18:19], v2, s98 src0_sel:WORD_1 src1_sel:DWORD
	v_mov_b32_e32 v5, 0
	s_and_saveexec_b64 s[16:17], s[18:19]
	s_cbranch_execz .LBB53_256
; %bb.9:                                ;   in Loop: Header=BB53_5 Depth=1
	v_add_u32_e32 v4, s9, v4
	v_ashrrev_i32_e32 v5, 31, v4
	v_lshl_add_u64 v[8:9], v[4:5], 2, s[10:11]
	global_load_dword v2, v[8:9], off
	v_mov_b32_e32 v5, 0
	s_waitcnt vmcnt(0)
	v_cmp_class_f16_e64 s[20:21], v2, s98
	s_and_saveexec_b64 s[18:19], s[20:21]
	s_cbranch_execz .LBB53_255
; %bb.10:                               ;   in Loop: Header=BB53_5 Depth=1
	v_cmp_class_f16_sdwa s[22:23], v2, s98 src0_sel:WORD_1 src1_sel:DWORD
	v_mov_b32_e32 v5, 0
	s_and_saveexec_b64 s[20:21], s[22:23]
	s_cbranch_execz .LBB53_254
; %bb.11:                               ;   in Loop: Header=BB53_5 Depth=1
	v_add_u32_e32 v4, s9, v4
	v_ashrrev_i32_e32 v5, 31, v4
	v_lshl_add_u64 v[8:9], v[4:5], 2, s[10:11]
	global_load_dword v2, v[8:9], off
	v_mov_b32_e32 v5, 0
	s_waitcnt vmcnt(0)
	v_cmp_class_f16_e64 s[24:25], v2, s98
	s_and_saveexec_b64 s[22:23], s[24:25]
	s_cbranch_execz .LBB53_253
; %bb.12:                               ;   in Loop: Header=BB53_5 Depth=1
	v_cmp_class_f16_sdwa s[26:27], v2, s98 src0_sel:WORD_1 src1_sel:DWORD
	v_mov_b32_e32 v5, 0
	s_and_saveexec_b64 s[24:25], s[26:27]
	s_cbranch_execz .LBB53_252
; %bb.13:                               ;   in Loop: Header=BB53_5 Depth=1
	;; [unrolled: 15-line block ×19, first 2 shown]
	v_add_u32_e32 v4, s9, v4
	v_ashrrev_i32_e32 v5, 31, v4
	v_lshl_add_u64 v[8:9], v[4:5], 2, s[10:11]
	global_load_dword v2, v[8:9], off
	v_mov_b32_e32 v5, 0
	s_waitcnt vmcnt(0)
	v_cmp_class_f16_e64 vcc, v2, s98
	s_mov_b64 s[96:97], exec
                                        ; implicit-def: $vgpr14 : SGPR spill to VGPR lane
	v_writelane_b32 v14, s96, 0
	s_and_b64 vcc, s[96:97], vcc
	s_nop 0
	v_writelane_b32 v14, s97, 1
	s_mov_b64 exec, vcc
	s_cbranch_execz .LBB53_217
; %bb.48:                               ;   in Loop: Header=BB53_5 Depth=1
	v_mov_b32_e32 v5, 0
	v_cmp_class_f16_sdwa s[96:97], v2, s98 src0_sel:WORD_1 src1_sel:DWORD
	s_mov_b64 vcc, exec
	s_nop 0
	v_writelane_b32 v14, vcc_lo, 2
	s_and_b64 s[96:97], vcc, s[96:97]
	s_nop 0
	v_writelane_b32 v14, vcc_hi, 3
	s_mov_b64 exec, s[96:97]
	s_cbranch_execz .LBB53_216
; %bb.49:                               ;   in Loop: Header=BB53_5 Depth=1
	v_add_u32_e32 v4, s9, v4
	v_ashrrev_i32_e32 v5, 31, v4
	v_lshl_add_u64 v[8:9], v[4:5], 2, s[10:11]
	global_load_dword v2, v[8:9], off
	v_mov_b32_e32 v5, 0
	s_waitcnt vmcnt(0)
	v_cmp_class_f16_e64 s[96:97], v2, s98
	s_mov_b64 vcc, exec
	v_writelane_b32 v14, vcc_lo, 4
	s_and_b64 s[96:97], vcc, s[96:97]
	s_nop 0
	v_writelane_b32 v14, vcc_hi, 5
	s_mov_b64 exec, s[96:97]
	s_cbranch_execz .LBB53_215
; %bb.50:                               ;   in Loop: Header=BB53_5 Depth=1
	v_mov_b32_e32 v5, 0
	v_cmp_class_f16_sdwa s[96:97], v2, s98 src0_sel:WORD_1 src1_sel:DWORD
	s_mov_b64 vcc, exec
	s_nop 0
	v_writelane_b32 v14, vcc_lo, 6
	s_and_b64 s[96:97], vcc, s[96:97]
	s_nop 0
	v_writelane_b32 v14, vcc_hi, 7
	s_mov_b64 exec, s[96:97]
	s_cbranch_execz .LBB53_214
; %bb.51:                               ;   in Loop: Header=BB53_5 Depth=1
	v_add_u32_e32 v4, s9, v4
	v_ashrrev_i32_e32 v5, 31, v4
	v_lshl_add_u64 v[8:9], v[4:5], 2, s[10:11]
	global_load_dword v2, v[8:9], off
	v_mov_b32_e32 v5, 0
	s_waitcnt vmcnt(0)
	v_cmp_class_f16_e64 s[96:97], v2, s98
	s_mov_b64 vcc, exec
	v_writelane_b32 v14, vcc_lo, 8
	s_and_b64 s[96:97], vcc, s[96:97]
	s_nop 0
	v_writelane_b32 v14, vcc_hi, 9
	s_mov_b64 exec, s[96:97]
	;; [unrolled: 26-line block ×15, first 2 shown]
	s_cbranch_execz .LBB53_187
; %bb.78:                               ;   in Loop: Header=BB53_5 Depth=1
	v_mov_b32_e32 v5, 0
	v_cmp_class_f16_sdwa s[96:97], v2, s98 src0_sel:WORD_1 src1_sel:DWORD
	s_mov_b64 vcc, exec
	s_nop 0
	v_writelane_b32 v14, vcc_lo, 62
	s_and_b64 s[96:97], vcc, s[96:97]
	s_nop 0
	v_writelane_b32 v14, vcc_hi, 63
	s_mov_b64 exec, s[96:97]
	s_cbranch_execz .LBB53_186
; %bb.79:                               ;   in Loop: Header=BB53_5 Depth=1
	v_add_u32_e32 v4, s9, v4
	v_ashrrev_i32_e32 v5, 31, v4
	v_lshl_add_u64 v[8:9], v[4:5], 2, s[10:11]
	global_load_dword v2, v[8:9], off
	v_mov_b32_e32 v5, 0
	s_waitcnt vmcnt(0)
	v_cmp_class_f16_e64 s[96:97], v2, s98
	s_mov_b64 vcc, exec
                                        ; implicit-def: $vgpr13 : SGPR spill to VGPR lane
	v_writelane_b32 v13, vcc_lo, 0
	s_and_b64 s[96:97], vcc, s[96:97]
	s_nop 0
	v_writelane_b32 v13, vcc_hi, 1
	s_mov_b64 exec, s[96:97]
	s_cbranch_execz .LBB53_185
; %bb.80:                               ;   in Loop: Header=BB53_5 Depth=1
	v_mov_b32_e32 v5, 0
	v_cmp_class_f16_sdwa s[96:97], v2, s98 src0_sel:WORD_1 src1_sel:DWORD
	s_mov_b64 vcc, exec
	s_nop 0
	v_writelane_b32 v13, vcc_lo, 2
	s_and_b64 s[96:97], vcc, s[96:97]
	s_nop 0
	v_writelane_b32 v13, vcc_hi, 3
	s_mov_b64 exec, s[96:97]
	s_cbranch_execz .LBB53_184
; %bb.81:                               ;   in Loop: Header=BB53_5 Depth=1
	v_add_u32_e32 v4, s9, v4
	v_ashrrev_i32_e32 v5, 31, v4
	v_lshl_add_u64 v[8:9], v[4:5], 2, s[10:11]
	global_load_dword v2, v[8:9], off
	v_mov_b32_e32 v5, 0
	s_waitcnt vmcnt(0)
	v_cmp_class_f16_e64 s[96:97], v2, s98
	s_mov_b64 vcc, exec
	v_writelane_b32 v13, vcc_lo, 4
	s_and_b64 s[96:97], vcc, s[96:97]
	s_nop 0
	v_writelane_b32 v13, vcc_hi, 5
	s_mov_b64 exec, s[96:97]
	s_cbranch_execz .LBB53_183
; %bb.82:                               ;   in Loop: Header=BB53_5 Depth=1
	v_mov_b32_e32 v5, 0
	v_cmp_class_f16_sdwa s[96:97], v2, s98 src0_sel:WORD_1 src1_sel:DWORD
	s_mov_b64 vcc, exec
	s_nop 0
	v_writelane_b32 v13, vcc_lo, 6
	s_and_b64 s[96:97], vcc, s[96:97]
	s_nop 0
	v_writelane_b32 v13, vcc_hi, 7
	s_mov_b64 exec, s[96:97]
	s_cbranch_execz .LBB53_182
; %bb.83:                               ;   in Loop: Header=BB53_5 Depth=1
	v_add_u32_e32 v4, s9, v4
	v_ashrrev_i32_e32 v5, 31, v4
	v_lshl_add_u64 v[8:9], v[4:5], 2, s[10:11]
	global_load_dword v2, v[8:9], off
	v_mov_b32_e32 v5, 0
	s_waitcnt vmcnt(0)
	v_cmp_class_f16_e64 s[96:97], v2, s98
	s_mov_b64 vcc, exec
	;; [unrolled: 26-line block ×10, first 2 shown]
	v_writelane_b32 v13, vcc_lo, 40
	s_and_b64 s[96:97], vcc, s[96:97]
	s_nop 0
	v_writelane_b32 v13, vcc_hi, 41
	s_mov_b64 exec, s[96:97]
	s_cbranch_execz .LBB53_165
; %bb.100:                              ;   in Loop: Header=BB53_5 Depth=1
	v_mov_b32_e32 v5, 0
	v_cmp_class_f16_sdwa s[96:97], v2, s98 src0_sel:WORD_1 src1_sel:DWORD
	s_mov_b64 vcc, exec
	s_nop 0
	v_writelane_b32 v13, vcc_lo, 42
	s_and_b64 s[96:97], vcc, s[96:97]
	s_nop 0
	v_writelane_b32 v13, vcc_hi, 43
	s_mov_b64 exec, s[96:97]
	s_cbranch_execz .LBB53_164
; %bb.101:                              ;   in Loop: Header=BB53_5 Depth=1
	v_add_u32_e32 v4, s9, v4
	v_ashrrev_i32_e32 v5, 31, v4
	v_lshl_add_u64 v[8:9], v[4:5], 2, s[10:11]
	global_load_dword v2, v[8:9], off
	v_mov_b32_e32 v5, 0
	s_waitcnt vmcnt(0)
	v_cmp_class_f16_e64 s[96:97], v2, s98
	s_mov_b64 vcc, exec
	v_writelane_b32 v13, vcc_lo, 44
	s_and_b64 s[96:97], vcc, s[96:97]
	s_nop 0
	v_writelane_b32 v13, vcc_hi, 45
	s_mov_b64 exec, s[96:97]
	s_cbranch_execz .LBB53_163
; %bb.102:                              ;   in Loop: Header=BB53_5 Depth=1
	v_mov_b32_e32 v5, 0
	v_cmp_class_f16_sdwa s[96:97], v2, s98 src0_sel:WORD_1 src1_sel:DWORD
	s_mov_b64 vcc, exec
	s_nop 0
	v_writelane_b32 v13, vcc_lo, 46
	s_and_b64 s[96:97], vcc, s[96:97]
	s_nop 0
	v_writelane_b32 v13, vcc_hi, 47
	s_mov_b64 exec, s[96:97]
	s_cbranch_execz .LBB53_162
; %bb.103:                              ;   in Loop: Header=BB53_5 Depth=1
	v_add_u32_e32 v4, s9, v4
	v_ashrrev_i32_e32 v5, 31, v4
	v_lshl_add_u64 v[8:9], v[4:5], 2, s[10:11]
	global_load_dword v2, v[8:9], off
	v_mov_b32_e32 v5, 0
	s_waitcnt vmcnt(0)
	v_cmp_class_f16_e64 s[96:97], v2, s98
	s_mov_b64 vcc, exec
	;; [unrolled: 26-line block ×6, first 2 shown]
                                        ; implicit-def: $vgpr12 : SGPR spill to VGPR lane
	v_writelane_b32 v12, vcc_lo, 0
	s_and_b64 s[96:97], vcc, s[96:97]
	s_nop 0
	v_writelane_b32 v12, vcc_hi, 1
	s_mov_b64 exec, s[96:97]
	s_cbranch_execz .LBB53_153
; %bb.112:                              ;   in Loop: Header=BB53_5 Depth=1
	v_mov_b32_e32 v5, 0
	v_cmp_class_f16_sdwa s[96:97], v2, s98 src0_sel:WORD_1 src1_sel:DWORD
	s_mov_b64 vcc, exec
	s_nop 0
	v_writelane_b32 v12, vcc_lo, 2
	s_and_b64 s[96:97], vcc, s[96:97]
	s_nop 0
	v_writelane_b32 v12, vcc_hi, 3
	s_mov_b64 exec, s[96:97]
	s_cbranch_execz .LBB53_152
; %bb.113:                              ;   in Loop: Header=BB53_5 Depth=1
	v_add_u32_e32 v4, s9, v4
	v_ashrrev_i32_e32 v5, 31, v4
	v_lshl_add_u64 v[8:9], v[4:5], 2, s[10:11]
	global_load_dword v2, v[8:9], off
	v_mov_b32_e32 v5, 0
	s_waitcnt vmcnt(0)
	v_cmp_class_f16_e64 s[96:97], v2, s98
	s_mov_b64 vcc, exec
	v_writelane_b32 v12, vcc_lo, 4
	s_and_b64 s[96:97], vcc, s[96:97]
	s_nop 0
	v_writelane_b32 v12, vcc_hi, 5
	s_mov_b64 exec, s[96:97]
	s_cbranch_execz .LBB53_151
; %bb.114:                              ;   in Loop: Header=BB53_5 Depth=1
	v_mov_b32_e32 v5, 0
	v_cmp_class_f16_sdwa s[96:97], v2, s98 src0_sel:WORD_1 src1_sel:DWORD
	s_mov_b64 vcc, exec
	s_nop 0
	v_writelane_b32 v12, vcc_lo, 6
	s_and_b64 s[96:97], vcc, s[96:97]
	s_nop 0
	v_writelane_b32 v12, vcc_hi, 7
	s_mov_b64 exec, s[96:97]
	s_cbranch_execz .LBB53_150
; %bb.115:                              ;   in Loop: Header=BB53_5 Depth=1
	v_add_u32_e32 v4, s9, v4
	v_ashrrev_i32_e32 v5, 31, v4
	v_lshl_add_u64 v[8:9], v[4:5], 2, s[10:11]
	global_load_dword v2, v[8:9], off
	v_mov_b32_e32 v5, 0
	s_waitcnt vmcnt(0)
	v_cmp_class_f16_e64 s[96:97], v2, s98
	s_mov_b64 vcc, exec
	;; [unrolled: 26-line block ×10, first 2 shown]
	v_writelane_b32 v12, vcc_lo, 40
	s_and_b64 s[96:97], vcc, s[96:97]
	s_nop 0
	v_writelane_b32 v12, vcc_hi, 41
	s_mov_b64 exec, s[96:97]
; %bb.132:                              ;   in Loop: Header=BB53_5 Depth=1
	v_cmp_class_f16_sdwa s[96:97], v2, s98 src0_sel:WORD_1 src1_sel:DWORD
	s_nop 1
	v_cndmask_b32_e64 v5, 0, 1, s[96:97]
; %bb.133:                              ;   in Loop: Header=BB53_5 Depth=1
	v_readlane_b32 s96, v12, 40
	v_readlane_b32 s97, v12, 41
	s_or_b64 exec, exec, s[96:97]
.LBB53_134:                             ;   in Loop: Header=BB53_5 Depth=1
	v_readlane_b32 s96, v12, 38
	v_readlane_b32 s97, v12, 39
	s_or_b64 exec, exec, s[96:97]
.LBB53_135:                             ;   in Loop: Header=BB53_5 Depth=1
	v_readlane_b32 s96, v12, 36
	v_readlane_b32 s97, v12, 37
	s_or_b64 exec, exec, s[96:97]
.LBB53_136:                             ;   in Loop: Header=BB53_5 Depth=1
	v_readlane_b32 s96, v12, 34
	v_readlane_b32 s97, v12, 35
	s_or_b64 exec, exec, s[96:97]
.LBB53_137:                             ;   in Loop: Header=BB53_5 Depth=1
	v_readlane_b32 s96, v12, 32
	v_readlane_b32 s97, v12, 33
	s_or_b64 exec, exec, s[96:97]
.LBB53_138:                             ;   in Loop: Header=BB53_5 Depth=1
	v_readlane_b32 s96, v12, 30
	v_readlane_b32 s97, v12, 31
	s_or_b64 exec, exec, s[96:97]
.LBB53_139:                             ;   in Loop: Header=BB53_5 Depth=1
	v_readlane_b32 s96, v12, 28
	v_readlane_b32 s97, v12, 29
	s_or_b64 exec, exec, s[96:97]
.LBB53_140:                             ;   in Loop: Header=BB53_5 Depth=1
	v_readlane_b32 s96, v12, 26
	v_readlane_b32 s97, v12, 27
	s_or_b64 exec, exec, s[96:97]
.LBB53_141:                             ;   in Loop: Header=BB53_5 Depth=1
	v_readlane_b32 s96, v12, 24
	v_readlane_b32 s97, v12, 25
	s_or_b64 exec, exec, s[96:97]
.LBB53_142:                             ;   in Loop: Header=BB53_5 Depth=1
	v_readlane_b32 s96, v12, 22
	v_readlane_b32 s97, v12, 23
	s_or_b64 exec, exec, s[96:97]
.LBB53_143:                             ;   in Loop: Header=BB53_5 Depth=1
	v_readlane_b32 s96, v12, 20
	v_readlane_b32 s97, v12, 21
	s_or_b64 exec, exec, s[96:97]
.LBB53_144:                             ;   in Loop: Header=BB53_5 Depth=1
	v_readlane_b32 s96, v12, 18
	v_readlane_b32 s97, v12, 19
	s_or_b64 exec, exec, s[96:97]
.LBB53_145:                             ;   in Loop: Header=BB53_5 Depth=1
	v_readlane_b32 s96, v12, 16
	v_readlane_b32 s97, v12, 17
	s_or_b64 exec, exec, s[96:97]
.LBB53_146:                             ;   in Loop: Header=BB53_5 Depth=1
	v_readlane_b32 s96, v12, 14
	v_readlane_b32 s97, v12, 15
	s_or_b64 exec, exec, s[96:97]
.LBB53_147:                             ;   in Loop: Header=BB53_5 Depth=1
	v_readlane_b32 s96, v12, 12
	v_readlane_b32 s97, v12, 13
	s_or_b64 exec, exec, s[96:97]
.LBB53_148:                             ;   in Loop: Header=BB53_5 Depth=1
	v_readlane_b32 s96, v12, 10
	v_readlane_b32 s97, v12, 11
	s_or_b64 exec, exec, s[96:97]
.LBB53_149:                             ;   in Loop: Header=BB53_5 Depth=1
	v_readlane_b32 s96, v12, 8
	v_readlane_b32 s97, v12, 9
	s_or_b64 exec, exec, s[96:97]
.LBB53_150:                             ;   in Loop: Header=BB53_5 Depth=1
	v_readlane_b32 s96, v12, 6
	v_readlane_b32 s97, v12, 7
	s_or_b64 exec, exec, s[96:97]
.LBB53_151:                             ;   in Loop: Header=BB53_5 Depth=1
	v_readlane_b32 s96, v12, 4
	v_readlane_b32 s97, v12, 5
	s_or_b64 exec, exec, s[96:97]
.LBB53_152:                             ;   in Loop: Header=BB53_5 Depth=1
	v_readlane_b32 s96, v12, 2
	v_readlane_b32 s97, v12, 3
	s_or_b64 exec, exec, s[96:97]
.LBB53_153:                             ;   in Loop: Header=BB53_5 Depth=1
	v_readlane_b32 s96, v12, 0
	v_readlane_b32 s97, v12, 1
	s_or_b64 exec, exec, s[96:97]
.LBB53_154:                             ;   in Loop: Header=BB53_5 Depth=1
	v_readlane_b32 s96, v13, 62
	v_readlane_b32 s97, v13, 63
	s_or_b64 exec, exec, s[96:97]
.LBB53_155:                             ;   in Loop: Header=BB53_5 Depth=1
	v_readlane_b32 s96, v13, 60
	v_readlane_b32 s97, v13, 61
	s_or_b64 exec, exec, s[96:97]
.LBB53_156:                             ;   in Loop: Header=BB53_5 Depth=1
	v_readlane_b32 s96, v13, 58
	v_readlane_b32 s97, v13, 59
	s_or_b64 exec, exec, s[96:97]
.LBB53_157:                             ;   in Loop: Header=BB53_5 Depth=1
	v_readlane_b32 s96, v13, 56
	v_readlane_b32 s97, v13, 57
	s_or_b64 exec, exec, s[96:97]
.LBB53_158:                             ;   in Loop: Header=BB53_5 Depth=1
	v_readlane_b32 s96, v13, 54
	v_readlane_b32 s97, v13, 55
	s_or_b64 exec, exec, s[96:97]
.LBB53_159:                             ;   in Loop: Header=BB53_5 Depth=1
	v_readlane_b32 s96, v13, 52
	v_readlane_b32 s97, v13, 53
	s_or_b64 exec, exec, s[96:97]
.LBB53_160:                             ;   in Loop: Header=BB53_5 Depth=1
	v_readlane_b32 s96, v13, 50
	v_readlane_b32 s97, v13, 51
	s_or_b64 exec, exec, s[96:97]
.LBB53_161:                             ;   in Loop: Header=BB53_5 Depth=1
	v_readlane_b32 s96, v13, 48
	v_readlane_b32 s97, v13, 49
	s_or_b64 exec, exec, s[96:97]
.LBB53_162:                             ;   in Loop: Header=BB53_5 Depth=1
	v_readlane_b32 s96, v13, 46
	v_readlane_b32 s97, v13, 47
	s_or_b64 exec, exec, s[96:97]
.LBB53_163:                             ;   in Loop: Header=BB53_5 Depth=1
	v_readlane_b32 s96, v13, 44
	v_readlane_b32 s97, v13, 45
	s_or_b64 exec, exec, s[96:97]
.LBB53_164:                             ;   in Loop: Header=BB53_5 Depth=1
	v_readlane_b32 s96, v13, 42
	v_readlane_b32 s97, v13, 43
	s_or_b64 exec, exec, s[96:97]
.LBB53_165:                             ;   in Loop: Header=BB53_5 Depth=1
	v_readlane_b32 s96, v13, 40
	v_readlane_b32 s97, v13, 41
	s_or_b64 exec, exec, s[96:97]
.LBB53_166:                             ;   in Loop: Header=BB53_5 Depth=1
	v_readlane_b32 s96, v13, 38
	v_readlane_b32 s97, v13, 39
	s_or_b64 exec, exec, s[96:97]
.LBB53_167:                             ;   in Loop: Header=BB53_5 Depth=1
	v_readlane_b32 s96, v13, 36
	v_readlane_b32 s97, v13, 37
	s_or_b64 exec, exec, s[96:97]
.LBB53_168:                             ;   in Loop: Header=BB53_5 Depth=1
	v_readlane_b32 s96, v13, 34
	v_readlane_b32 s97, v13, 35
	s_or_b64 exec, exec, s[96:97]
.LBB53_169:                             ;   in Loop: Header=BB53_5 Depth=1
	v_readlane_b32 s96, v13, 32
	v_readlane_b32 s97, v13, 33
	s_or_b64 exec, exec, s[96:97]
.LBB53_170:                             ;   in Loop: Header=BB53_5 Depth=1
	v_readlane_b32 s96, v13, 30
	v_readlane_b32 s97, v13, 31
	s_or_b64 exec, exec, s[96:97]
.LBB53_171:                             ;   in Loop: Header=BB53_5 Depth=1
	v_readlane_b32 s96, v13, 28
	v_readlane_b32 s97, v13, 29
	s_or_b64 exec, exec, s[96:97]
.LBB53_172:                             ;   in Loop: Header=BB53_5 Depth=1
	v_readlane_b32 s96, v13, 26
	v_readlane_b32 s97, v13, 27
	s_or_b64 exec, exec, s[96:97]
.LBB53_173:                             ;   in Loop: Header=BB53_5 Depth=1
	v_readlane_b32 s96, v13, 24
	v_readlane_b32 s97, v13, 25
	s_or_b64 exec, exec, s[96:97]
.LBB53_174:                             ;   in Loop: Header=BB53_5 Depth=1
	v_readlane_b32 s96, v13, 22
	v_readlane_b32 s97, v13, 23
	s_or_b64 exec, exec, s[96:97]
.LBB53_175:                             ;   in Loop: Header=BB53_5 Depth=1
	v_readlane_b32 s96, v13, 20
	v_readlane_b32 s97, v13, 21
	s_or_b64 exec, exec, s[96:97]
.LBB53_176:                             ;   in Loop: Header=BB53_5 Depth=1
	v_readlane_b32 s96, v13, 18
	v_readlane_b32 s97, v13, 19
	s_or_b64 exec, exec, s[96:97]
.LBB53_177:                             ;   in Loop: Header=BB53_5 Depth=1
	v_readlane_b32 s96, v13, 16
	v_readlane_b32 s97, v13, 17
	s_or_b64 exec, exec, s[96:97]
.LBB53_178:                             ;   in Loop: Header=BB53_5 Depth=1
	v_readlane_b32 s96, v13, 14
	v_readlane_b32 s97, v13, 15
	s_or_b64 exec, exec, s[96:97]
.LBB53_179:                             ;   in Loop: Header=BB53_5 Depth=1
	v_readlane_b32 s96, v13, 12
	v_readlane_b32 s97, v13, 13
	s_or_b64 exec, exec, s[96:97]
.LBB53_180:                             ;   in Loop: Header=BB53_5 Depth=1
	v_readlane_b32 s96, v13, 10
	v_readlane_b32 s97, v13, 11
	s_or_b64 exec, exec, s[96:97]
.LBB53_181:                             ;   in Loop: Header=BB53_5 Depth=1
	v_readlane_b32 s96, v13, 8
	v_readlane_b32 s97, v13, 9
	s_or_b64 exec, exec, s[96:97]
.LBB53_182:                             ;   in Loop: Header=BB53_5 Depth=1
	v_readlane_b32 s96, v13, 6
	v_readlane_b32 s97, v13, 7
	s_or_b64 exec, exec, s[96:97]
.LBB53_183:                             ;   in Loop: Header=BB53_5 Depth=1
	v_readlane_b32 s96, v13, 4
	v_readlane_b32 s97, v13, 5
	s_or_b64 exec, exec, s[96:97]
.LBB53_184:                             ;   in Loop: Header=BB53_5 Depth=1
	v_readlane_b32 s96, v13, 2
	v_readlane_b32 s97, v13, 3
	s_or_b64 exec, exec, s[96:97]
.LBB53_185:                             ;   in Loop: Header=BB53_5 Depth=1
	v_readlane_b32 s96, v13, 0
	v_readlane_b32 s97, v13, 1
	s_or_b64 exec, exec, s[96:97]
.LBB53_186:                             ;   in Loop: Header=BB53_5 Depth=1
	v_readlane_b32 s96, v14, 62
	v_readlane_b32 s97, v14, 63
	s_or_b64 exec, exec, s[96:97]
.LBB53_187:                             ;   in Loop: Header=BB53_5 Depth=1
	v_readlane_b32 s96, v14, 60
	v_readlane_b32 s97, v14, 61
	s_or_b64 exec, exec, s[96:97]
.LBB53_188:                             ;   in Loop: Header=BB53_5 Depth=1
	v_readlane_b32 s96, v14, 58
	v_readlane_b32 s97, v14, 59
	s_or_b64 exec, exec, s[96:97]
.LBB53_189:                             ;   in Loop: Header=BB53_5 Depth=1
	v_readlane_b32 s96, v14, 56
	v_readlane_b32 s97, v14, 57
	s_or_b64 exec, exec, s[96:97]
.LBB53_190:                             ;   in Loop: Header=BB53_5 Depth=1
	v_readlane_b32 s96, v14, 54
	v_readlane_b32 s97, v14, 55
	s_or_b64 exec, exec, s[96:97]
.LBB53_191:                             ;   in Loop: Header=BB53_5 Depth=1
	v_readlane_b32 s96, v14, 52
	v_readlane_b32 s97, v14, 53
	s_or_b64 exec, exec, s[96:97]
.LBB53_192:                             ;   in Loop: Header=BB53_5 Depth=1
	v_readlane_b32 s96, v14, 50
	v_readlane_b32 s97, v14, 51
	s_or_b64 exec, exec, s[96:97]
.LBB53_193:                             ;   in Loop: Header=BB53_5 Depth=1
	v_readlane_b32 s96, v14, 48
	v_readlane_b32 s97, v14, 49
	s_or_b64 exec, exec, s[96:97]
.LBB53_194:                             ;   in Loop: Header=BB53_5 Depth=1
	v_readlane_b32 s96, v14, 46
	v_readlane_b32 s97, v14, 47
	s_or_b64 exec, exec, s[96:97]
.LBB53_195:                             ;   in Loop: Header=BB53_5 Depth=1
	v_readlane_b32 s96, v14, 44
	v_readlane_b32 s97, v14, 45
	s_or_b64 exec, exec, s[96:97]
.LBB53_196:                             ;   in Loop: Header=BB53_5 Depth=1
	v_readlane_b32 s96, v14, 42
	v_readlane_b32 s97, v14, 43
	s_or_b64 exec, exec, s[96:97]
.LBB53_197:                             ;   in Loop: Header=BB53_5 Depth=1
	v_readlane_b32 s96, v14, 40
	v_readlane_b32 s97, v14, 41
	s_or_b64 exec, exec, s[96:97]
.LBB53_198:                             ;   in Loop: Header=BB53_5 Depth=1
	v_readlane_b32 s96, v14, 38
	v_readlane_b32 s97, v14, 39
	s_or_b64 exec, exec, s[96:97]
.LBB53_199:                             ;   in Loop: Header=BB53_5 Depth=1
	v_readlane_b32 s96, v14, 36
	v_readlane_b32 s97, v14, 37
	s_or_b64 exec, exec, s[96:97]
.LBB53_200:                             ;   in Loop: Header=BB53_5 Depth=1
	v_readlane_b32 s96, v14, 34
	v_readlane_b32 s97, v14, 35
	s_or_b64 exec, exec, s[96:97]
.LBB53_201:                             ;   in Loop: Header=BB53_5 Depth=1
	v_readlane_b32 s96, v14, 32
	v_readlane_b32 s97, v14, 33
	s_or_b64 exec, exec, s[96:97]
.LBB53_202:                             ;   in Loop: Header=BB53_5 Depth=1
	v_readlane_b32 s96, v14, 30
	v_readlane_b32 s97, v14, 31
	s_or_b64 exec, exec, s[96:97]
.LBB53_203:                             ;   in Loop: Header=BB53_5 Depth=1
	v_readlane_b32 s96, v14, 28
	v_readlane_b32 s97, v14, 29
	s_or_b64 exec, exec, s[96:97]
.LBB53_204:                             ;   in Loop: Header=BB53_5 Depth=1
	v_readlane_b32 s96, v14, 26
	v_readlane_b32 s97, v14, 27
	s_or_b64 exec, exec, s[96:97]
.LBB53_205:                             ;   in Loop: Header=BB53_5 Depth=1
	v_readlane_b32 s96, v14, 24
	v_readlane_b32 s97, v14, 25
	s_or_b64 exec, exec, s[96:97]
.LBB53_206:                             ;   in Loop: Header=BB53_5 Depth=1
	v_readlane_b32 s96, v14, 22
	v_readlane_b32 s97, v14, 23
	s_or_b64 exec, exec, s[96:97]
.LBB53_207:                             ;   in Loop: Header=BB53_5 Depth=1
	v_readlane_b32 s96, v14, 20
	v_readlane_b32 s97, v14, 21
	s_or_b64 exec, exec, s[96:97]
.LBB53_208:                             ;   in Loop: Header=BB53_5 Depth=1
	v_readlane_b32 s96, v14, 18
	v_readlane_b32 s97, v14, 19
	s_or_b64 exec, exec, s[96:97]
.LBB53_209:                             ;   in Loop: Header=BB53_5 Depth=1
	v_readlane_b32 s96, v14, 16
	v_readlane_b32 s97, v14, 17
	s_or_b64 exec, exec, s[96:97]
.LBB53_210:                             ;   in Loop: Header=BB53_5 Depth=1
	v_readlane_b32 s96, v14, 14
	v_readlane_b32 s97, v14, 15
	s_or_b64 exec, exec, s[96:97]
.LBB53_211:                             ;   in Loop: Header=BB53_5 Depth=1
	v_readlane_b32 s96, v14, 12
	v_readlane_b32 s97, v14, 13
	s_or_b64 exec, exec, s[96:97]
.LBB53_212:                             ;   in Loop: Header=BB53_5 Depth=1
	v_readlane_b32 s96, v14, 10
	v_readlane_b32 s97, v14, 11
	s_or_b64 exec, exec, s[96:97]
.LBB53_213:                             ;   in Loop: Header=BB53_5 Depth=1
	v_readlane_b32 s96, v14, 8
	v_readlane_b32 s97, v14, 9
	s_or_b64 exec, exec, s[96:97]
.LBB53_214:                             ;   in Loop: Header=BB53_5 Depth=1
	v_readlane_b32 s96, v14, 6
	v_readlane_b32 s97, v14, 7
	s_or_b64 exec, exec, s[96:97]
.LBB53_215:                             ;   in Loop: Header=BB53_5 Depth=1
	v_readlane_b32 s96, v14, 4
	v_readlane_b32 s97, v14, 5
	s_or_b64 exec, exec, s[96:97]
.LBB53_216:                             ;   in Loop: Header=BB53_5 Depth=1
	v_readlane_b32 s96, v14, 2
	v_readlane_b32 s97, v14, 3
	s_or_b64 exec, exec, s[96:97]
.LBB53_217:                             ;   in Loop: Header=BB53_5 Depth=1
	v_readlane_b32 s96, v14, 0
	v_readlane_b32 s97, v14, 1
	s_or_b64 exec, exec, s[96:97]
.LBB53_218:                             ;   in Loop: Header=BB53_5 Depth=1
	s_or_b64 exec, exec, s[94:95]
.LBB53_219:                             ;   in Loop: Header=BB53_5 Depth=1
	s_or_b64 exec, exec, s[92:93]
.LBB53_220:                             ;   in Loop: Header=BB53_5 Depth=1
	s_or_b64 exec, exec, s[90:91]
.LBB53_221:                             ;   in Loop: Header=BB53_5 Depth=1
	s_or_b64 exec, exec, s[88:89]
.LBB53_222:                             ;   in Loop: Header=BB53_5 Depth=1
	s_or_b64 exec, exec, s[86:87]
.LBB53_223:                             ;   in Loop: Header=BB53_5 Depth=1
	s_or_b64 exec, exec, s[84:85]
.LBB53_224:                             ;   in Loop: Header=BB53_5 Depth=1
	s_or_b64 exec, exec, s[82:83]
.LBB53_225:                             ;   in Loop: Header=BB53_5 Depth=1
	s_or_b64 exec, exec, s[80:81]
.LBB53_226:                             ;   in Loop: Header=BB53_5 Depth=1
	s_or_b64 exec, exec, s[78:79]
.LBB53_227:                             ;   in Loop: Header=BB53_5 Depth=1
	s_or_b64 exec, exec, s[76:77]
.LBB53_228:                             ;   in Loop: Header=BB53_5 Depth=1
	s_or_b64 exec, exec, s[74:75]
.LBB53_229:                             ;   in Loop: Header=BB53_5 Depth=1
	s_or_b64 exec, exec, s[72:73]
.LBB53_230:                             ;   in Loop: Header=BB53_5 Depth=1
	s_or_b64 exec, exec, s[70:71]
.LBB53_231:                             ;   in Loop: Header=BB53_5 Depth=1
	s_or_b64 exec, exec, s[68:69]
.LBB53_232:                             ;   in Loop: Header=BB53_5 Depth=1
	s_or_b64 exec, exec, s[66:67]
.LBB53_233:                             ;   in Loop: Header=BB53_5 Depth=1
	s_or_b64 exec, exec, s[64:65]
.LBB53_234:                             ;   in Loop: Header=BB53_5 Depth=1
	s_or_b64 exec, exec, s[62:63]
.LBB53_235:                             ;   in Loop: Header=BB53_5 Depth=1
	s_or_b64 exec, exec, s[60:61]
.LBB53_236:                             ;   in Loop: Header=BB53_5 Depth=1
	s_or_b64 exec, exec, s[58:59]
.LBB53_237:                             ;   in Loop: Header=BB53_5 Depth=1
	s_or_b64 exec, exec, s[56:57]
.LBB53_238:                             ;   in Loop: Header=BB53_5 Depth=1
	s_or_b64 exec, exec, s[54:55]
.LBB53_239:                             ;   in Loop: Header=BB53_5 Depth=1
	s_or_b64 exec, exec, s[52:53]
.LBB53_240:                             ;   in Loop: Header=BB53_5 Depth=1
	s_or_b64 exec, exec, s[50:51]
.LBB53_241:                             ;   in Loop: Header=BB53_5 Depth=1
	s_or_b64 exec, exec, s[48:49]
.LBB53_242:                             ;   in Loop: Header=BB53_5 Depth=1
	s_or_b64 exec, exec, s[46:47]
.LBB53_243:                             ;   in Loop: Header=BB53_5 Depth=1
	s_or_b64 exec, exec, s[44:45]
.LBB53_244:                             ;   in Loop: Header=BB53_5 Depth=1
	s_or_b64 exec, exec, s[42:43]
.LBB53_245:                             ;   in Loop: Header=BB53_5 Depth=1
	s_or_b64 exec, exec, s[40:41]
.LBB53_246:                             ;   in Loop: Header=BB53_5 Depth=1
	s_or_b64 exec, exec, s[38:39]
.LBB53_247:                             ;   in Loop: Header=BB53_5 Depth=1
	s_or_b64 exec, exec, s[36:37]
.LBB53_248:                             ;   in Loop: Header=BB53_5 Depth=1
	s_or_b64 exec, exec, s[34:35]
.LBB53_249:                             ;   in Loop: Header=BB53_5 Depth=1
	s_or_b64 exec, exec, s[30:31]
.LBB53_250:                             ;   in Loop: Header=BB53_5 Depth=1
	s_or_b64 exec, exec, s[28:29]
.LBB53_251:                             ;   in Loop: Header=BB53_5 Depth=1
	s_or_b64 exec, exec, s[26:27]
.LBB53_252:                             ;   in Loop: Header=BB53_5 Depth=1
	s_or_b64 exec, exec, s[24:25]
.LBB53_253:                             ;   in Loop: Header=BB53_5 Depth=1
	s_or_b64 exec, exec, s[22:23]
.LBB53_254:                             ;   in Loop: Header=BB53_5 Depth=1
	s_or_b64 exec, exec, s[20:21]
.LBB53_255:                             ;   in Loop: Header=BB53_5 Depth=1
	s_or_b64 exec, exec, s[18:19]
.LBB53_256:                             ;   in Loop: Header=BB53_5 Depth=1
	s_or_b64 exec, exec, s[16:17]
.LBB53_257:                             ;   in Loop: Header=BB53_5 Depth=1
	s_or_b64 exec, exec, s[14:15]
.LBB53_258:                             ;   in Loop: Header=BB53_5 Depth=1
	s_or_b64 exec, exec, s[4:5]
	v_and_b32_e32 v2, 0x60, v7
	v_add_u32_e32 v9, 32, v2
	v_xor_b32_e32 v2, 16, v7
	v_cmp_lt_i32_e32 vcc, v2, v9
	v_xor_b32_e32 v11, 1, v7
	s_nop 0
	v_cndmask_b32_e32 v2, v7, v2, vcc
	v_lshlrev_b32_e32 v2, 2, v2
	ds_bpermute_b32 v4, v2, v5
	v_cmp_ne_u32_e32 vcc, 0, v5
	s_waitcnt lgkmcnt(0)
	v_cmp_ne_u32_e64 s[4:5], 0, v4
	v_xor_b32_e32 v4, 8, v7
	s_and_b64 s[4:5], vcc, s[4:5]
	v_cmp_lt_i32_e32 vcc, v4, v9
	v_cndmask_b32_e64 v5, 0, 1, s[4:5]
	s_nop 0
	v_cndmask_b32_e32 v4, v7, v4, vcc
	v_lshlrev_b32_e32 v4, 2, v4
	ds_bpermute_b32 v5, v4, v5
	s_waitcnt lgkmcnt(0)
	v_cmp_ne_u32_e32 vcc, 0, v5
	v_xor_b32_e32 v5, 4, v7
	s_and_b64 s[4:5], vcc, s[4:5]
	v_cmp_lt_i32_e32 vcc, v5, v9
	v_cndmask_b32_e64 v8, 0, 1, s[4:5]
	s_nop 0
	v_cndmask_b32_e32 v5, v7, v5, vcc
	v_lshlrev_b32_e32 v5, 2, v5
	ds_bpermute_b32 v8, v5, v8
	s_waitcnt lgkmcnt(0)
	v_cmp_ne_u32_e32 vcc, 0, v8
	;; [unrolled: 10-line block ×3, first 2 shown]
	s_and_b64 s[4:5], vcc, s[4:5]
	v_cmp_lt_i32_e32 vcc, v11, v9
	v_cndmask_b32_e64 v10, 0, 1, s[4:5]
	s_nop 0
	v_cndmask_b32_e32 v9, v7, v11, vcc
	v_lshlrev_b32_e32 v9, 2, v9
	ds_bpermute_b32 v10, v9, v10
	s_and_saveexec_b64 s[14:15], s[0:1]
	s_cbranch_execz .LBB53_3
; %bb.259:                              ;   in Loop: Header=BB53_5 Depth=1
	s_waitcnt lgkmcnt(0)
	v_cmp_ne_u32_e32 vcc, 0, v10
	s_and_b64 s[4:5], vcc, s[4:5]
	v_cndmask_b32_e64 v10, 0, 1, s[4:5]
	ds_write_b32 v1, v10
	s_branch .LBB53_3
.LBB53_260:
	s_or_b64 exec, exec, s[12:13]
	v_cmp_eq_u32_e32 vcc, 0, v0
	s_and_saveexec_b64 s[0:1], vcc
	s_cbranch_execz .LBB53_262
; %bb.261:
	s_mul_i32 s0, s33, s3
	s_add_i32 s0, s0, s2
	s_ashr_i32 s1, s0, 31
	s_lshl_b64 s[0:1], s[0:1], 2
	s_add_u32 s0, s6, s0
	s_addc_u32 s1, s7, s1
	v_mov_b32_e32 v0, 0
	global_store_dword v0, v2, s[0:1]
.LBB53_262:
	s_endpgm
	.section	.rodata,"a",@progbits
	.p2align	6, 0x0
	.amdhsa_kernel _ZL25flash_attn_mask_to_KV_maxILi64EEvPK7__half2Piiii
		.amdhsa_group_segment_fixed_size 128
		.amdhsa_private_segment_fixed_size 0
		.amdhsa_kernarg_size 288
		.amdhsa_user_sgpr_count 2
		.amdhsa_user_sgpr_dispatch_ptr 0
		.amdhsa_user_sgpr_queue_ptr 0
		.amdhsa_user_sgpr_kernarg_segment_ptr 1
		.amdhsa_user_sgpr_dispatch_id 0
		.amdhsa_user_sgpr_kernarg_preload_length 0
		.amdhsa_user_sgpr_kernarg_preload_offset 0
		.amdhsa_user_sgpr_private_segment_size 0
		.amdhsa_uses_dynamic_stack 0
		.amdhsa_enable_private_segment 0
		.amdhsa_system_sgpr_workgroup_id_x 1
		.amdhsa_system_sgpr_workgroup_id_y 1
		.amdhsa_system_sgpr_workgroup_id_z 0
		.amdhsa_system_sgpr_workgroup_info 0
		.amdhsa_system_vgpr_workitem_id 0
		.amdhsa_next_free_vgpr 15
		.amdhsa_next_free_sgpr 100
		.amdhsa_accum_offset 16
		.amdhsa_reserve_vcc 1
		.amdhsa_float_round_mode_32 0
		.amdhsa_float_round_mode_16_64 0
		.amdhsa_float_denorm_mode_32 3
		.amdhsa_float_denorm_mode_16_64 3
		.amdhsa_dx10_clamp 1
		.amdhsa_ieee_mode 1
		.amdhsa_fp16_overflow 0
		.amdhsa_tg_split 0
		.amdhsa_exception_fp_ieee_invalid_op 0
		.amdhsa_exception_fp_denorm_src 0
		.amdhsa_exception_fp_ieee_div_zero 0
		.amdhsa_exception_fp_ieee_overflow 0
		.amdhsa_exception_fp_ieee_underflow 0
		.amdhsa_exception_fp_ieee_inexact 0
		.amdhsa_exception_int_div_zero 0
	.end_amdhsa_kernel
	.section	.text._ZL25flash_attn_mask_to_KV_maxILi64EEvPK7__half2Piiii,"axG",@progbits,_ZL25flash_attn_mask_to_KV_maxILi64EEvPK7__half2Piiii,comdat
.Lfunc_end53:
	.size	_ZL25flash_attn_mask_to_KV_maxILi64EEvPK7__half2Piiii, .Lfunc_end53-_ZL25flash_attn_mask_to_KV_maxILi64EEvPK7__half2Piiii
                                        ; -- End function
	.set _ZL25flash_attn_mask_to_KV_maxILi64EEvPK7__half2Piiii.num_vgpr, 15
	.set _ZL25flash_attn_mask_to_KV_maxILi64EEvPK7__half2Piiii.num_agpr, 0
	.set _ZL25flash_attn_mask_to_KV_maxILi64EEvPK7__half2Piiii.numbered_sgpr, 100
	.set _ZL25flash_attn_mask_to_KV_maxILi64EEvPK7__half2Piiii.num_named_barrier, 0
	.set _ZL25flash_attn_mask_to_KV_maxILi64EEvPK7__half2Piiii.private_seg_size, 0
	.set _ZL25flash_attn_mask_to_KV_maxILi64EEvPK7__half2Piiii.uses_vcc, 1
	.set _ZL25flash_attn_mask_to_KV_maxILi64EEvPK7__half2Piiii.uses_flat_scratch, 0
	.set _ZL25flash_attn_mask_to_KV_maxILi64EEvPK7__half2Piiii.has_dyn_sized_stack, 0
	.set _ZL25flash_attn_mask_to_KV_maxILi64EEvPK7__half2Piiii.has_recursion, 0
	.set _ZL25flash_attn_mask_to_KV_maxILi64EEvPK7__half2Piiii.has_indirect_call, 0
	.section	.AMDGPU.csdata,"",@progbits
; Kernel info:
; codeLenInByte = 9456
; TotalNumSgprs: 106
; NumVgprs: 15
; NumAgprs: 0
; TotalNumVgprs: 15
; ScratchSize: 0
; MemoryBound: 0
; FloatMode: 240
; IeeeMode: 1
; LDSByteSize: 128 bytes/workgroup (compile time only)
; SGPRBlocks: 13
; VGPRBlocks: 1
; NumSGPRsForWavesPerEU: 106
; NumVGPRsForWavesPerEU: 15
; AccumOffset: 16
; Occupancy: 7
; WaveLimiterHint : 0
; COMPUTE_PGM_RSRC2:SCRATCH_EN: 0
; COMPUTE_PGM_RSRC2:USER_SGPR: 2
; COMPUTE_PGM_RSRC2:TRAP_HANDLER: 0
; COMPUTE_PGM_RSRC2:TGID_X_EN: 1
; COMPUTE_PGM_RSRC2:TGID_Y_EN: 1
; COMPUTE_PGM_RSRC2:TGID_Z_EN: 0
; COMPUTE_PGM_RSRC2:TIDIG_COMP_CNT: 0
; COMPUTE_PGM_RSRC3_GFX90A:ACCUM_OFFSET: 3
; COMPUTE_PGM_RSRC3_GFX90A:TG_SPLIT: 0
	.section	.text._ZL33flash_attn_stream_k_fixup_uniformILi64ELi64ELi1EEvPfPK15HIP_vector_typeIfLj2EEiiiiiiS1_IjLj3EES5_S5_,"axG",@progbits,_ZL33flash_attn_stream_k_fixup_uniformILi64ELi64ELi1EEvPfPK15HIP_vector_typeIfLj2EEiiiiiiS1_IjLj3EES5_S5_,comdat
	.globl	_ZL33flash_attn_stream_k_fixup_uniformILi64ELi64ELi1EEvPfPK15HIP_vector_typeIfLj2EEiiiiiiS1_IjLj3EES5_S5_ ; -- Begin function _ZL33flash_attn_stream_k_fixup_uniformILi64ELi64ELi1EEvPfPK15HIP_vector_typeIfLj2EEiiiiiiS1_IjLj3EES5_S5_
	.p2align	8
	.type	_ZL33flash_attn_stream_k_fixup_uniformILi64ELi64ELi1EEvPfPK15HIP_vector_typeIfLj2EEiiiiiiS1_IjLj3EES5_S5_,@function
_ZL33flash_attn_stream_k_fixup_uniformILi64ELi64ELi1EEvPfPK15HIP_vector_typeIfLj2EEiiiiiiS1_IjLj3EES5_S5_: ; @_ZL33flash_attn_stream_k_fixup_uniformILi64ELi64ELi1EEvPfPK15HIP_vector_typeIfLj2EEiiiiiiS1_IjLj3EES5_S5_
; %bb.0:
	s_load_dwordx8 s[8:15], s[0:1], 0x1c
	s_load_dwordx2 s[6:7], s[0:1], 0x10
	s_load_dwordx4 s[20:23], s[0:1], 0x3c
	s_waitcnt lgkmcnt(0)
	s_mul_hi_u32 s5, s11, s2
	s_add_i32 s5, s2, s5
	s_lshr_b32 s5, s5, s12
	s_mul_i32 s11, s5, s13
	s_sub_i32 s11, s2, s11
	s_mul_hi_u32 s12, s11, s14
	s_add_i32 s12, s11, s12
	s_lshr_b32 s16, s12, s15
	s_mul_i32 s12, s16, s20
	s_sub_i32 s12, s11, s12
	;; [unrolled: 5-line block ×3, first 2 shown]
	s_lshl_b32 s12, s17, 6
	s_add_i32 s12, s12, s3
	s_cmp_lt_i32 s12, s6
	s_cselect_b64 s[12:13], -1, 0
	s_add_i32 s14, s11, s4
	s_cmp_lt_i32 s14, s9
	s_cselect_b64 s[14:15], -1, 0
	s_and_b64 s[12:13], s[12:13], s[14:15]
	s_andn2_b64 vcc, exec, s[12:13]
	s_cbranch_vccnz .LBB54_6
; %bb.1:
	s_load_dwordx4 s[12:15], s[0:1], 0x0
	s_mul_i32 s0, s5, s6
	s_add_i32 s0, s0, s3
	s_mul_i32 s0, s0, s7
	s_mul_i32 s16, s16, s9
	s_add_i32 s0, s0, s4
	s_add_i32 s0, s0, s16
	s_mul_i32 s1, s7, s17
	s_add_i32 s0, s0, s11
	s_lshl_b32 s1, s1, 12
	s_lshl_b32 s0, s0, 6
	s_add_i32 s1, s1, s0
	v_or_b32_e32 v4, s1, v0
	s_waitcnt lgkmcnt(0)
	v_mov_b32_e32 v2, s12
	v_mov_b32_e32 v3, s13
	v_ashrrev_i32_e32 v5, 31, v4
	v_lshl_add_u64 v[2:3], v[4:5], 2, v[2:3]
	global_load_dword v5, v[2:3], off
	s_mul_i32 s6, s10, s2
	s_add_i32 s7, s6, s10
	s_add_i32 s3, s3, s4
	s_lshl_b32 s0, s7, 6
	s_add_i32 s0, s3, s0
	s_sub_i32 s0, s0, 64
	s_ashr_i32 s1, s0, 31
	s_lshl_b64 s[0:1], s[0:1], 3
	s_add_u32 s0, s14, s0
	s_addc_u32 s1, s15, s1
	s_load_dword s9, s[0:1], 0x4
	s_add_i32 s4, s7, -2
	s_cmp_lt_i32 s4, s6
	s_cbranch_scc1 .LBB54_4
; %bb.2:
	s_lshl_b32 s4, s8, 8
	s_ashr_i32 s5, s4, 31
	s_lshl_b64 s[4:5], s[4:5], 2
	s_add_u32 s4, s14, s4
	s_addc_u32 s5, s15, s5
	s_add_i32 s2, s2, 1
	s_mul_i32 s2, s10, s2
	s_load_dword s0, s[0:1], 0x0
	s_lshl_b32 s1, s3, 6
	s_lshl_b32 s10, s2, 12
	s_add_i32 s1, s1, s10
	v_or_b32_e32 v0, s1, v0
	s_lshl_b32 s1, s2, 6
	s_add_i32 s1, s3, s1
	s_lshl_b32 s2, s8, 6
	s_add_i32 s1, s1, s2
	s_add_i32 s7, s7, -1
	v_add_u32_e32 v0, 0xffffe000, v0
	s_add_i32 s2, s1, 0xffffff80
	s_waitcnt lgkmcnt(0)
	v_mov_b32_e32 v7, s0
	v_mov_b32_e32 v4, s9
	s_mov_b32 s8, 0x3fb8aa3b
	s_mov_b32 s9, 0xc2ce8ed0
	;; [unrolled: 1-line block ×3, first 2 shown]
	v_mov_b32_e32 v6, 0x7f800000
	s_mov_b32 s11, 0xc1a00000
.LBB54_3:                               ; =>This Inner Loop Header: Depth=1
	v_ashrrev_i32_e32 v1, 31, v0
	v_lshl_add_u64 v[8:9], v[0:1], 2, s[4:5]
	global_load_dword v9, v[8:9], off
	s_ashr_i32 s3, s2, 31
	s_lshl_b64 s[0:1], s[2:3], 3
	s_add_u32 s0, s14, s0
	s_addc_u32 s1, s15, s1
	s_load_dwordx2 s[0:1], s[0:1], 0x0
	v_max_f32_e32 v1, v7, v7
	s_add_i32 s7, s7, -1
	s_sub_i32 s2, s2, 64
	v_add_u32_e32 v0, 0xfffff000, v0
	s_waitcnt lgkmcnt(0)
	v_max_f32_e64 v10, s0, s0
	v_max_f32_e32 v1, v1, v10
	v_sub_f32_e32 v11, s0, v1
	v_sub_f32_e32 v10, v7, v1
	v_mul_f32_e32 v12, 0x3fb8aa3b, v11
	v_mov_b32_e32 v7, v1
	v_mul_f32_e32 v1, 0x3fb8aa3b, v10
	v_fma_f32 v15, v11, s8, -v12
	v_rndne_f32_e32 v16, v12
	v_fma_f32 v13, v10, s8, -v1
	v_rndne_f32_e32 v14, v1
	v_fmac_f32_e32 v15, 0x32a5705f, v11
	v_sub_f32_e32 v12, v12, v16
	v_fmac_f32_e32 v13, 0x32a5705f, v10
	v_sub_f32_e32 v1, v1, v14
	v_add_f32_e32 v12, v12, v15
	v_cvt_i32_f32_e32 v16, v16
	v_add_f32_e32 v1, v1, v13
	v_exp_f32_e32 v12, v12
	v_cvt_i32_f32_e32 v14, v14
	v_exp_f32_e32 v1, v1
	v_cmp_ngt_f32_e32 vcc, s9, v11
	v_ldexp_f32 v12, v12, v16
	v_mov_b32_e32 v8, s1
	v_ldexp_f32 v1, v1, v14
	v_cmp_ngt_f32_e64 s[0:1], s9, v10
	v_cndmask_b32_e32 v12, 0, v12, vcc
	v_cmp_nlt_f32_e32 vcc, s10, v11
	v_cndmask_b32_e64 v1, 0, v1, s[0:1]
	v_cmp_nlt_f32_e64 s[0:1], s10, v10
	v_cndmask_b32_e32 v12, v6, v12, vcc
	v_cmp_le_f32_e32 vcc, s11, v11
	v_cndmask_b32_e64 v1, v6, v1, s[0:1]
	v_cmp_le_f32_e64 s[0:1], s11, v10
	v_cndmask_b32_e32 v12, 0, v12, vcc
	s_cmp_le_i32 s7, s6
	v_cndmask_b32_e64 v10, 0, v1, s[0:1]
	s_waitcnt vmcnt(0)
	v_pk_mul_f32 v[8:9], v[8:9], v[12:13] op_sel_hi:[1,0]
	s_nop 0
	v_pk_fma_f32 v[4:5], v[4:5], v[10:11], v[8:9] op_sel_hi:[1,0,1]
	s_cbranch_scc0 .LBB54_3
	s_branch .LBB54_5
.LBB54_4:
	s_waitcnt lgkmcnt(0)
	v_mov_b32_e32 v4, s9
.LBB54_5:
	s_waitcnt vmcnt(0)
	v_div_scale_f32 v0, s[0:1], v4, v4, v5
	v_rcp_f32_e32 v1, v0
	v_div_scale_f32 v6, vcc, v5, v4, v5
	v_fma_f32 v7, -v0, v1, 1.0
	v_fmac_f32_e32 v1, v7, v1
	v_mul_f32_e32 v7, v6, v1
	v_fma_f32 v8, -v0, v7, v6
	v_fmac_f32_e32 v7, v8, v1
	v_fma_f32 v0, -v0, v7, v6
	v_div_fmas_f32 v0, v0, v1, v7
	v_div_fixup_f32 v0, v0, v4, v5
	global_store_dword v[2:3], v0, off
.LBB54_6:
	s_endpgm
	.section	.rodata,"a",@progbits
	.p2align	6, 0x0
	.amdhsa_kernel _ZL33flash_attn_stream_k_fixup_uniformILi64ELi64ELi1EEvPfPK15HIP_vector_typeIfLj2EEiiiiiiS1_IjLj3EES5_S5_
		.amdhsa_group_segment_fixed_size 0
		.amdhsa_private_segment_fixed_size 0
		.amdhsa_kernarg_size 76
		.amdhsa_user_sgpr_count 2
		.amdhsa_user_sgpr_dispatch_ptr 0
		.amdhsa_user_sgpr_queue_ptr 0
		.amdhsa_user_sgpr_kernarg_segment_ptr 1
		.amdhsa_user_sgpr_dispatch_id 0
		.amdhsa_user_sgpr_kernarg_preload_length 0
		.amdhsa_user_sgpr_kernarg_preload_offset 0
		.amdhsa_user_sgpr_private_segment_size 0
		.amdhsa_uses_dynamic_stack 0
		.amdhsa_enable_private_segment 0
		.amdhsa_system_sgpr_workgroup_id_x 1
		.amdhsa_system_sgpr_workgroup_id_y 1
		.amdhsa_system_sgpr_workgroup_id_z 1
		.amdhsa_system_sgpr_workgroup_info 0
		.amdhsa_system_vgpr_workitem_id 0
		.amdhsa_next_free_vgpr 17
		.amdhsa_next_free_sgpr 24
		.amdhsa_accum_offset 20
		.amdhsa_reserve_vcc 1
		.amdhsa_float_round_mode_32 0
		.amdhsa_float_round_mode_16_64 0
		.amdhsa_float_denorm_mode_32 3
		.amdhsa_float_denorm_mode_16_64 3
		.amdhsa_dx10_clamp 1
		.amdhsa_ieee_mode 1
		.amdhsa_fp16_overflow 0
		.amdhsa_tg_split 0
		.amdhsa_exception_fp_ieee_invalid_op 0
		.amdhsa_exception_fp_denorm_src 0
		.amdhsa_exception_fp_ieee_div_zero 0
		.amdhsa_exception_fp_ieee_overflow 0
		.amdhsa_exception_fp_ieee_underflow 0
		.amdhsa_exception_fp_ieee_inexact 0
		.amdhsa_exception_int_div_zero 0
	.end_amdhsa_kernel
	.section	.text._ZL33flash_attn_stream_k_fixup_uniformILi64ELi64ELi1EEvPfPK15HIP_vector_typeIfLj2EEiiiiiiS1_IjLj3EES5_S5_,"axG",@progbits,_ZL33flash_attn_stream_k_fixup_uniformILi64ELi64ELi1EEvPfPK15HIP_vector_typeIfLj2EEiiiiiiS1_IjLj3EES5_S5_,comdat
.Lfunc_end54:
	.size	_ZL33flash_attn_stream_k_fixup_uniformILi64ELi64ELi1EEvPfPK15HIP_vector_typeIfLj2EEiiiiiiS1_IjLj3EES5_S5_, .Lfunc_end54-_ZL33flash_attn_stream_k_fixup_uniformILi64ELi64ELi1EEvPfPK15HIP_vector_typeIfLj2EEiiiiiiS1_IjLj3EES5_S5_
                                        ; -- End function
	.set _ZL33flash_attn_stream_k_fixup_uniformILi64ELi64ELi1EEvPfPK15HIP_vector_typeIfLj2EEiiiiiiS1_IjLj3EES5_S5_.num_vgpr, 17
	.set _ZL33flash_attn_stream_k_fixup_uniformILi64ELi64ELi1EEvPfPK15HIP_vector_typeIfLj2EEiiiiiiS1_IjLj3EES5_S5_.num_agpr, 0
	.set _ZL33flash_attn_stream_k_fixup_uniformILi64ELi64ELi1EEvPfPK15HIP_vector_typeIfLj2EEiiiiiiS1_IjLj3EES5_S5_.numbered_sgpr, 24
	.set _ZL33flash_attn_stream_k_fixup_uniformILi64ELi64ELi1EEvPfPK15HIP_vector_typeIfLj2EEiiiiiiS1_IjLj3EES5_S5_.num_named_barrier, 0
	.set _ZL33flash_attn_stream_k_fixup_uniformILi64ELi64ELi1EEvPfPK15HIP_vector_typeIfLj2EEiiiiiiS1_IjLj3EES5_S5_.private_seg_size, 0
	.set _ZL33flash_attn_stream_k_fixup_uniformILi64ELi64ELi1EEvPfPK15HIP_vector_typeIfLj2EEiiiiiiS1_IjLj3EES5_S5_.uses_vcc, 1
	.set _ZL33flash_attn_stream_k_fixup_uniformILi64ELi64ELi1EEvPfPK15HIP_vector_typeIfLj2EEiiiiiiS1_IjLj3EES5_S5_.uses_flat_scratch, 0
	.set _ZL33flash_attn_stream_k_fixup_uniformILi64ELi64ELi1EEvPfPK15HIP_vector_typeIfLj2EEiiiiiiS1_IjLj3EES5_S5_.has_dyn_sized_stack, 0
	.set _ZL33flash_attn_stream_k_fixup_uniformILi64ELi64ELi1EEvPfPK15HIP_vector_typeIfLj2EEiiiiiiS1_IjLj3EES5_S5_.has_recursion, 0
	.set _ZL33flash_attn_stream_k_fixup_uniformILi64ELi64ELi1EEvPfPK15HIP_vector_typeIfLj2EEiiiiiiS1_IjLj3EES5_S5_.has_indirect_call, 0
	.section	.AMDGPU.csdata,"",@progbits
; Kernel info:
; codeLenInByte = 820
; TotalNumSgprs: 30
; NumVgprs: 17
; NumAgprs: 0
; TotalNumVgprs: 17
; ScratchSize: 0
; MemoryBound: 0
; FloatMode: 240
; IeeeMode: 1
; LDSByteSize: 0 bytes/workgroup (compile time only)
; SGPRBlocks: 3
; VGPRBlocks: 2
; NumSGPRsForWavesPerEU: 30
; NumVGPRsForWavesPerEU: 17
; AccumOffset: 20
; Occupancy: 8
; WaveLimiterHint : 0
; COMPUTE_PGM_RSRC2:SCRATCH_EN: 0
; COMPUTE_PGM_RSRC2:USER_SGPR: 2
; COMPUTE_PGM_RSRC2:TRAP_HANDLER: 0
; COMPUTE_PGM_RSRC2:TGID_X_EN: 1
; COMPUTE_PGM_RSRC2:TGID_Y_EN: 1
; COMPUTE_PGM_RSRC2:TGID_Z_EN: 1
; COMPUTE_PGM_RSRC2:TIDIG_COMP_CNT: 0
; COMPUTE_PGM_RSRC3_GFX90A:ACCUM_OFFSET: 4
; COMPUTE_PGM_RSRC3_GFX90A:TG_SPLIT: 0
	.section	.text._ZL33flash_attn_stream_k_fixup_generalILi64ELi64ELi1EEvPfPK15HIP_vector_typeIfLj2EEiiiiS1_IjLj3EES5_S5_S5_,"axG",@progbits,_ZL33flash_attn_stream_k_fixup_generalILi64ELi64ELi1EEvPfPK15HIP_vector_typeIfLj2EEiiiiS1_IjLj3EES5_S5_S5_,comdat
	.globl	_ZL33flash_attn_stream_k_fixup_generalILi64ELi64ELi1EEvPfPK15HIP_vector_typeIfLj2EEiiiiS1_IjLj3EES5_S5_S5_ ; -- Begin function _ZL33flash_attn_stream_k_fixup_generalILi64ELi64ELi1EEvPfPK15HIP_vector_typeIfLj2EEiiiiS1_IjLj3EES5_S5_S5_
	.p2align	8
	.type	_ZL33flash_attn_stream_k_fixup_generalILi64ELi64ELi1EEvPfPK15HIP_vector_typeIfLj2EEiiiiS1_IjLj3EES5_S5_S5_,@function
_ZL33flash_attn_stream_k_fixup_generalILi64ELi64ELi1EEvPfPK15HIP_vector_typeIfLj2EEiiiiS1_IjLj3EES5_S5_S5_: ; @_ZL33flash_attn_stream_k_fixup_generalILi64ELi64ELi1EEvPfPK15HIP_vector_typeIfLj2EEiiiiS1_IjLj3EES5_S5_S5_
; %bb.0:
	s_load_dwordx4 s[8:11], s[0:1], 0x10
	s_load_dword s22, s[0:1], 0x50
	s_mov_b32 s12, 0
	s_waitcnt lgkmcnt(0)
	s_mul_hi_i32 s13, s11, s2
	s_cmp_lg_u64 s[12:13], 0
	s_mul_i32 s5, s11, s2
	s_cbranch_scc0 .LBB55_20
; %bb.1:
	s_add_u32 s6, s22, 0
	s_addc_u32 s7, 0, 0
	s_xor_b64 s[6:7], s[6:7], 0
	v_cvt_f32_u32_e32 v1, s6
	v_cvt_f32_u32_e32 v2, s7
	s_sub_u32 s12, 0, s6
	s_subb_u32 s18, 0, s7
	v_fmamk_f32 v1, v2, 0x4f800000, v1
	v_rcp_f32_e32 v1, v1
	s_nop 0
	v_mul_f32_e32 v1, 0x5f7ffffc, v1
	v_mul_f32_e32 v2, 0x2f800000, v1
	v_trunc_f32_e32 v2, v2
	v_fmamk_f32 v1, v2, 0xcf800000, v1
	v_cvt_u32_f32_e32 v2, v2
	v_cvt_u32_f32_e32 v1, v1
	v_readfirstlane_b32 s19, v2
	v_readfirstlane_b32 s14, v1
	s_mul_i32 s15, s12, s19
	s_mul_hi_u32 s21, s12, s14
	s_mul_i32 s20, s18, s14
	s_add_i32 s15, s21, s15
	s_add_i32 s15, s15, s20
	s_mul_i32 s23, s12, s14
	s_mul_i32 s21, s14, s15
	s_mul_hi_u32 s24, s14, s23
	s_mul_hi_u32 s20, s14, s15
	s_add_u32 s21, s24, s21
	s_addc_u32 s20, 0, s20
	s_mul_hi_u32 s25, s19, s23
	s_mul_i32 s23, s19, s23
	s_add_u32 s21, s21, s23
	s_mul_hi_u32 s24, s19, s15
	s_addc_u32 s20, s20, s25
	s_addc_u32 s21, s24, 0
	s_mul_i32 s15, s19, s15
	s_add_u32 s15, s20, s15
	s_addc_u32 s20, 0, s21
	s_add_u32 s21, s14, s15
	s_cselect_b64 s[14:15], -1, 0
	s_cmp_lg_u64 s[14:15], 0
	s_addc_u32 s19, s19, s20
	s_mul_i32 s14, s12, s19
	s_mul_hi_u32 s15, s12, s21
	s_add_i32 s14, s15, s14
	s_mul_i32 s18, s18, s21
	s_add_i32 s14, s14, s18
	s_mul_i32 s12, s12, s21
	s_mul_hi_u32 s18, s19, s12
	s_mul_i32 s20, s19, s12
	s_mul_i32 s24, s21, s14
	s_mul_hi_u32 s12, s21, s12
	s_mul_hi_u32 s23, s21, s14
	s_add_u32 s12, s12, s24
	s_addc_u32 s23, 0, s23
	s_add_u32 s12, s12, s20
	s_mul_hi_u32 s15, s19, s14
	s_addc_u32 s12, s23, s18
	s_addc_u32 s15, s15, 0
	s_mul_i32 s14, s19, s14
	s_add_u32 s12, s12, s14
	s_addc_u32 s18, 0, s15
	s_add_u32 s20, s21, s12
	s_cselect_b64 s[14:15], -1, 0
	s_cmp_lg_u64 s[14:15], 0
	s_addc_u32 s18, s19, s18
	s_ashr_i32 s14, s13, 31
	s_add_u32 s12, s5, s14
	s_mov_b32 s15, s14
	s_addc_u32 s13, s13, s14
	s_xor_b64 s[12:13], s[12:13], s[14:15]
	s_mul_i32 s21, s12, s18
	s_mul_hi_u32 s23, s12, s20
	s_mul_hi_u32 s19, s12, s18
	s_add_u32 s21, s23, s21
	s_addc_u32 s19, 0, s19
	s_mul_hi_u32 s24, s13, s20
	s_mul_i32 s20, s13, s20
	s_add_u32 s20, s21, s20
	s_mul_hi_u32 s23, s13, s18
	s_addc_u32 s19, s19, s24
	s_addc_u32 s20, s23, 0
	s_mul_i32 s18, s13, s18
	s_add_u32 s23, s19, s18
	s_addc_u32 s24, 0, s20
	s_mul_i32 s18, s6, s24
	s_mul_hi_u32 s19, s6, s23
	s_add_i32 s18, s19, s18
	s_mul_i32 s19, s7, s23
	s_add_i32 s25, s18, s19
	s_sub_i32 s20, s13, s25
	s_mul_i32 s18, s6, s23
	s_sub_u32 s12, s12, s18
	s_cselect_b64 s[18:19], -1, 0
	s_cmp_lg_u64 s[18:19], 0
	s_subb_u32 s26, s20, s7
	s_sub_u32 s27, s12, s6
	s_cselect_b64 s[20:21], -1, 0
	s_cmp_lg_u64 s[20:21], 0
	s_subb_u32 s20, s26, 0
	s_cmp_ge_u32 s20, s7
	s_cselect_b32 s21, -1, 0
	s_cmp_ge_u32 s27, s6
	s_cselect_b32 s26, -1, 0
	s_cmp_eq_u32 s20, s7
	s_cselect_b32 s20, s26, s21
	s_add_u32 s21, s23, 1
	s_addc_u32 s26, s24, 0
	s_add_u32 s27, s23, 2
	s_addc_u32 s28, s24, 0
	s_cmp_lg_u32 s20, 0
	s_cselect_b32 s20, s27, s21
	s_cselect_b32 s21, s28, s26
	s_cmp_lg_u64 s[18:19], 0
	s_subb_u32 s13, s13, s25
	s_cmp_ge_u32 s13, s7
	s_cselect_b32 s18, -1, 0
	s_cmp_ge_u32 s12, s6
	s_cselect_b32 s6, -1, 0
	s_cmp_eq_u32 s13, s7
	s_cselect_b32 s6, s6, s18
	s_cmp_lg_u32 s6, 0
	s_cselect_b32 s7, s21, s24
	s_cselect_b32 s6, s20, s23
	s_xor_b64 s[12:13], s[14:15], 0
	s_xor_b64 s[6:7], s[6:7], s[12:13]
	s_sub_u32 s6, s6, s12
	s_load_dwordx4 s[12:15], s[0:1], 0x44
	s_cbranch_execnz .LBB55_3
.LBB55_2:
	v_cvt_f32_u32_e32 v1, s22
	s_sub_i32 s6, 0, s22
	v_rcp_iflag_f32_e32 v1, v1
	s_nop 0
	v_mul_f32_e32 v1, 0x4f7ffffe, v1
	v_cvt_u32_f32_e32 v1, v1
	s_nop 0
	v_readfirstlane_b32 s7, v1
	s_mul_i32 s6, s6, s7
	s_mul_hi_u32 s6, s7, s6
	s_add_i32 s7, s7, s6
	s_mul_hi_u32 s6, s5, s7
	s_waitcnt lgkmcnt(0)
	s_mul_i32 s15, s6, s22
	s_sub_i32 s5, s5, s15
	s_add_i32 s7, s6, 1
	s_sub_i32 s15, s5, s22
	s_cmp_ge_u32 s5, s22
	s_cselect_b32 s6, s7, s6
	s_cselect_b32 s5, s15, s5
	s_add_i32 s7, s6, 1
	s_cmp_ge_u32 s5, s22
	s_cselect_b32 s6, s7, s6
.LBB55_3:
	s_add_i32 s5, s2, 1
	s_mul_hi_i32 s21, s11, s5
	s_mov_b32 s20, 0
	s_cmp_lg_u64 s[20:21], 0
	s_mul_i32 s5, s11, s5
	s_cbranch_scc0 .LBB55_21
; %bb.4:
	s_add_u32 s16, s22, 0
	s_addc_u32 s17, 0, 0
	s_xor_b64 s[18:19], s[16:17], 0
	v_cvt_f32_u32_e32 v1, s18
	v_cvt_f32_u32_e32 v2, s19
	s_sub_u32 s7, 0, s18
	s_waitcnt lgkmcnt(0)
	s_subb_u32 s15, 0, s19
	v_fmamk_f32 v1, v2, 0x4f800000, v1
	v_rcp_f32_e32 v1, v1
	s_nop 0
	v_mul_f32_e32 v1, 0x5f7ffffc, v1
	v_mul_f32_e32 v2, 0x2f800000, v1
	v_trunc_f32_e32 v2, v2
	v_fmamk_f32 v1, v2, 0xcf800000, v1
	v_cvt_u32_f32_e32 v2, v2
	v_cvt_u32_f32_e32 v1, v1
	v_readfirstlane_b32 s20, v2
	v_readfirstlane_b32 s23, v1
	s_mul_i32 s24, s7, s20
	s_mul_hi_u32 s26, s7, s23
	s_mul_i32 s25, s15, s23
	s_add_i32 s24, s26, s24
	s_add_i32 s24, s24, s25
	s_mul_i32 s27, s7, s23
	s_mul_i32 s26, s23, s24
	s_mul_hi_u32 s28, s23, s27
	s_mul_hi_u32 s25, s23, s24
	s_add_u32 s26, s28, s26
	s_addc_u32 s25, 0, s25
	s_mul_hi_u32 s29, s20, s27
	s_mul_i32 s27, s20, s27
	s_add_u32 s26, s26, s27
	s_mul_hi_u32 s28, s20, s24
	s_addc_u32 s25, s25, s29
	s_addc_u32 s26, s28, 0
	s_mul_i32 s24, s20, s24
	s_add_u32 s24, s25, s24
	s_addc_u32 s26, 0, s26
	s_add_u32 s23, s23, s24
	s_cselect_b64 s[24:25], -1, 0
	s_cmp_lg_u64 s[24:25], 0
	s_addc_u32 s20, s20, s26
	s_mul_i32 s24, s7, s20
	s_mul_hi_u32 s25, s7, s23
	s_add_i32 s24, s25, s24
	s_mul_i32 s15, s15, s23
	s_add_i32 s24, s24, s15
	s_mul_i32 s7, s7, s23
	s_mul_hi_u32 s25, s20, s7
	s_mul_i32 s26, s20, s7
	s_mul_i32 s28, s23, s24
	s_mul_hi_u32 s7, s23, s7
	s_mul_hi_u32 s27, s23, s24
	s_add_u32 s7, s7, s28
	s_addc_u32 s27, 0, s27
	s_add_u32 s7, s7, s26
	s_mul_hi_u32 s15, s20, s24
	s_addc_u32 s7, s27, s25
	s_addc_u32 s15, s15, 0
	s_mul_i32 s24, s20, s24
	s_add_u32 s7, s7, s24
	s_addc_u32 s15, 0, s15
	s_add_u32 s7, s23, s7
	s_cselect_b64 s[24:25], -1, 0
	s_cmp_lg_u64 s[24:25], 0
	s_addc_u32 s15, s20, s15
	s_ashr_i32 s24, s21, 31
	s_add_u32 s20, s5, s24
	s_mov_b32 s25, s24
	s_addc_u32 s21, s21, s24
	s_xor_b64 s[20:21], s[20:21], s[24:25]
	s_mul_i32 s26, s20, s15
	s_mul_hi_u32 s27, s20, s7
	s_mul_hi_u32 s23, s20, s15
	s_add_u32 s26, s27, s26
	s_addc_u32 s23, 0, s23
	s_mul_hi_u32 s28, s21, s7
	s_mul_i32 s7, s21, s7
	s_add_u32 s7, s26, s7
	s_mul_hi_u32 s27, s21, s15
	s_addc_u32 s7, s23, s28
	s_addc_u32 s23, s27, 0
	s_mul_i32 s15, s21, s15
	s_add_u32 s7, s7, s15
	s_addc_u32 s15, 0, s23
	s_mul_i32 s23, s18, s15
	s_mul_hi_u32 s26, s18, s7
	s_add_i32 s23, s26, s23
	s_mul_i32 s26, s19, s7
	s_add_i32 s23, s23, s26
	s_sub_i32 s28, s21, s23
	s_mul_i32 s26, s18, s7
	s_sub_u32 s20, s20, s26
	s_cselect_b64 s[26:27], -1, 0
	s_cmp_lg_u64 s[26:27], 0
	s_subb_u32 s30, s28, s19
	s_sub_u32 s31, s20, s18
	s_cselect_b64 s[28:29], -1, 0
	s_cmp_lg_u64 s[28:29], 0
	s_subb_u32 s28, s30, 0
	s_cmp_ge_u32 s28, s19
	s_cselect_b32 s29, -1, 0
	s_cmp_ge_u32 s31, s18
	s_cselect_b32 s30, -1, 0
	s_cmp_eq_u32 s28, s19
	s_cselect_b32 s28, s30, s29
	s_add_u32 s29, s7, 1
	s_addc_u32 s30, s15, 0
	s_add_u32 s31, s7, 2
	s_addc_u32 s33, s15, 0
	s_cmp_lg_u32 s28, 0
	s_cselect_b32 s28, s31, s29
	s_cselect_b32 s29, s33, s30
	s_cmp_lg_u64 s[26:27], 0
	s_subb_u32 s21, s21, s23
	s_cmp_ge_u32 s21, s19
	s_cselect_b32 s23, -1, 0
	s_cmp_ge_u32 s20, s18
	s_cselect_b32 s18, -1, 0
	s_cmp_eq_u32 s21, s19
	s_cselect_b32 s18, s18, s23
	s_cmp_lg_u32 s18, 0
	s_cselect_b32 s19, s29, s15
	s_cselect_b32 s18, s28, s7
	s_xor_b64 s[20:21], s[24:25], 0
	s_xor_b64 s[18:19], s[18:19], s[20:21]
	s_sub_u32 s18, s18, s20
	s_cbranch_execnz .LBB55_6
.LBB55_5:
	v_cvt_f32_u32_e32 v1, s22
	s_sub_i32 s7, 0, s22
	v_rcp_iflag_f32_e32 v1, v1
	s_nop 0
	v_mul_f32_e32 v1, 0x4f7ffffe, v1
	v_cvt_u32_f32_e32 v1, v1
	s_waitcnt lgkmcnt(0)
	v_readfirstlane_b32 s15, v1
	s_mul_i32 s7, s7, s15
	s_mul_hi_u32 s7, s15, s7
	s_add_i32 s15, s15, s7
	s_mul_hi_u32 s7, s5, s15
	s_mul_i32 s16, s7, s22
	s_sub_i32 s5, s5, s16
	s_add_i32 s15, s7, 1
	s_sub_i32 s16, s5, s22
	s_cmp_ge_u32 s5, s22
	s_cselect_b32 s7, s15, s7
	s_cselect_b32 s5, s16, s5
	s_add_i32 s15, s7, 1
	s_cmp_ge_u32 s5, s22
	s_cselect_b32 s18, s15, s7
.LBB55_6:
	s_cmp_eq_u32 s6, s18
	s_waitcnt lgkmcnt(0)
	s_mul_hi_u32 s5, s6, s12
	s_cselect_b64 s[16:17], -1, 0
	s_add_i32 s5, s5, s6
	s_lshr_b32 s7, s5, s13
	s_mul_i32 s5, s7, s14
	s_cmp_eq_u32 s5, s6
	s_mul_hi_u32 s5, s18, s12
	s_cselect_b64 s[20:21], -1, 0
	s_add_i32 s5, s5, s18
	s_lshr_b32 s5, s5, s13
	s_cmp_eq_u32 s7, s5
	s_mul_i32 s5, s5, s14
	s_cselect_b64 s[24:25], -1, 0
	s_cmp_lg_u32 s5, s18
	s_cselect_b64 s[18:19], -1, 0
	s_and_b64 s[18:19], s[24:25], s[18:19]
	s_or_b64 s[16:17], s[16:17], s[20:21]
	s_or_b64 s[16:17], s[16:17], s[18:19]
	s_and_b64 vcc, exec, s[16:17]
	s_cbranch_vccnz .LBB55_23
; %bb.7:
	s_load_dwordx8 s[24:31], s[0:1], 0x20
	s_load_dword s15, s[0:1], 0x40
	s_waitcnt lgkmcnt(0)
	s_mul_hi_u32 s5, s6, s24
	s_add_i32 s5, s5, s6
	s_lshr_b32 s5, s5, s25
	s_mul_i32 s16, s5, s26
	s_sub_i32 s16, s6, s16
	s_mul_hi_u32 s17, s16, s27
	s_add_i32 s17, s16, s17
	s_lshr_b32 s21, s17, s28
	s_mul_i32 s17, s21, s29
	s_sub_i32 s16, s16, s17
	;; [unrolled: 5-line block ×3, first 2 shown]
	s_mul_hi_u32 s16, s15, s12
	s_add_i32 s15, s15, s16
	s_lshr_b32 s23, s15, s13
	s_lshl_b32 s15, s23, 6
	s_add_i32 s15, s15, s3
	s_cmp_lt_i32 s15, s8
	s_cselect_b64 s[16:17], -1, 0
	s_add_i32 s15, s20, s4
	s_cmp_lt_i32 s15, s10
	s_cselect_b64 s[18:19], -1, 0
	s_and_b64 s[16:17], s[16:17], s[18:19]
	s_andn2_b64 vcc, exec, s[16:17]
	s_cbranch_vccnz .LBB55_23
; %bb.8:
	s_load_dwordx4 s[16:19], s[0:1], 0x0
	s_mov_b32 s0, 0
	s_lshl_b32 s24, s22, 8
	s_mov_b32 s25, s0
	s_add_i32 s15, s3, s4
	s_waitcnt lgkmcnt(0)
	v_mov_b32_e32 v2, s16
	v_mov_b32_e32 v3, s17
	s_lshl_b64 s[16:17], s[24:25], 2
	s_add_u32 s16, s18, s16
	s_mul_i32 s1, s5, s8
	s_addc_u32 s17, s19, s17
	s_add_i32 s1, s1, s3
	s_mul_i32 s1, s1, s9
	s_mul_i32 s21, s21, s10
	s_add_i32 s1, s1, s4
	s_add_i32 s1, s1, s21
	s_mul_i32 s5, s9, s23
	s_add_i32 s1, s1, s20
	s_lshl_b32 s5, s5, 12
	s_lshl_b32 s1, s1, 6
	s_add_i32 s5, s5, s1
	v_or_b32_e32 v4, s5, v0
	v_ashrrev_i32_e32 v5, 31, v4
	v_lshl_add_u64 v[2:3], v[4:5], 2, v[2:3]
	global_load_dword v1, v[2:3], off
	v_cvt_f32_u32_e32 v4, s22
	s_lshl_b32 s1, s2, 6
	s_add_i32 s4, s1, s15
	s_ashr_i32 s5, s4, 31
	s_lshl_b64 s[4:5], s[4:5], 3
	v_rcp_iflag_f32_e32 v4, v4
	s_add_u32 s4, s18, s4
	s_addc_u32 s5, s19, s5
	s_load_dwordx2 s[4:5], s[4:5], 0x0
	v_mul_f32_e32 v4, 0x4f7ffffe, v4
	v_cvt_u32_f32_e32 v7, v4
	s_add_i32 s24, s2, -1
	v_lshl_or_b32 v6, s15, 6, v0
	s_waitcnt lgkmcnt(0)
	v_mov_b32_e32 v0, s5
	v_mov_b32_e32 v9, s4
	s_mov_b32 s10, 0x3fb8aa3b
	s_mov_b32 s20, 0xc2ce8ed0
	;; [unrolled: 1-line block ×4, first 2 shown]
	v_mov_b32_e32 v8, 0x7f800000
	s_mul_hi_i32 s1, s24, s11
	s_cmp_lg_u64 s[0:1], 0
	s_mul_i32 s8, s24, s11
	s_cbranch_scc0 .LBB55_19
.LBB55_9:
	s_add_u32 s2, s22, 0
	s_addc_u32 s3, 0, 0
	s_xor_b64 s[2:3], s[2:3], 0
	v_cvt_f32_u32_e32 v4, s2
	v_cvt_f32_u32_e32 v5, s3
	s_sub_u32 s9, 0, s2
	s_subb_u32 s25, 0, s3
	v_fmac_f32_e32 v4, 0x4f800000, v5
	v_rcp_f32_e32 v4, v4
	s_nop 0
	v_mul_f32_e32 v4, 0x5f7ffffc, v4
	v_mul_f32_e32 v5, 0x2f800000, v4
	v_trunc_f32_e32 v5, v5
	v_fmac_f32_e32 v4, 0xcf800000, v5
	v_cvt_u32_f32_e32 v5, v5
	v_cvt_u32_f32_e32 v4, v4
	v_readfirstlane_b32 s26, v5
	v_readfirstlane_b32 s4, v4
	s_mul_i32 s5, s9, s26
	s_mul_hi_u32 s28, s9, s4
	s_mul_i32 s27, s25, s4
	s_add_i32 s5, s28, s5
	s_mul_i32 s29, s9, s4
	s_add_i32 s5, s5, s27
	s_mul_i32 s28, s4, s5
	s_mul_hi_u32 s30, s4, s29
	s_mul_hi_u32 s27, s4, s5
	s_add_u32 s28, s30, s28
	s_addc_u32 s27, 0, s27
	s_mul_hi_u32 s31, s26, s29
	s_mul_i32 s29, s26, s29
	s_add_u32 s28, s28, s29
	s_mul_hi_u32 s30, s26, s5
	s_addc_u32 s27, s27, s31
	s_addc_u32 s28, s30, 0
	s_mul_i32 s5, s26, s5
	s_add_u32 s5, s27, s5
	s_addc_u32 s27, 0, s28
	s_add_u32 s28, s4, s5
	s_cselect_b64 s[4:5], -1, 0
	s_cmp_lg_u64 s[4:5], 0
	s_addc_u32 s26, s26, s27
	s_mul_i32 s4, s9, s26
	s_mul_hi_u32 s5, s9, s28
	s_add_i32 s4, s5, s4
	s_mul_i32 s25, s25, s28
	s_add_i32 s4, s4, s25
	s_mul_i32 s9, s9, s28
	s_mul_hi_u32 s25, s26, s9
	s_mul_i32 s27, s26, s9
	s_mul_i32 s30, s28, s4
	s_mul_hi_u32 s9, s28, s9
	s_mul_hi_u32 s29, s28, s4
	s_add_u32 s9, s9, s30
	s_addc_u32 s29, 0, s29
	s_add_u32 s9, s9, s27
	s_mul_hi_u32 s5, s26, s4
	s_addc_u32 s9, s29, s25
	s_addc_u32 s5, s5, 0
	s_mul_i32 s4, s26, s4
	s_add_u32 s4, s9, s4
	s_addc_u32 s9, 0, s5
	s_add_u32 s25, s28, s4
	s_cselect_b64 s[4:5], -1, 0
	s_cmp_lg_u64 s[4:5], 0
	s_addc_u32 s9, s26, s9
	s_ashr_i32 s4, s1, 31
	s_add_u32 s26, s8, s4
	s_mov_b32 s5, s4
	s_addc_u32 s27, s1, s4
	s_xor_b64 s[26:27], s[26:27], s[4:5]
	s_mul_i32 s28, s26, s9
	s_mul_hi_u32 s29, s26, s25
	s_mul_hi_u32 s1, s26, s9
	s_add_u32 s28, s29, s28
	s_addc_u32 s1, 0, s1
	s_mul_hi_u32 s30, s27, s25
	s_mul_i32 s25, s27, s25
	s_add_u32 s25, s28, s25
	s_mul_hi_u32 s29, s27, s9
	s_addc_u32 s1, s1, s30
	s_addc_u32 s25, s29, 0
	s_mul_i32 s9, s27, s9
	s_add_u32 s1, s1, s9
	s_addc_u32 s9, 0, s25
	s_mul_i32 s25, s2, s9
	s_mul_hi_u32 s28, s2, s1
	s_add_i32 s25, s28, s25
	s_mul_i32 s28, s3, s1
	s_add_i32 s25, s25, s28
	s_sub_i32 s30, s27, s25
	s_mul_i32 s28, s2, s1
	s_sub_u32 s26, s26, s28
	s_cselect_b64 s[28:29], -1, 0
	s_cmp_lg_u64 s[28:29], 0
	s_subb_u32 s33, s30, s3
	s_sub_u32 s34, s26, s2
	s_cselect_b64 s[30:31], -1, 0
	s_cmp_lg_u64 s[30:31], 0
	s_subb_u32 s30, s33, 0
	s_cmp_ge_u32 s30, s3
	s_cselect_b32 s31, -1, 0
	s_cmp_ge_u32 s34, s2
	s_cselect_b32 s33, -1, 0
	s_cmp_eq_u32 s30, s3
	s_cselect_b32 s30, s33, s31
	s_add_u32 s31, s1, 1
	s_addc_u32 s33, s9, 0
	s_add_u32 s34, s1, 2
	s_addc_u32 s35, s9, 0
	s_cmp_lg_u32 s30, 0
	s_cselect_b32 s30, s34, s31
	s_cselect_b32 s31, s35, s33
	s_cmp_lg_u64 s[28:29], 0
	s_subb_u32 s25, s27, s25
	s_cmp_ge_u32 s25, s3
	s_cselect_b32 s27, -1, 0
	s_cmp_ge_u32 s26, s2
	s_cselect_b32 s2, -1, 0
	s_cmp_eq_u32 s25, s3
	s_cselect_b32 s2, s2, s27
	s_cmp_lg_u32 s2, 0
	s_cselect_b32 s3, s31, s9
	s_cselect_b32 s2, s30, s1
	s_xor_b64 s[4:5], s[4:5], 0
	s_xor_b64 s[2:3], s[2:3], s[4:5]
	s_sub_u32 s4, s2, s4
	s_cbranch_execnz .LBB55_11
.LBB55_10:
	s_sub_i32 s1, 0, s22
	v_readfirstlane_b32 s2, v7
	s_mul_i32 s1, s1, s2
	s_mul_hi_u32 s1, s2, s1
	s_add_i32 s2, s2, s1
	s_mul_hi_u32 s1, s8, s2
	s_mul_i32 s3, s1, s22
	s_sub_i32 s3, s8, s3
	s_add_i32 s2, s1, 1
	s_sub_i32 s4, s3, s22
	s_cmp_ge_u32 s3, s22
	s_cselect_b32 s1, s2, s1
	s_cselect_b32 s3, s4, s3
	s_add_i32 s2, s1, 1
	s_cmp_ge_u32 s3, s22
	s_cselect_b32 s4, s2, s1
.LBB55_11:
	s_cmp_lg_u32 s6, s4
	s_cbranch_scc0 .LBB55_15
; %bb.12:
	s_add_i32 s1, s24, s22
	s_lshl_b32 s1, s1, 6
	s_add_i32 s2, s1, s15
	s_mov_b32 s3, s0
	s_lshl_b64 s[2:3], s[2:3], 3
	s_add_u32 s8, s18, s2
	s_mul_hi_u32 s1, s4, s12
	s_addc_u32 s9, s19, s3
	s_add_i32 s1, s1, s4
	s_lshr_b32 s1, s1, s13
	s_mul_i32 s2, s1, s14
	s_cmp_eq_u32 s2, s4
	s_cselect_b64 s[2:3], -1, 0
	s_cmp_lt_u32 s1, s7
	s_cselect_b64 s[26:27], -1, 0
	s_or_b64 s[26:27], s[26:27], s[2:3]
	s_mov_b64 s[2:3], -1
	s_and_b64 vcc, exec, s[26:27]
	s_mov_b32 s1, s24
	s_mov_b32 s25, s6
	s_cbranch_vccnz .LBB55_14
; %bb.13:
	s_add_i32 s1, s24, -1
	s_mov_b64 s[2:3], 0
	s_mov_b32 s25, s4
.LBB55_14:
	v_lshl_add_u32 v4, s24, 12, v6
	v_ashrrev_i32_e32 v5, 31, v4
	v_lshl_add_u64 v[4:5], v[4:5], 2, s[16:17]
	global_load_dword v5, v[4:5], off
	s_load_dwordx2 s[4:5], s[8:9], 0x0
	v_max_f32_e32 v4, v9, v9
	s_waitcnt lgkmcnt(0)
	v_max_f32_e64 v10, s4, s4
	v_max_f32_e32 v10, v4, v10
	v_sub_f32_e32 v11, v9, v10
	v_sub_f32_e32 v13, s4, v10
	v_mul_f32_e32 v4, 0x3fb8aa3b, v11
	v_mul_f32_e32 v12, 0x3fb8aa3b, v13
	v_fma_f32 v14, v11, s10, -v4
	v_rndne_f32_e32 v15, v4
	v_fma_f32 v16, v13, s10, -v12
	v_rndne_f32_e32 v17, v12
	v_fmac_f32_e32 v14, 0x32a5705f, v11
	v_sub_f32_e32 v4, v4, v15
	v_fmac_f32_e32 v16, 0x32a5705f, v13
	v_sub_f32_e32 v12, v12, v17
	v_add_f32_e32 v4, v4, v14
	v_cvt_i32_f32_e32 v15, v15
	v_add_f32_e32 v12, v12, v16
	v_exp_f32_e32 v14, v4
	v_cvt_i32_f32_e32 v17, v17
	v_exp_f32_e32 v12, v12
	v_cmp_ngt_f32_e32 vcc, s20, v11
	v_ldexp_f32 v14, v14, v15
	v_mov_b32_e32 v4, s5
	v_ldexp_f32 v12, v12, v17
	v_cndmask_b32_e32 v14, 0, v14, vcc
	v_cmp_ngt_f32_e32 vcc, s20, v13
	s_nop 1
	v_cndmask_b32_e32 v12, 0, v12, vcc
	v_cmp_nlt_f32_e32 vcc, s21, v11
	s_nop 1
	v_cndmask_b32_e32 v14, v8, v14, vcc
	v_cmp_nlt_f32_e32 vcc, s21, v13
	s_nop 1
	v_cndmask_b32_e32 v15, v8, v12, vcc
	v_cmp_le_f32_e32 vcc, s23, v11
	s_nop 1
	v_cndmask_b32_e32 v12, 0, v14, vcc
	v_cmp_le_f32_e32 vcc, s23, v13
	s_nop 1
	v_cndmask_b32_e32 v14, 0, v15, vcc
	s_waitcnt vmcnt(0)
	v_pk_mul_f32 v[4:5], v[4:5], v[14:15] op_sel_hi:[1,0]
	s_nop 0
	v_pk_fma_f32 v[4:5], v[0:1], v[12:13], v[4:5] op_sel_hi:[1,0,1]
	s_cbranch_execz .LBB55_16
	s_branch .LBB55_17
.LBB55_15:
                                        ; implicit-def: $vgpr4_vgpr5
                                        ; implicit-def: $sgpr2_sgpr3
                                        ; implicit-def: $vgpr10
                                        ; implicit-def: $sgpr1
                                        ; implicit-def: $sgpr25
.LBB55_16:
	s_add_i32 s1, s24, -1
	s_mov_b64 s[2:3], 0
	s_mov_b32 s25, s6
	v_mov_b32_e32 v10, v9
	s_waitcnt vmcnt(0)
	v_mov_b64_e32 v[4:5], v[0:1]
.LBB55_17:
	s_andn2_b64 vcc, exec, s[2:3]
	s_cbranch_vccz .LBB55_22
; %bb.18:
	s_mov_b32 s6, s25
	s_mov_b32 s24, s1
	v_mov_b32_e32 v9, v10
	s_waitcnt vmcnt(0)
	v_mov_b64_e32 v[0:1], v[4:5]
	s_mul_hi_i32 s1, s24, s11
	s_cmp_lg_u64 s[0:1], 0
	s_mul_i32 s8, s24, s11
	s_cbranch_scc1 .LBB55_9
.LBB55_19:
                                        ; implicit-def: $sgpr4_sgpr5
	s_branch .LBB55_10
.LBB55_20:
                                        ; implicit-def: $sgpr6_sgpr7
	s_load_dwordx4 s[12:15], s[0:1], 0x44
	s_branch .LBB55_2
.LBB55_21:
                                        ; implicit-def: $sgpr18_sgpr19
	s_branch .LBB55_5
.LBB55_22:
	v_div_scale_f32 v0, s[0:1], v4, v4, v5
	s_waitcnt vmcnt(0)
	v_rcp_f32_e32 v1, v0
	v_div_scale_f32 v6, vcc, v5, v4, v5
	v_fma_f32 v7, -v0, v1, 1.0
	v_fmac_f32_e32 v1, v7, v1
	v_mul_f32_e32 v7, v6, v1
	v_fma_f32 v8, -v0, v7, v6
	v_fmac_f32_e32 v7, v8, v1
	v_fma_f32 v0, -v0, v7, v6
	v_div_fmas_f32 v0, v0, v1, v7
	v_div_fixup_f32 v0, v0, v4, v5
	global_store_dword v[2:3], v0, off
.LBB55_23:
	s_endpgm
	.section	.rodata,"a",@progbits
	.p2align	6, 0x0
	.amdhsa_kernel _ZL33flash_attn_stream_k_fixup_generalILi64ELi64ELi1EEvPfPK15HIP_vector_typeIfLj2EEiiiiS1_IjLj3EES5_S5_S5_
		.amdhsa_group_segment_fixed_size 0
		.amdhsa_private_segment_fixed_size 0
		.amdhsa_kernarg_size 336
		.amdhsa_user_sgpr_count 2
		.amdhsa_user_sgpr_dispatch_ptr 0
		.amdhsa_user_sgpr_queue_ptr 0
		.amdhsa_user_sgpr_kernarg_segment_ptr 1
		.amdhsa_user_sgpr_dispatch_id 0
		.amdhsa_user_sgpr_kernarg_preload_length 0
		.amdhsa_user_sgpr_kernarg_preload_offset 0
		.amdhsa_user_sgpr_private_segment_size 0
		.amdhsa_uses_dynamic_stack 0
		.amdhsa_enable_private_segment 0
		.amdhsa_system_sgpr_workgroup_id_x 1
		.amdhsa_system_sgpr_workgroup_id_y 1
		.amdhsa_system_sgpr_workgroup_id_z 1
		.amdhsa_system_sgpr_workgroup_info 0
		.amdhsa_system_vgpr_workitem_id 0
		.amdhsa_next_free_vgpr 18
		.amdhsa_next_free_sgpr 36
		.amdhsa_accum_offset 20
		.amdhsa_reserve_vcc 1
		.amdhsa_float_round_mode_32 0
		.amdhsa_float_round_mode_16_64 0
		.amdhsa_float_denorm_mode_32 3
		.amdhsa_float_denorm_mode_16_64 3
		.amdhsa_dx10_clamp 1
		.amdhsa_ieee_mode 1
		.amdhsa_fp16_overflow 0
		.amdhsa_tg_split 0
		.amdhsa_exception_fp_ieee_invalid_op 0
		.amdhsa_exception_fp_denorm_src 0
		.amdhsa_exception_fp_ieee_div_zero 0
		.amdhsa_exception_fp_ieee_overflow 0
		.amdhsa_exception_fp_ieee_underflow 0
		.amdhsa_exception_fp_ieee_inexact 0
		.amdhsa_exception_int_div_zero 0
	.end_amdhsa_kernel
	.section	.text._ZL33flash_attn_stream_k_fixup_generalILi64ELi64ELi1EEvPfPK15HIP_vector_typeIfLj2EEiiiiS1_IjLj3EES5_S5_S5_,"axG",@progbits,_ZL33flash_attn_stream_k_fixup_generalILi64ELi64ELi1EEvPfPK15HIP_vector_typeIfLj2EEiiiiS1_IjLj3EES5_S5_S5_,comdat
.Lfunc_end55:
	.size	_ZL33flash_attn_stream_k_fixup_generalILi64ELi64ELi1EEvPfPK15HIP_vector_typeIfLj2EEiiiiS1_IjLj3EES5_S5_S5_, .Lfunc_end55-_ZL33flash_attn_stream_k_fixup_generalILi64ELi64ELi1EEvPfPK15HIP_vector_typeIfLj2EEiiiiS1_IjLj3EES5_S5_S5_
                                        ; -- End function
	.set _ZL33flash_attn_stream_k_fixup_generalILi64ELi64ELi1EEvPfPK15HIP_vector_typeIfLj2EEiiiiS1_IjLj3EES5_S5_S5_.num_vgpr, 18
	.set _ZL33flash_attn_stream_k_fixup_generalILi64ELi64ELi1EEvPfPK15HIP_vector_typeIfLj2EEiiiiS1_IjLj3EES5_S5_S5_.num_agpr, 0
	.set _ZL33flash_attn_stream_k_fixup_generalILi64ELi64ELi1EEvPfPK15HIP_vector_typeIfLj2EEiiiiS1_IjLj3EES5_S5_S5_.numbered_sgpr, 36
	.set _ZL33flash_attn_stream_k_fixup_generalILi64ELi64ELi1EEvPfPK15HIP_vector_typeIfLj2EEiiiiS1_IjLj3EES5_S5_S5_.num_named_barrier, 0
	.set _ZL33flash_attn_stream_k_fixup_generalILi64ELi64ELi1EEvPfPK15HIP_vector_typeIfLj2EEiiiiS1_IjLj3EES5_S5_S5_.private_seg_size, 0
	.set _ZL33flash_attn_stream_k_fixup_generalILi64ELi64ELi1EEvPfPK15HIP_vector_typeIfLj2EEiiiiS1_IjLj3EES5_S5_S5_.uses_vcc, 1
	.set _ZL33flash_attn_stream_k_fixup_generalILi64ELi64ELi1EEvPfPK15HIP_vector_typeIfLj2EEiiiiS1_IjLj3EES5_S5_S5_.uses_flat_scratch, 0
	.set _ZL33flash_attn_stream_k_fixup_generalILi64ELi64ELi1EEvPfPK15HIP_vector_typeIfLj2EEiiiiS1_IjLj3EES5_S5_S5_.has_dyn_sized_stack, 0
	.set _ZL33flash_attn_stream_k_fixup_generalILi64ELi64ELi1EEvPfPK15HIP_vector_typeIfLj2EEiiiiS1_IjLj3EES5_S5_S5_.has_recursion, 0
	.set _ZL33flash_attn_stream_k_fixup_generalILi64ELi64ELi1EEvPfPK15HIP_vector_typeIfLj2EEiiiiS1_IjLj3EES5_S5_S5_.has_indirect_call, 0
	.section	.AMDGPU.csdata,"",@progbits
; Kernel info:
; codeLenInByte = 2932
; TotalNumSgprs: 42
; NumVgprs: 18
; NumAgprs: 0
; TotalNumVgprs: 18
; ScratchSize: 0
; MemoryBound: 0
; FloatMode: 240
; IeeeMode: 1
; LDSByteSize: 0 bytes/workgroup (compile time only)
; SGPRBlocks: 5
; VGPRBlocks: 2
; NumSGPRsForWavesPerEU: 42
; NumVGPRsForWavesPerEU: 18
; AccumOffset: 20
; Occupancy: 8
; WaveLimiterHint : 0
; COMPUTE_PGM_RSRC2:SCRATCH_EN: 0
; COMPUTE_PGM_RSRC2:USER_SGPR: 2
; COMPUTE_PGM_RSRC2:TRAP_HANDLER: 0
; COMPUTE_PGM_RSRC2:TGID_X_EN: 1
; COMPUTE_PGM_RSRC2:TGID_Y_EN: 1
; COMPUTE_PGM_RSRC2:TGID_Z_EN: 1
; COMPUTE_PGM_RSRC2:TIDIG_COMP_CNT: 0
; COMPUTE_PGM_RSRC3_GFX90A:ACCUM_OFFSET: 4
; COMPUTE_PGM_RSRC3_GFX90A:TG_SPLIT: 0
	.section	.text._ZL15flash_attn_tileILi64ELi64ELi32ELi1ELb0EEvPKcS1_S1_S1_S1_PKiPfP15HIP_vector_typeIfLj2EEffffjfiS5_IjLj3EEiiiiiiiiiiiliiliiiiil,"axG",@progbits,_ZL15flash_attn_tileILi64ELi64ELi32ELi1ELb0EEvPKcS1_S1_S1_S1_PKiPfP15HIP_vector_typeIfLj2EEffffjfiS5_IjLj3EEiiiiiiiiiiiliiliiiiil,comdat
	.globl	_ZL15flash_attn_tileILi64ELi64ELi32ELi1ELb0EEvPKcS1_S1_S1_S1_PKiPfP15HIP_vector_typeIfLj2EEffffjfiS5_IjLj3EEiiiiiiiiiiiliiliiiiil ; -- Begin function _ZL15flash_attn_tileILi64ELi64ELi32ELi1ELb0EEvPKcS1_S1_S1_S1_PKiPfP15HIP_vector_typeIfLj2EEffffjfiS5_IjLj3EEiiiiiiiiiiiliiliiiiil
	.p2align	8
	.type	_ZL15flash_attn_tileILi64ELi64ELi32ELi1ELb0EEvPKcS1_S1_S1_S1_PKiPfP15HIP_vector_typeIfLj2EEffffjfiS5_IjLj3EEiiiiiiiiiiiliiliiiiil,@function
_ZL15flash_attn_tileILi64ELi64ELi32ELi1ELb0EEvPKcS1_S1_S1_S1_PKiPfP15HIP_vector_typeIfLj2EEffffjfiS5_IjLj3EEiiiiiiiiiiiliiliiiiil: ; @_ZL15flash_attn_tileILi64ELi64ELi32ELi1ELb0EEvPKcS1_S1_S1_S1_PKiPfP15HIP_vector_typeIfLj2EEffffjfiS5_IjLj3EEiiiiiiiiiiiliiliiiiil
; %bb.0:
	s_load_dwordx4 s[24:27], s[0:1], 0x5c
	s_load_dwordx2 s[38:39], s[0:1], 0x80
	s_load_dwordx2 s[40:41], s[0:1], 0xb8
	s_mov_b64 s[36:37], 0
	s_waitcnt lgkmcnt(0)
	v_cvt_f32_u32_e32 v1, s27
	s_sub_i32 s5, 0, s27
	v_rcp_iflag_f32_e32 v1, v1
	s_nop 0
	v_mul_f32_e32 v1, 0x4f7ffffe, v1
	v_cvt_u32_f32_e32 v1, v1
	s_nop 0
	v_readfirstlane_b32 s6, v1
	s_mul_i32 s5, s5, s6
	s_mul_hi_u32 s5, s6, s5
	s_add_i32 s6, s6, s5
	s_mul_hi_u32 s5, s4, s6
	s_mul_i32 s6, s5, s27
	s_sub_i32 s6, s4, s6
	s_add_i32 s7, s5, 1
	s_sub_i32 s8, s6, s27
	s_cmp_ge_u32 s6, s27
	s_cselect_b32 s5, s7, s5
	s_cselect_b32 s6, s8, s6
	s_add_i32 s7, s5, 1
	s_cmp_ge_u32 s6, s27
	s_cselect_b32 s33, s7, s5
	s_abs_i32 s5, s39
	v_cvt_f32_u32_e32 v1, s5
	s_mul_i32 s8, s33, s27
	s_sub_i32 s9, 0, s5
	s_sub_i32 s34, s4, s8
	v_rcp_iflag_f32_e32 v1, v1
	s_abs_i32 s7, s27
	s_xor_b32 s6, s27, s39
	s_ashr_i32 s6, s6, 31
	v_mul_f32_e32 v1, 0x4f7ffffe, v1
	v_cvt_u32_f32_e32 v1, v1
	s_nop 0
	v_readfirstlane_b32 s4, v1
	s_mul_i32 s9, s9, s4
	s_mul_hi_u32 s8, s4, s9
	s_add_i32 s4, s4, s8
	s_mul_hi_u32 s4, s7, s4
	s_mul_i32 s8, s4, s5
	s_sub_i32 s7, s7, s8
	s_add_i32 s9, s4, 1
	s_sub_i32 s8, s7, s5
	s_cmp_ge_u32 s7, s5
	s_cselect_b32 s4, s9, s4
	s_cselect_b32 s7, s8, s7
	s_add_i32 s8, s4, 1
	s_cmp_ge_u32 s7, s5
	s_cselect_b32 s4, s8, s4
	s_xor_b32 s4, s4, s6
	s_sub_i32 s43, s4, s6
	s_abs_i32 s39, s43
	v_cvt_f32_u32_e32 v1, s39
	s_load_dwordx16 s[8:23], s[0:1], 0x0
	s_sub_i32 s4, 0, s39
	s_abs_i32 s42, s34
	v_rcp_iflag_f32_e32 v1, v1
	s_nop 0
	v_mul_f32_e32 v1, 0x4f7ffffe, v1
	v_cvt_u32_f32_e32 v1, v1
	s_nop 0
	v_readfirstlane_b32 s5, v1
	s_mul_i32 s4, s4, s5
	s_mul_hi_u32 s4, s5, s4
	s_add_i32 s4, s5, s4
	s_waitcnt lgkmcnt(0)
	s_cmp_eq_u64 s[14:15], 0
	s_cbranch_scc1 .LBB56_2
; %bb.1:
	s_abs_i32 s5, s40
	v_cvt_f32_u32_e32 v1, s5
	s_sub_i32 s30, 0, s5
	s_abs_i32 s29, s33
	s_ashr_i32 s28, s33, 31
	v_rcp_iflag_f32_e32 v1, v1
	s_load_dwordx2 s[6:7], s[0:1], 0xc8
	v_mul_f32_e32 v1, 0x4f7ffffe, v1
	v_cvt_u32_f32_e32 v1, v1
	s_nop 0
	v_readfirstlane_b32 s31, v1
	s_mul_i32 s30, s30, s31
	s_mul_hi_u32 s30, s31, s30
	s_add_i32 s31, s31, s30
	s_mul_hi_u32 s30, s29, s31
	s_mul_i32 s30, s30, s5
	s_sub_i32 s29, s29, s30
	s_sub_i32 s30, s29, s5
	s_cmp_ge_u32 s29, s5
	s_cselect_b32 s29, s30, s29
	s_sub_i32 s30, s29, s5
	s_cmp_ge_u32 s29, s5
	s_cselect_b32 s5, s30, s29
	s_xor_b32 s5, s5, s28
	s_sub_i32 s5, s5, s28
	s_ashr_i32 s28, s5, 31
	s_waitcnt lgkmcnt(0)
	s_mul_hi_u32 s29, s6, s5
	s_mul_i32 s28, s6, s28
	s_mul_i32 s7, s7, s5
	s_add_i32 s28, s29, s28
	s_add_i32 s28, s28, s7
	s_mul_i32 s5, s6, s5
	s_add_u32 s36, s14, s5
	s_addc_u32 s37, s15, s28
.LBB56_2:
	s_load_dwordx4 s[28:31], s[0:1], 0x40
	s_mul_hi_u32 s14, s42, s4
	s_load_dword s4, s[0:1], 0x50
	v_mov_b32_e32 v36, 1.0
	s_waitcnt lgkmcnt(0)
	v_cmp_le_f32_e64 s[6:7], s29, 0
	s_and_b64 vcc, exec, s[6:7]
	s_cbranch_vccnz .LBB56_4
; %bb.3:
	v_mov_b32_e32 v1, s4
	v_sub_co_u32_e32 v1, vcc, s34, v1
	v_mov_b32_e32 v2, s31
	v_mov_b32_e32 v3, s30
	s_add_i32 s4, s34, 1
	v_lshlrev_b32_e32 v1, 1, v1
	v_cndmask_b32_e32 v2, v2, v3, vcc
	v_or_b32_e32 v1, 1, v1
	v_mov_b32_e32 v3, s4
	v_cndmask_b32_e32 v1, v1, v3, vcc
	v_cvt_f32_i32_e32 v1, v1
	v_cmp_neq_f32_e32 vcc, 1.0, v2
	s_mov_b32 s4, 0x3f2aaaab
	s_movk_i32 s6, 0x204
	v_cndmask_b32_e32 v1, 1.0, v1, vcc
	v_cmp_neq_f32_e32 vcc, 0, v1
	s_mov_b32 s5, 0x42b17218
	s_mov_b32 s7, 0x3fb8aa3b
	v_cndmask_b32_e32 v18, 1.0, v2, vcc
	v_frexp_mant_f32_e64 v2, |v18|
	v_cmp_gt_f32_e32 vcc, s4, v2
	s_mov_b32 s4, 0x3f317218
	s_brev_b32 s15, -2
	v_cndmask_b32_e64 v3, 1.0, 2.0, vcc
	v_mul_f32_e32 v2, v2, v3
	v_add_f32_e32 v5, 1.0, v2
	v_rcp_f32_e32 v10, v5
	v_add_f32_e32 v3, -1.0, v5
	v_sub_f32_e32 v7, v2, v3
	v_add_f32_e32 v3, -1.0, v2
	v_mul_f32_e32 v11, v3, v10
	v_mul_f32_e32 v4, v5, v11
	v_fma_f32 v6, v11, v5, -v4
	v_fmac_f32_e32 v6, v11, v7
	v_add_f32_e32 v2, v4, v6
	v_sub_f32_e32 v5, v3, v2
	v_pk_add_f32 v[8:9], v[2:3], v[4:5] neg_lo:[0,1] neg_hi:[0,1]
	v_mov_b32_e32 v7, v2
	v_pk_add_f32 v[2:3], v[8:9], v[6:7] neg_lo:[0,1] neg_hi:[0,1]
	v_mov_b32_e32 v6, 0x3e91f4c4
	v_add_f32_e32 v2, v2, v3
	v_add_f32_e32 v2, v5, v2
	v_mul_f32_e32 v3, v10, v2
	v_add_f32_e32 v2, v11, v3
	v_sub_f32_e32 v4, v2, v11
	v_sub_f32_e32 v12, v3, v4
	v_mul_f32_e32 v3, v2, v2
	v_fma_f32 v5, v2, v2, -v3
	v_add_f32_e32 v4, v12, v12
	v_fmac_f32_e32 v5, v2, v4
	v_add_f32_e32 v4, v3, v5
	v_fmac_f32_e32 v6, 0x3e76c4e1, v4
	v_fmaak_f32 v6, v4, v6, 0x3ecccdef
	v_sub_f32_e32 v3, v4, v3
	v_sub_f32_e32 v13, v5, v3
	v_mul_f32_e32 v3, v4, v6
	v_fma_f32 v5, v4, v6, -v3
	v_fmac_f32_e32 v5, v13, v6
	v_add_f32_e32 v6, v3, v5
	v_add_f32_e32 v7, 0x3f2aaaaa, v6
	v_sub_f32_e32 v3, v6, v3
	v_sub_f32_e32 v3, v5, v3
	v_add_f32_e32 v5, 0xbf2aaaaa, v7
	v_add_f32_e32 v3, 0x31739010, v3
	v_sub_f32_e32 v5, v6, v5
	v_pk_mul_f32 v[8:9], v[2:3], v[4:5]
	v_pk_add_f32 v[10:11], v[2:3], v[4:5]
	v_fma_f32 v6, v4, v2, -v8
	v_fmac_f32_e32 v6, v4, v12
	v_mov_b32_e32 v9, v11
	v_fmac_f32_e32 v6, v13, v2
	v_pk_add_f32 v[4:5], v[8:9], v[6:7]
	v_ldexp_f32 v14, v12, 1
	v_sub_f32_e32 v3, v4, v8
	v_sub_f32_e32 v3, v6, v3
	;; [unrolled: 1-line block ×3, first 2 shown]
	v_add_f32_e32 v9, v11, v6
	v_pk_mul_f32 v[6:7], v[4:5], v[4:5] op_sel:[0,1] op_sel_hi:[1,0]
	v_cvt_f64_f32_e64 v[10:11], |v18|
	v_frexp_exp_i32_f64_e32 v7, v[10:11]
	v_subbrev_co_u32_e32 v7, vcc, 0, v7, vcc
	v_cvt_f32_i32_e32 v7, v7
	v_fma_f32 v8, v4, v5, -v6
	v_fmac_f32_e32 v8, v4, v9
	v_fmac_f32_e32 v8, v3, v5
	v_mul_f32_e32 v4, 0x3f317218, v7
	v_fma_f32 v3, v7, s4, -v4
	v_fmamk_f32 v10, v7, 0xb102e308, v3
	v_ldexp_f32 v11, v2, 1
	v_add_f32_e32 v5, v6, v8
	v_pk_add_f32 v[2:3], v[4:5], v[10:11]
	v_mov_b32_e32 v12, v5
	v_mov_b32_e32 v13, v3
	;; [unrolled: 1-line block ×3, first 2 shown]
	v_pk_add_f32 v[6:7], v[12:13], v[6:7] neg_lo:[0,1] neg_hi:[0,1]
	v_mov_b32_e32 v9, v5
	v_pk_add_f32 v[6:7], v[8:9], v[6:7] neg_lo:[0,1] neg_hi:[0,1]
	v_mov_b32_e32 v11, v2
	v_add_f32_e32 v5, v14, v6
	v_add_f32_e32 v5, v5, v7
	v_pk_add_f32 v[6:7], v[2:3], v[4:5] neg_lo:[0,1] neg_hi:[0,1]
	v_pk_add_f32 v[8:9], v[2:3], v[4:5]
	v_mov_b32_e32 v16, v3
	v_mov_b32_e32 v7, v9
	v_pk_add_f32 v[12:13], v[10:11], v[6:7] neg_lo:[0,1] neg_hi:[0,1]
	v_pk_add_f32 v[6:7], v[10:11], v[6:7]
	v_mov_b32_e32 v4, v5
	v_pk_add_f32 v[10:11], v[6:7], v[2:3] op_sel:[1,0] op_sel_hi:[0,1] neg_lo:[0,1] neg_hi:[0,1]
	v_pk_add_f32 v[14:15], v[8:9], v[10:11] op_sel_hi:[1,0] neg_lo:[0,1] neg_hi:[0,1]
	v_mov_b32_e32 v8, v9
	v_mov_b32_e32 v9, v7
	v_mov_b32_e32 v17, v10
	v_pk_add_f32 v[8:9], v[8:9], v[16:17] neg_lo:[0,1] neg_hi:[0,1]
	v_mov_b32_e32 v5, v2
	v_pk_add_f32 v[2:3], v[4:5], v[8:9] neg_lo:[0,1] neg_hi:[0,1]
	v_mov_b32_e32 v14, v12
	v_pk_add_f32 v[4:5], v[14:15], v[2:3]
	v_mov_b32_e32 v13, v7
	v_pk_add_f32 v[8:9], v[4:5], v[4:5] op_sel:[0,1] op_sel_hi:[1,0]
	s_mov_b32 s4, 0x7f800000
	v_pk_add_f32 v[6:7], v[6:7], v[8:9] op_sel:[1,0] op_sel_hi:[0,1]
	v_mov_b32_e32 v5, v6
	v_pk_add_f32 v[10:11], v[4:5], v[12:13] neg_lo:[0,1] neg_hi:[0,1]
	v_mov_b32_e32 v3, v8
	v_sub_f32_e32 v4, v4, v10
	v_pk_add_f32 v[2:3], v[2:3], v[10:11] neg_lo:[0,1] neg_hi:[0,1]
	v_sub_f32_e32 v4, v12, v4
	v_add_f32_e32 v2, v2, v4
	v_add_f32_e32 v2, v2, v3
	;; [unrolled: 1-line block ×3, first 2 shown]
	v_sub_f32_e32 v4, v3, v6
	v_sub_f32_e32 v2, v2, v4
	v_mul_f32_e32 v4, v1, v3
	v_fma_f32 v3, v1, v3, -v4
	v_fmac_f32_e32 v3, v1, v2
	v_add_f32_e32 v2, v4, v3
	v_cmp_class_f32_e64 vcc, v4, s6
	v_sub_f32_e32 v5, v2, v4
	v_sub_f32_e32 v3, v3, v5
	v_cndmask_b32_e32 v2, v2, v4, vcc
	v_mov_b32_e32 v4, 0x37000000
	v_cmp_eq_f32_e32 vcc, s5, v2
	v_cmp_class_f32_e64 s[30:31], v18, s6
	s_nop 0
	v_cndmask_b32_e32 v4, 0, v4, vcc
	v_sub_f32_e32 v5, v2, v4
	v_mul_f32_e32 v6, 0x3fb8aa3b, v5
	v_fma_f32 v7, v5, s7, -v6
	v_rndne_f32_e32 v8, v6
	v_fmamk_f32 v7, v5, 0x32a5705f, v7
	v_sub_f32_e32 v6, v6, v8
	v_add_f32_e32 v6, v6, v7
	v_exp_f32_e32 v6, v6
	v_cvt_i32_f32_e32 v7, v8
	v_cmp_neq_f32_e64 vcc, |v2|, s4
	s_mov_b32 s4, 0xc2ce8ed0
	s_nop 0
	v_cndmask_b32_e32 v2, 0, v3, vcc
	v_ldexp_f32 v3, v6, v7
	v_cmp_ngt_f32_e32 vcc, s4, v5
	v_add_f32_e32 v2, v4, v2
	v_mov_b32_e32 v4, 0x7f800000
	v_cndmask_b32_e32 v3, 0, v3, vcc
	v_cmp_nlt_f32_e32 vcc, s5, v5
	v_mov_b32_e32 v5, 0x7fc00000
	s_nop 0
	v_cndmask_b32_e32 v3, v4, v3, vcc
	v_fma_f32 v2, v3, v2, v3
	v_cmp_class_f32_e64 vcc, v3, s6
	v_cmp_gt_f32_e64 s[6:7], 0, v1
	s_nop 0
	v_cndmask_b32_e32 v2, v2, v3, vcc
	v_trunc_f32_e32 v3, v1
	v_cmp_eq_f32_e32 vcc, v3, v1
	v_mul_f32_e32 v3, 0.5, v1
	v_trunc_f32_e32 v6, v3
	v_cmp_neq_f32_e64 s[4:5], v6, v3
	s_and_b64 s[4:5], vcc, s[4:5]
	s_nop 0
	v_cndmask_b32_e64 v3, 1.0, v18, s[4:5]
	v_bfi_b32 v2, s15, v2, v3
	v_cndmask_b32_e32 v3, v5, v2, vcc
	v_cmp_gt_f32_e32 vcc, 0, v18
	s_nop 1
	v_cndmask_b32_e32 v2, v2, v3, vcc
	v_cmp_eq_f32_e32 vcc, 0, v18
	s_xor_b64 s[6:7], s[6:7], vcc
	v_cndmask_b32_e64 v1, v4, 0, s[6:7]
	v_cndmask_b32_e64 v3, 0, v18, s[4:5]
	v_bfi_b32 v1, s15, v1, v3
	s_or_b64 vcc, vcc, s[30:31]
	v_cndmask_b32_e32 v1, v2, v1, vcc
	v_cmp_o_f32_e32 vcc, v18, v18
	s_nop 1
	v_cndmask_b32_e32 v36, v5, v1, vcc
.LBB56_4:
	s_load_dwordx4 s[44:47], s[0:1], 0x70
	v_bfe_u32 v1, v0, 10, 10
	s_lshl_b32 s29, s2, 5
	v_lshlrev_b32_e32 v31, 2, v1
	s_ashr_i32 s35, s34, 31
	s_waitcnt lgkmcnt(0)
	s_mul_i32 s5, s33, s46
	s_ashr_i32 s4, s43, 31
	s_ashr_i32 s7, s5, 31
	v_add_u32_e32 v33, s29, v31
	s_mul_i32 s6, s34, s45
	s_add_u32 s5, s8, s5
	v_and_b32_e32 v20, 0x3ff, v0
	v_mul_hi_u32 v0, v33, s24
	s_addc_u32 s7, s9, s7
	s_ashr_i32 s8, s6, 31
	v_add_u32_e32 v0, v33, v0
	s_add_u32 s6, s5, s6
	v_lshrrev_b32_e32 v0, s25, v0
	s_addc_u32 s7, s7, s8
	s_ashr_i32 s45, s44, 31
	v_mul_lo_u32 v0, v0, s26
	s_lshr_b64 s[8:9], s[44:45], 2
	v_lshlrev_b32_e32 v10, 3, v20
	v_mov_b32_e32 v11, 0
	v_sub_u32_e32 v0, v33, v0
	v_lshl_add_u64 v[2:3], s[6:7], 0, v[10:11]
	v_mad_u64_u32 v[4:5], s[6:7], s8, v0, 0
	v_mov_b32_e32 v6, v5
	s_lshr_b32 s5, s45, 2
	v_or_b32_e32 v30, 1, v31
	v_mad_u64_u32 v[6:7], s[6:7], s5, v0, v[6:7]
	v_add_u32_e32 v32, s29, v30
	v_mov_b32_e32 v5, v6
	v_mul_hi_u32 v6, v32, s24
	v_add_u32_e32 v6, v32, v6
	v_lshrrev_b32_e32 v6, s25, v6
	v_mul_lo_u32 v6, v6, s26
	v_sub_u32_e32 v9, v32, v6
	v_mad_u64_u32 v[6:7], s[6:7], s8, v9, 0
	v_mov_b32_e32 v8, v7
	v_or_b32_e32 v28, 2, v31
	v_mad_u64_u32 v[8:9], s[6:7], s5, v9, v[8:9]
	v_add_u32_e32 v29, s29, v28
	v_mov_b32_e32 v7, v8
	v_mul_hi_u32 v8, v29, s24
	v_add_u32_e32 v8, v29, v8
	v_lshrrev_b32_e32 v8, s25, v8
	v_mul_lo_u32 v8, v8, s26
	v_sub_u32_e32 v13, v29, v8
	v_mad_u64_u32 v[8:9], s[6:7], s8, v13, 0
	v_mov_b32_e32 v12, v9
	v_mad_u64_u32 v[12:13], s[6:7], s5, v13, v[12:13]
	v_or_b32_e32 v26, 3, v31
	v_lshl_add_u64 v[4:5], v[4:5], 2, v[2:3]
	v_mov_b32_e32 v9, v12
	v_add_u32_e32 v27, s29, v26
	v_lshl_add_u64 v[6:7], v[6:7], 2, v[2:3]
	v_lshl_add_u64 v[8:9], v[8:9], 2, v[2:3]
	global_load_dwordx2 v[12:13], v[4:5], off
	global_load_dwordx2 v[14:15], v[6:7], off
	;; [unrolled: 1-line block ×3, first 2 shown]
	v_mul_hi_u32 v4, v27, s24
	v_add_u32_e32 v4, v27, v4
	v_lshrrev_b32_e32 v4, s25, v4
	v_mul_lo_u32 v4, v4, s26
	v_sub_u32_e32 v7, v27, v4
	v_mad_u64_u32 v[4:5], s[6:7], s8, v7, 0
	v_mov_b32_e32 v6, v5
	v_mad_u64_u32 v[6:7], s[6:7], s5, v7, v[6:7]
	v_mov_b32_e32 v5, v6
	v_lshl_add_u64 v[2:3], v[4:5], 2, v[2:3]
	global_load_dwordx2 v[2:3], v[2:3], off
	v_mov_b32_e32 v4, 0x3400
	v_lshl_add_u32 v4, v20, 2, v4
	v_lshlrev_b32_e32 v34, 9, v1
	v_add_u32_e32 v1, v4, v34
	v_lshl_add_u32 v5, v30, 7, v4
	v_lshl_add_u32 v6, v28, 7, v4
	s_cmp_eq_u64 s[18:19], 0
	s_waitcnt vmcnt(3)
	v_fma_mixlo_f16 v8, s28, v13, 0
	v_fma_mixlo_f16 v7, s28, v12, 0
	s_waitcnt vmcnt(2)
	v_fma_mixlo_f16 v9, s28, v14, 0
	v_fma_mixlo_f16 v12, s28, v15, 0
	s_waitcnt vmcnt(1)
	v_fma_mixlo_f16 v14, s28, v17, 0
	v_lshlrev_b32_e32 v8, 16, v8
	v_fma_mixlo_f16 v13, s28, v16, 0
	v_lshlrev_b32_e32 v12, 16, v12
	v_lshlrev_b32_e32 v14, 16, v14
	v_or_b32_sdwa v7, v8, v7 dst_sel:DWORD dst_unused:UNUSED_PAD src0_sel:DWORD src1_sel:WORD_0
	v_or_b32_sdwa v8, v12, v9 dst_sel:DWORD dst_unused:UNUSED_PAD src0_sel:DWORD src1_sel:WORD_0
	;; [unrolled: 1-line block ×3, first 2 shown]
	ds_write_b32 v1, v7
	ds_write_b32 v5, v8
	;; [unrolled: 1-line block ×3, first 2 shown]
	v_lshl_add_u32 v1, v26, 7, v4
	s_waitcnt vmcnt(0)
	v_fma_mixlo_f16 v3, s28, v3, 0
	v_fma_mixlo_f16 v2, s28, v2, 0
	v_lshlrev_b32_e32 v3, 16, v3
	v_or_b32_sdwa v2, v3, v2 dst_sel:DWORD dst_unused:UNUSED_PAD src0_sel:DWORD src1_sel:WORD_0
	ds_write_b32 v1, v2
	s_waitcnt lgkmcnt(0)
	s_barrier
	s_cbranch_scc1 .LBB56_6
; %bb.5:
	s_load_dword s5, s[0:1], 0xd0
	s_mov_b32 s7, 0
	s_waitcnt lgkmcnt(0)
	s_mul_i32 s5, s5, s33
	s_add_i32 s6, s5, s2
	s_lshl_b64 s[6:7], s[6:7], 2
	s_add_u32 s6, s18, s6
	s_addc_u32 s7, s19, s7
	s_load_dword s38, s[6:7], 0x0
.LBB56_6:
	s_nop 0
	s_load_dwordx2 s[6:7], s[0:1], 0x8c
	s_load_dwordx4 s[44:47], s[0:1], 0x98
	s_load_dwordx2 s[18:19], s[0:1], 0xa8
	s_ashr_i32 s5, s33, 31
	s_ashr_i32 s30, s41, 1
	s_waitcnt lgkmcnt(0)
	s_ashr_i32 s8, s6, 2
	s_mul_hi_u32 s6, s44, s33
	s_mul_i32 s9, s44, s5
	s_add_i32 s6, s6, s9
	s_mul_i32 s9, s45, s33
	s_ashr_i32 s2, s46, 2
	s_add_i32 s6, s6, s9
	s_mul_i32 s9, s44, s33
	s_add_u32 s9, s10, s9
	s_mul_i32 s10, s14, s39
	s_addc_u32 s6, s11, s6
	s_sub_i32 s10, s42, s10
	s_xor_b32 s4, s35, s4
	s_add_i32 s11, s14, 1
	s_sub_i32 s15, s10, s39
	s_cmp_ge_u32 s10, s39
	s_cselect_b32 s11, s11, s14
	s_cselect_b32 s10, s15, s10
	s_add_i32 s14, s11, 1
	s_cmp_ge_u32 s10, s39
	s_cselect_b32 s10, s14, s11
	s_xor_b32 s10, s10, s4
	s_sub_i32 s4, s10, s4
	s_mul_i32 s7, s4, s7
	s_ashr_i32 s10, s7, 31
	s_add_u32 s9, s9, s7
	s_addc_u32 s10, s6, s10
	s_mul_hi_u32 s6, s18, s33
	s_mul_i32 s5, s18, s5
	s_add_i32 s5, s6, s5
	s_mul_i32 s6, s19, s33
	s_add_i32 s5, s5, s6
	s_mul_i32 s6, s18, s33
	s_add_u32 s6, s12, s6
	s_mul_i32 s4, s4, s47
	s_addc_u32 s5, s13, s5
	s_ashr_i32 s7, s4, 31
	s_add_u32 s18, s6, s4
	s_addc_u32 s19, s5, s7
	s_lshl_b32 s28, s3, 6
	s_sub_i32 s11, s38, 64
	s_cmp_ge_i32 s28, s11
	v_mul_lo_u32 v21, v0, s30
	v_lshrrev_b32_e32 v46, 3, v20
	v_lshlrev_b32_e32 v35, 2, v20
	v_or_b32_e32 v43, 1, v33
	v_or_b32_e32 v42, 2, v33
	;; [unrolled: 1-line block ×3, first 2 shown]
	v_mbcnt_lo_u32_b32 v44, -1, 0
	s_cbranch_scc1 .LBB56_27
; %bb.7:
	v_mul_hi_u32 v8, s24, v43
	v_add_u32_e32 v8, v43, v8
	v_lshrrev_b32_e32 v8, s25, v8
	v_mul_lo_u32 v8, v8, s26
	v_sub_u32_e32 v8, v43, v8
	v_mul_lo_u32 v50, v8, s30
	v_mul_hi_u32 v8, s24, v42
	v_add_u32_e32 v8, v42, v8
	v_lshrrev_b32_e32 v8, s25, v8
	v_mul_lo_u32 v8, v8, s26
	v_sub_u32_e32 v8, v42, v8
	v_mul_lo_u32 v51, v8, s30
	v_mul_hi_u32 v8, s24, v41
	v_add_u32_e32 v8, v41, v8
	v_and_b32_e32 v0, 28, v35
	v_lshrrev_b32_e32 v8, s25, v8
	v_add_u32_e32 v6, v46, v31
	v_lshlrev_b32_e32 v7, 2, v0
	s_movk_i32 s4, 0x90
	s_cmp_lg_u64 s[36:37], 0
	v_mul_lo_u32 v8, v8, s26
	v_mad_u32_u24 v45, v6, s4, v7
	v_mul_lo_u32 v2, s8, v6
	s_cselect_b64 s[4:5], -1, 0
	v_sub_u32_e32 v8, v41, v8
	v_lshl_or_b32 v54, v6, 7, v7
	v_mul_lo_u32 v6, s2, v6
	v_mov_b32_e32 v1, 0
	v_lshl_add_u32 v4, s8, 5, v2
	v_mul_lo_u32 v52, v8, s30
	v_add_u32_e32 v53, 0x2400, v34
	v_lshl_add_u32 v16, s2, 5, v6
	s_add_u32 s6, s0, 0xd0
	v_cndmask_b32_e64 v8, 0, 1, s[4:5]
	v_ashrrev_i32_e32 v3, 31, v2
	v_add_u32_e32 v47, 0x1200, v45
	v_ashrrev_i32_e32 v5, 31, v4
	v_add_u32_e32 v48, 0x3400, v34
	v_mul_u32_u24_e32 v49, 0x90, v20
	v_ashrrev_i32_e32 v7, 31, v6
	v_add_u32_e32 v55, 0x1000, v54
	v_ashrrev_i32_e32 v17, 31, v16
	s_addc_u32 s7, s1, 0
	v_mov_b32_e32 v18, 0xfeffffff
	v_lshlrev_b32_e32 v0, 2, v0
	s_mov_b32 s12, 0x3fb8aa3b
	s_mov_b32 s13, 0xc2ce8ed0
	;; [unrolled: 1-line block ×4, first 2 shown]
	v_add_u32_e32 v56, v53, v10
	v_cmp_ne_u32_e64 s[4:5], 1, v8
	v_mbcnt_hi_u32_b32 v57, -1, v44
	v_mov_b32_e32 v58, 0x7f800000
	v_mov_b32_e32 v37, v1
	;; [unrolled: 1-line block ×12, first 2 shown]
.LBB56_8:                               ; =>This Inner Loop Header: Depth=1
	s_mul_hi_i32 s41, s28, s8
	s_mul_i32 s40, s28, s8
	s_lshl_b64 s[40:41], s[40:41], 2
	s_add_u32 s40, s9, s40
	s_addc_u32 s41, s10, s41
	v_lshl_add_u64 v[12:13], v[2:3], 2, s[40:41]
	v_lshl_add_u64 v[12:13], v[12:13], 0, v[0:1]
	;; [unrolled: 1-line block ×4, first 2 shown]
	global_load_dwordx4 v[64:67], v[12:13], off
	global_load_dwordx4 v[68:71], v[14:15], off
	v_mov_b32_e32 v61, 0
	v_mov_b32_e32 v23, 0
	;; [unrolled: 1-line block ×8, first 2 shown]
	s_and_b64 vcc, exec, s[4:5]
	s_waitcnt vmcnt(1)
	ds_write_b128 v45, v[64:67]
	s_waitcnt vmcnt(0)
	ds_write_b128 v47, v[68:71]
	s_waitcnt lgkmcnt(0)
	s_barrier
	ds_read_b128 v[64:67], v48
	ds_read_b128 v[68:71], v49
	ds_read_b128 v[72:75], v49 offset:4608
	ds_read_b128 v[76:79], v48 offset:128
	;; [unrolled: 1-line block ×4, first 2 shown]
	s_waitcnt lgkmcnt(4)
	;;#ASMSTART
	v_dot2_f32_f16 v61, v68, v64, v61
	;;#ASMEND
	s_nop 0
	;;#ASMSTART
	v_dot2_f32_f16 v61, v69, v65, v61
	;;#ASMEND
	s_nop 0
	;;#ASMSTART
	v_dot2_f32_f16 v61, v70, v66, v61
	;;#ASMEND
	s_nop 0
	;;#ASMSTART
	v_dot2_f32_f16 v61, v71, v67, v61
	;;#ASMEND
	s_waitcnt lgkmcnt(2)
	;;#ASMSTART
	v_dot2_f32_f16 v23, v68, v76, v23
	;;#ASMEND
	s_nop 0
	;;#ASMSTART
	v_dot2_f32_f16 v23, v69, v77, v23
	;;#ASMEND
	s_nop 0
	;;#ASMSTART
	v_dot2_f32_f16 v23, v70, v78, v23
	;;#ASMEND
	s_nop 0
	;;#ASMSTART
	v_dot2_f32_f16 v23, v71, v79, v23
	;;#ASMEND
	;; [unrolled: 16-line block ×4, first 2 shown]
	;;#ASMSTART
	v_dot2_f32_f16 v62, v72, v64, v62
	;;#ASMEND
	s_nop 0
	;;#ASMSTART
	v_dot2_f32_f16 v62, v73, v65, v62
	;;#ASMEND
	s_nop 0
	;;#ASMSTART
	v_dot2_f32_f16 v62, v74, v66, v62
	;;#ASMEND
	s_nop 0
	;;#ASMSTART
	v_dot2_f32_f16 v62, v75, v67, v62
	;;#ASMEND
	;;#ASMSTART
	v_dot2_f32_f16 v25, v72, v76, v25
	;;#ASMEND
	s_nop 0
	;;#ASMSTART
	v_dot2_f32_f16 v25, v73, v77, v25
	;;#ASMEND
	s_nop 0
	;;#ASMSTART
	v_dot2_f32_f16 v25, v74, v78, v25
	;;#ASMEND
	s_nop 0
	;;#ASMSTART
	v_dot2_f32_f16 v25, v75, v79, v25
	;;#ASMEND
	;; [unrolled: 15-line block ×4, first 2 shown]
	ds_read_b128 v[64:67], v48 offset:16
	ds_read_b128 v[68:71], v49 offset:16
	;; [unrolled: 1-line block ×6, first 2 shown]
	s_waitcnt lgkmcnt(4)
	;;#ASMSTART
	v_dot2_f32_f16 v61, v68, v64, v61
	;;#ASMEND
	s_nop 0
	;;#ASMSTART
	v_dot2_f32_f16 v61, v69, v65, v61
	;;#ASMEND
	s_nop 0
	;;#ASMSTART
	v_dot2_f32_f16 v61, v70, v66, v61
	;;#ASMEND
	s_nop 0
	;;#ASMSTART
	v_dot2_f32_f16 v61, v71, v67, v61
	;;#ASMEND
	s_waitcnt lgkmcnt(2)
	;;#ASMSTART
	v_dot2_f32_f16 v23, v68, v76, v23
	;;#ASMEND
	s_nop 0
	;;#ASMSTART
	v_dot2_f32_f16 v23, v69, v77, v23
	;;#ASMEND
	s_nop 0
	;;#ASMSTART
	v_dot2_f32_f16 v23, v70, v78, v23
	;;#ASMEND
	s_nop 0
	;;#ASMSTART
	v_dot2_f32_f16 v23, v71, v79, v23
	;;#ASMEND
	;; [unrolled: 16-line block ×4, first 2 shown]
	;;#ASMSTART
	v_dot2_f32_f16 v62, v72, v64, v62
	;;#ASMEND
	s_nop 0
	;;#ASMSTART
	v_dot2_f32_f16 v62, v73, v65, v62
	;;#ASMEND
	s_nop 0
	;;#ASMSTART
	v_dot2_f32_f16 v62, v74, v66, v62
	;;#ASMEND
	s_nop 0
	;;#ASMSTART
	v_dot2_f32_f16 v62, v75, v67, v62
	;;#ASMEND
	;;#ASMSTART
	v_dot2_f32_f16 v25, v72, v76, v25
	;;#ASMEND
	s_nop 0
	;;#ASMSTART
	v_dot2_f32_f16 v25, v73, v77, v25
	;;#ASMEND
	s_nop 0
	;;#ASMSTART
	v_dot2_f32_f16 v25, v74, v78, v25
	;;#ASMEND
	s_nop 0
	;;#ASMSTART
	v_dot2_f32_f16 v25, v75, v79, v25
	;;#ASMEND
	;; [unrolled: 15-line block ×4, first 2 shown]
	ds_read_b128 v[64:67], v48 offset:32
	ds_read_b128 v[68:71], v49 offset:32
	;; [unrolled: 1-line block ×6, first 2 shown]
	s_waitcnt lgkmcnt(4)
	;;#ASMSTART
	v_dot2_f32_f16 v61, v68, v64, v61
	;;#ASMEND
	s_nop 0
	;;#ASMSTART
	v_dot2_f32_f16 v61, v69, v65, v61
	;;#ASMEND
	s_nop 0
	;;#ASMSTART
	v_dot2_f32_f16 v61, v70, v66, v61
	;;#ASMEND
	s_nop 0
	;;#ASMSTART
	v_dot2_f32_f16 v61, v71, v67, v61
	;;#ASMEND
	s_waitcnt lgkmcnt(2)
	;;#ASMSTART
	v_dot2_f32_f16 v23, v68, v76, v23
	;;#ASMEND
	s_nop 0
	;;#ASMSTART
	v_dot2_f32_f16 v23, v69, v77, v23
	;;#ASMEND
	s_nop 0
	;;#ASMSTART
	v_dot2_f32_f16 v23, v70, v78, v23
	;;#ASMEND
	s_nop 0
	;;#ASMSTART
	v_dot2_f32_f16 v23, v71, v79, v23
	;;#ASMEND
	;; [unrolled: 16-line block ×4, first 2 shown]
	;;#ASMSTART
	v_dot2_f32_f16 v62, v72, v64, v62
	;;#ASMEND
	s_nop 0
	;;#ASMSTART
	v_dot2_f32_f16 v62, v73, v65, v62
	;;#ASMEND
	s_nop 0
	;;#ASMSTART
	v_dot2_f32_f16 v62, v74, v66, v62
	;;#ASMEND
	s_nop 0
	;;#ASMSTART
	v_dot2_f32_f16 v62, v75, v67, v62
	;;#ASMEND
	;;#ASMSTART
	v_dot2_f32_f16 v25, v72, v76, v25
	;;#ASMEND
	s_nop 0
	;;#ASMSTART
	v_dot2_f32_f16 v25, v73, v77, v25
	;;#ASMEND
	s_nop 0
	;;#ASMSTART
	v_dot2_f32_f16 v25, v74, v78, v25
	;;#ASMEND
	s_nop 0
	;;#ASMSTART
	v_dot2_f32_f16 v25, v75, v79, v25
	;;#ASMEND
	;; [unrolled: 15-line block ×4, first 2 shown]
	ds_read_b128 v[64:67], v48 offset:48
	ds_read_b128 v[68:71], v49 offset:48
	;; [unrolled: 1-line block ×6, first 2 shown]
	s_waitcnt lgkmcnt(4)
	;;#ASMSTART
	v_dot2_f32_f16 v61, v68, v64, v61
	;;#ASMEND
	s_nop 0
	;;#ASMSTART
	v_dot2_f32_f16 v61, v69, v65, v61
	;;#ASMEND
	s_nop 0
	;;#ASMSTART
	v_dot2_f32_f16 v61, v70, v66, v61
	;;#ASMEND
	s_nop 0
	;;#ASMSTART
	v_dot2_f32_f16 v61, v71, v67, v61
	;;#ASMEND
	s_waitcnt lgkmcnt(2)
	;;#ASMSTART
	v_dot2_f32_f16 v23, v68, v76, v23
	;;#ASMEND
	s_nop 0
	;;#ASMSTART
	v_dot2_f32_f16 v23, v69, v77, v23
	;;#ASMEND
	s_nop 0
	;;#ASMSTART
	v_dot2_f32_f16 v23, v70, v78, v23
	;;#ASMEND
	s_nop 0
	;;#ASMSTART
	v_dot2_f32_f16 v23, v71, v79, v23
	;;#ASMEND
	;; [unrolled: 16-line block ×4, first 2 shown]
	;;#ASMSTART
	v_dot2_f32_f16 v62, v72, v64, v62
	;;#ASMEND
	s_nop 0
	;;#ASMSTART
	v_dot2_f32_f16 v62, v73, v65, v62
	;;#ASMEND
	s_nop 0
	;;#ASMSTART
	v_dot2_f32_f16 v62, v74, v66, v62
	;;#ASMEND
	s_nop 0
	;;#ASMSTART
	v_dot2_f32_f16 v62, v75, v67, v62
	;;#ASMEND
	;;#ASMSTART
	v_dot2_f32_f16 v25, v72, v76, v25
	;;#ASMEND
	s_nop 0
	;;#ASMSTART
	v_dot2_f32_f16 v25, v73, v77, v25
	;;#ASMEND
	s_nop 0
	;;#ASMSTART
	v_dot2_f32_f16 v25, v74, v78, v25
	;;#ASMEND
	s_nop 0
	;;#ASMSTART
	v_dot2_f32_f16 v25, v75, v79, v25
	;;#ASMEND
	;; [unrolled: 15-line block ×4, first 2 shown]
	ds_read_b128 v[64:67], v48 offset:64
	ds_read_b128 v[68:71], v49 offset:64
	;; [unrolled: 1-line block ×6, first 2 shown]
	s_waitcnt lgkmcnt(4)
	;;#ASMSTART
	v_dot2_f32_f16 v61, v68, v64, v61
	;;#ASMEND
	s_nop 0
	;;#ASMSTART
	v_dot2_f32_f16 v61, v69, v65, v61
	;;#ASMEND
	s_nop 0
	;;#ASMSTART
	v_dot2_f32_f16 v61, v70, v66, v61
	;;#ASMEND
	s_nop 0
	;;#ASMSTART
	v_dot2_f32_f16 v61, v71, v67, v61
	;;#ASMEND
	s_waitcnt lgkmcnt(2)
	;;#ASMSTART
	v_dot2_f32_f16 v23, v68, v76, v23
	;;#ASMEND
	s_nop 0
	;;#ASMSTART
	v_dot2_f32_f16 v23, v69, v77, v23
	;;#ASMEND
	s_nop 0
	;;#ASMSTART
	v_dot2_f32_f16 v23, v70, v78, v23
	;;#ASMEND
	s_nop 0
	;;#ASMSTART
	v_dot2_f32_f16 v23, v71, v79, v23
	;;#ASMEND
	;; [unrolled: 16-line block ×4, first 2 shown]
	;;#ASMSTART
	v_dot2_f32_f16 v62, v72, v64, v62
	;;#ASMEND
	s_nop 0
	;;#ASMSTART
	v_dot2_f32_f16 v62, v73, v65, v62
	;;#ASMEND
	s_nop 0
	;;#ASMSTART
	v_dot2_f32_f16 v62, v74, v66, v62
	;;#ASMEND
	s_nop 0
	;;#ASMSTART
	v_dot2_f32_f16 v62, v75, v67, v62
	;;#ASMEND
	;;#ASMSTART
	v_dot2_f32_f16 v25, v72, v76, v25
	;;#ASMEND
	s_nop 0
	;;#ASMSTART
	v_dot2_f32_f16 v25, v73, v77, v25
	;;#ASMEND
	s_nop 0
	;;#ASMSTART
	v_dot2_f32_f16 v25, v74, v78, v25
	;;#ASMEND
	s_nop 0
	;;#ASMSTART
	v_dot2_f32_f16 v25, v75, v79, v25
	;;#ASMEND
	;; [unrolled: 15-line block ×4, first 2 shown]
	ds_read_b128 v[64:67], v48 offset:80
	ds_read_b128 v[68:71], v49 offset:80
	;; [unrolled: 1-line block ×6, first 2 shown]
	s_waitcnt lgkmcnt(4)
	;;#ASMSTART
	v_dot2_f32_f16 v61, v68, v64, v61
	;;#ASMEND
	s_nop 0
	;;#ASMSTART
	v_dot2_f32_f16 v61, v69, v65, v61
	;;#ASMEND
	s_nop 0
	;;#ASMSTART
	v_dot2_f32_f16 v61, v70, v66, v61
	;;#ASMEND
	s_nop 0
	;;#ASMSTART
	v_dot2_f32_f16 v61, v71, v67, v61
	;;#ASMEND
	s_waitcnt lgkmcnt(2)
	;;#ASMSTART
	v_dot2_f32_f16 v23, v68, v76, v23
	;;#ASMEND
	s_nop 0
	;;#ASMSTART
	v_dot2_f32_f16 v23, v69, v77, v23
	;;#ASMEND
	s_nop 0
	;;#ASMSTART
	v_dot2_f32_f16 v23, v70, v78, v23
	;;#ASMEND
	s_nop 0
	;;#ASMSTART
	v_dot2_f32_f16 v23, v71, v79, v23
	;;#ASMEND
	;; [unrolled: 16-line block ×4, first 2 shown]
	;;#ASMSTART
	v_dot2_f32_f16 v62, v72, v64, v62
	;;#ASMEND
	s_nop 0
	;;#ASMSTART
	v_dot2_f32_f16 v62, v73, v65, v62
	;;#ASMEND
	s_nop 0
	;;#ASMSTART
	v_dot2_f32_f16 v62, v74, v66, v62
	;;#ASMEND
	s_nop 0
	;;#ASMSTART
	v_dot2_f32_f16 v62, v75, v67, v62
	;;#ASMEND
	;;#ASMSTART
	v_dot2_f32_f16 v25, v72, v76, v25
	;;#ASMEND
	s_nop 0
	;;#ASMSTART
	v_dot2_f32_f16 v25, v73, v77, v25
	;;#ASMEND
	s_nop 0
	;;#ASMSTART
	v_dot2_f32_f16 v25, v74, v78, v25
	;;#ASMEND
	s_nop 0
	;;#ASMSTART
	v_dot2_f32_f16 v25, v75, v79, v25
	;;#ASMEND
	;; [unrolled: 15-line block ×4, first 2 shown]
	ds_read_b128 v[64:67], v48 offset:96
	ds_read_b128 v[68:71], v49 offset:96
	;; [unrolled: 1-line block ×6, first 2 shown]
	s_waitcnt lgkmcnt(4)
	;;#ASMSTART
	v_dot2_f32_f16 v61, v68, v64, v61
	;;#ASMEND
	s_nop 0
	;;#ASMSTART
	v_dot2_f32_f16 v61, v69, v65, v61
	;;#ASMEND
	s_nop 0
	;;#ASMSTART
	v_dot2_f32_f16 v61, v70, v66, v61
	;;#ASMEND
	s_nop 0
	;;#ASMSTART
	v_dot2_f32_f16 v61, v71, v67, v61
	;;#ASMEND
	s_waitcnt lgkmcnt(2)
	;;#ASMSTART
	v_dot2_f32_f16 v23, v68, v76, v23
	;;#ASMEND
	s_nop 0
	;;#ASMSTART
	v_dot2_f32_f16 v23, v69, v77, v23
	;;#ASMEND
	s_nop 0
	;;#ASMSTART
	v_dot2_f32_f16 v23, v70, v78, v23
	;;#ASMEND
	s_nop 0
	;;#ASMSTART
	v_dot2_f32_f16 v23, v71, v79, v23
	;;#ASMEND
	;; [unrolled: 16-line block ×4, first 2 shown]
	;;#ASMSTART
	v_dot2_f32_f16 v62, v72, v64, v62
	;;#ASMEND
	s_nop 0
	;;#ASMSTART
	v_dot2_f32_f16 v62, v73, v65, v62
	;;#ASMEND
	s_nop 0
	;;#ASMSTART
	v_dot2_f32_f16 v62, v74, v66, v62
	;;#ASMEND
	s_nop 0
	;;#ASMSTART
	v_dot2_f32_f16 v62, v75, v67, v62
	;;#ASMEND
	;;#ASMSTART
	v_dot2_f32_f16 v25, v72, v76, v25
	;;#ASMEND
	s_nop 0
	;;#ASMSTART
	v_dot2_f32_f16 v25, v73, v77, v25
	;;#ASMEND
	s_nop 0
	;;#ASMSTART
	v_dot2_f32_f16 v25, v74, v78, v25
	;;#ASMEND
	s_nop 0
	;;#ASMSTART
	v_dot2_f32_f16 v25, v75, v79, v25
	;;#ASMEND
	;; [unrolled: 15-line block ×4, first 2 shown]
	ds_read_b128 v[64:67], v48 offset:112
	ds_read_b128 v[68:71], v49 offset:112
	;; [unrolled: 1-line block ×6, first 2 shown]
	s_waitcnt lgkmcnt(4)
	;;#ASMSTART
	v_dot2_f32_f16 v61, v68, v64, v61
	;;#ASMEND
	s_nop 0
	;;#ASMSTART
	v_dot2_f32_f16 v61, v69, v65, v61
	;;#ASMEND
	s_nop 0
	;;#ASMSTART
	v_dot2_f32_f16 v61, v70, v66, v61
	;;#ASMEND
	s_nop 0
	;;#ASMSTART
	v_dot2_f32_f16 v61, v71, v67, v61
	;;#ASMEND
	s_waitcnt lgkmcnt(2)
	;;#ASMSTART
	v_dot2_f32_f16 v23, v68, v76, v23
	;;#ASMEND
	s_nop 0
	;;#ASMSTART
	v_dot2_f32_f16 v23, v69, v77, v23
	;;#ASMEND
	s_nop 0
	;;#ASMSTART
	v_dot2_f32_f16 v23, v70, v78, v23
	;;#ASMEND
	s_nop 0
	;;#ASMSTART
	v_dot2_f32_f16 v23, v71, v79, v23
	;;#ASMEND
	;; [unrolled: 16-line block ×4, first 2 shown]
	;;#ASMSTART
	v_dot2_f32_f16 v62, v72, v64, v62
	;;#ASMEND
	s_nop 0
	;;#ASMSTART
	v_dot2_f32_f16 v62, v73, v65, v62
	;;#ASMEND
	v_mov_b32_e32 v65, 0
	;;#ASMSTART
	v_dot2_f32_f16 v62, v74, v66, v62
	;;#ASMEND
	s_nop 0
	;;#ASMSTART
	v_dot2_f32_f16 v62, v75, v67, v62
	;;#ASMEND
	;;#ASMSTART
	v_dot2_f32_f16 v25, v72, v76, v25
	;;#ASMEND
	v_add_u32_e32 v67, s28, v20
	;;#ASMSTART
	v_dot2_f32_f16 v25, v73, v77, v25
	;;#ASMEND
	v_add_u32_e32 v12, v67, v21
	;;#ASMSTART
	v_dot2_f32_f16 v25, v74, v78, v25
	;;#ASMEND
	v_ashrrev_i32_e32 v13, 31, v12
	;;#ASMSTART
	v_dot2_f32_f16 v25, v75, v79, v25
	;;#ASMEND
	;;#ASMSTART
	v_dot2_f32_f16 v24, v72, v80, v24
	;;#ASMEND
	s_nop 0
	;;#ASMSTART
	v_dot2_f32_f16 v24, v73, v81, v24
	;;#ASMEND
	s_nop 0
	;;#ASMSTART
	v_dot2_f32_f16 v24, v74, v82, v24
	;;#ASMEND
	s_nop 0
	;;#ASMSTART
	v_dot2_f32_f16 v24, v75, v83, v24
	;;#ASMEND
	;;#ASMSTART
	v_dot2_f32_f16 v22, v72, v84, v22
	;;#ASMEND
	s_nop 0
	;;#ASMSTART
	v_dot2_f32_f16 v22, v73, v85, v22
	;;#ASMEND
	s_nop 0
	;; [unrolled: 4-line block ×3, first 2 shown]
	;;#ASMSTART
	v_dot2_f32_f16 v22, v75, v87, v22
	;;#ASMEND
	s_cbranch_vccnz .LBB56_10
; %bb.9:                                ;   in Loop: Header=BB56_8 Depth=1
	v_lshl_add_u64 v[64:65], v[12:13], 1, s[36:37]
	global_load_ushort v63, v[64:65], off
	s_waitcnt vmcnt(0)
	v_cvt_f32_f16_e32 v63, v63
	v_mul_f32_e32 v65, v36, v63
.LBB56_10:                              ;   in Loop: Header=BB56_8 Depth=1
	v_mov_b32_e32 v63, 0
	s_and_b64 vcc, exec, s[4:5]
	v_mov_b32_e32 v64, 0
	s_cbranch_vccnz .LBB56_12
; %bb.11:                               ;   in Loop: Header=BB56_8 Depth=1
	v_lshl_add_u64 v[12:13], v[12:13], 1, s[36:37]
	global_load_ushort v12, v[12:13], off offset:64
	s_waitcnt vmcnt(0)
	v_cvt_f32_f16_e32 v12, v12
	v_mul_f32_e32 v64, v36, v12
.LBB56_12:                              ;   in Loop: Header=BB56_8 Depth=1
	v_and_b32_e32 v13, 0x60, v57
	v_add_f32_e32 v61, v61, v65
	v_add_u32_e32 v13, 32, v13
	v_xor_b32_e32 v65, 16, v57
	v_cmp_lt_i32_e32 vcc, v65, v13
	v_add_f32_e32 v62, v62, v64
	v_add_f32_e32 v12, 0x40051340, v61
	v_cndmask_b32_e32 v65, v57, v65, vcc
	v_add_f32_e32 v64, 0x40051340, v62
	v_lshlrev_b32_e32 v65, 2, v65
	v_max3_f32 v12, v18, v12, v64
	ds_bpermute_b32 v64, v65, v12
	v_xor_b32_e32 v66, 8, v57
	v_cmp_lt_i32_e32 vcc, v66, v13
	s_waitcnt lgkmcnt(0)
	v_max_f32_e32 v64, v64, v64
	v_cndmask_b32_e32 v66, v57, v66, vcc
	v_lshlrev_b32_e32 v69, 2, v66
	v_max_f32_e32 v12, v12, v64
	ds_bpermute_b32 v64, v69, v12
	v_xor_b32_e32 v66, 4, v57
	v_cmp_lt_i32_e32 vcc, v66, v13
	s_waitcnt lgkmcnt(0)
	v_max_f32_e32 v64, v64, v64
	v_cndmask_b32_e32 v66, v57, v66, vcc
	v_lshlrev_b32_e32 v70, 2, v66
	v_max_f32_e32 v12, v12, v64
	;; [unrolled: 8-line block ×3, first 2 shown]
	ds_bpermute_b32 v64, v68, v12
	v_xor_b32_e32 v66, 1, v57
	v_cmp_lt_i32_e32 vcc, v66, v13
	s_nop 1
	v_cndmask_b32_e32 v13, v57, v66, vcc
	v_lshlrev_b32_e32 v66, 2, v13
	s_waitcnt lgkmcnt(0)
	v_max_f32_e32 v13, v64, v64
	v_max_f32_e32 v71, v12, v13
	ds_bpermute_b32 v72, v66, v71
	v_add_u32_e32 v12, v67, v50
	s_and_b64 vcc, exec, s[4:5]
	v_ashrrev_i32_e32 v13, 31, v12
	s_cbranch_vccnz .LBB56_14
; %bb.13:                               ;   in Loop: Header=BB56_8 Depth=1
	v_lshl_add_u64 v[74:75], v[12:13], 1, s[36:37]
	global_load_ushort v63, v[74:75], off
	s_waitcnt vmcnt(0)
	v_cvt_f32_f16_e32 v63, v63
	v_mul_f32_e32 v63, v36, v63
.LBB56_14:                              ;   in Loop: Header=BB56_8 Depth=1
	v_mov_b32_e32 v76, 0
	s_and_b64 vcc, exec, s[4:5]
	v_mov_b32_e32 v73, 0
	s_cbranch_vccnz .LBB56_16
; %bb.15:                               ;   in Loop: Header=BB56_8 Depth=1
	v_lshl_add_u64 v[12:13], v[12:13], 1, s[36:37]
	global_load_ushort v12, v[12:13], off offset:64
	s_waitcnt vmcnt(0)
	v_cvt_f32_f16_e32 v12, v12
	v_mul_f32_e32 v73, v36, v12
.LBB56_16:                              ;   in Loop: Header=BB56_8 Depth=1
	v_add_f32_e32 v64, v23, v63
	v_add_f32_e32 v23, v25, v73
	;; [unrolled: 1-line block ×4, first 2 shown]
	v_max3_f32 v12, v19, v12, v13
	ds_bpermute_b32 v13, v65, v12
	s_and_b64 vcc, exec, s[4:5]
	s_waitcnt lgkmcnt(0)
	v_max_f32_e32 v13, v13, v13
	v_max_f32_e32 v12, v12, v13
	ds_bpermute_b32 v13, v69, v12
	s_waitcnt lgkmcnt(0)
	v_max_f32_e32 v13, v13, v13
	v_max_f32_e32 v12, v12, v13
	ds_bpermute_b32 v13, v70, v12
	;; [unrolled: 4-line block ×4, first 2 shown]
	v_add_u32_e32 v12, v67, v51
	v_ashrrev_i32_e32 v13, 31, v12
	s_cbranch_vccnz .LBB56_18
; %bb.17:                               ;   in Loop: Header=BB56_8 Depth=1
	v_lshl_add_u64 v[76:77], v[12:13], 1, s[36:37]
	global_load_ushort v25, v[76:77], off
	s_waitcnt vmcnt(0)
	v_cvt_f32_f16_e32 v25, v25
	v_mul_f32_e32 v76, v36, v25
.LBB56_18:                              ;   in Loop: Header=BB56_8 Depth=1
	v_mov_b32_e32 v75, 0
	s_and_b64 vcc, exec, s[4:5]
	v_mov_b32_e32 v63, 0
	s_cbranch_vccnz .LBB56_20
; %bb.19:                               ;   in Loop: Header=BB56_8 Depth=1
	v_lshl_add_u64 v[12:13], v[12:13], 1, s[36:37]
	global_load_ushort v12, v[12:13], off offset:64
	s_waitcnt vmcnt(0)
	v_cvt_f32_f16_e32 v12, v12
	v_mul_f32_e32 v63, v36, v12
.LBB56_20:                              ;   in Loop: Header=BB56_8 Depth=1
	v_add_f32_e32 v25, v15, v76
	v_add_f32_e32 v63, v24, v63
	;; [unrolled: 1-line block ×4, first 2 shown]
	v_max3_f32 v12, v60, v12, v13
	ds_bpermute_b32 v13, v65, v12
	s_and_b64 vcc, exec, s[4:5]
	s_waitcnt lgkmcnt(0)
	v_max_f32_e32 v13, v13, v13
	v_max_f32_e32 v12, v12, v13
	ds_bpermute_b32 v13, v69, v12
	s_waitcnt lgkmcnt(0)
	v_max_f32_e32 v13, v13, v13
	v_max_f32_e32 v12, v12, v13
	ds_bpermute_b32 v13, v70, v12
	;; [unrolled: 4-line block ×4, first 2 shown]
	v_add_u32_e32 v12, v67, v52
	v_ashrrev_i32_e32 v13, 31, v12
	s_cbranch_vccnz .LBB56_22
; %bb.21:                               ;   in Loop: Header=BB56_8 Depth=1
	v_lshl_add_u64 v[76:77], v[12:13], 1, s[36:37]
	global_load_ushort v67, v[76:77], off
	s_waitcnt vmcnt(0)
	v_cvt_f32_f16_e32 v67, v67
	v_mul_f32_e32 v75, v36, v67
.LBB56_22:                              ;   in Loop: Header=BB56_8 Depth=1
	s_and_b64 vcc, exec, s[4:5]
	s_cbranch_vccnz .LBB56_24
; %bb.23:                               ;   in Loop: Header=BB56_8 Depth=1
	v_lshl_add_u64 v[12:13], v[12:13], 1, s[36:37]
	global_load_ushort v12, v[12:13], off offset:64
	s_waitcnt vmcnt(0)
	v_cvt_f32_f16_e32 v12, v12
	v_mul_f32_e32 v12, v36, v12
	s_branch .LBB56_25
.LBB56_24:                              ;   in Loop: Header=BB56_8 Depth=1
	v_mov_b32_e32 v12, 0
.LBB56_25:                              ;   in Loop: Header=BB56_8 Depth=1
	v_add_f32_e32 v75, v14, v75
	v_add_f32_e32 v76, v22, v12
	;; [unrolled: 1-line block ×4, first 2 shown]
	v_max3_f32 v12, v59, v13, v12
	ds_bpermute_b32 v13, v65, v12
	s_waitcnt lgkmcnt(1)
	v_max_f32_e32 v14, v24, v24
	v_max_f32_e32 v15, v15, v15
	;; [unrolled: 1-line block ×4, first 2 shown]
	s_waitcnt lgkmcnt(0)
	v_max_f32_e32 v13, v13, v13
	v_max_f32_e32 v12, v12, v13
	ds_bpermute_b32 v13, v69, v12
	v_max_f32_e32 v24, v73, v73
	v_max_f32_e32 v65, v72, v72
	;; [unrolled: 1-line block ×3, first 2 shown]
	s_mul_hi_i32 s41, s28, s2
	s_waitcnt lgkmcnt(0)
	v_max_f32_e32 v13, v13, v13
	v_max_f32_e32 v69, v12, v13
	ds_bpermute_b32 v70, v70, v69
	v_max_f32_e32 v13, v24, v22
	v_max_f32_e32 v12, v67, v65
	v_sub_f32_e32 v24, v61, v12
	v_mul_f32_e32 v61, 0x3fb8aa3b, v24
	s_waitcnt lgkmcnt(0)
	v_max_f32_e32 v15, v70, v70
	v_max_f32_e32 v15, v69, v15
	ds_bpermute_b32 v22, v68, v15
	v_fma_f32 v65, v24, s12, -v61
	v_rndne_f32_e32 v67, v61
	v_fmac_f32_e32 v65, 0x32a5705f, v24
	v_sub_f32_e32 v61, v61, v67
	s_waitcnt lgkmcnt(0)
	v_max_f32_e32 v22, v22, v22
	v_max_f32_e32 v15, v15, v22
	ds_bpermute_b32 v22, v66, v15
	v_add_f32_e32 v61, v61, v65
	v_exp_f32_e32 v61, v61
	v_sub_f32_e32 v65, v18, v12
	v_cmp_ngt_f32_e32 vcc, s13, v24
	s_waitcnt lgkmcnt(0)
	v_max_f32_e32 v22, v22, v22
	v_max_f32_e32 v15, v15, v22
	v_cvt_i32_f32_e32 v22, v67
	v_sub_f32_e32 v64, v64, v13
	s_mul_i32 s40, s28, s2
	s_lshl_b64 s[40:41], s[40:41], 2
	v_ldexp_f32 v18, v61, v22
	v_cndmask_b32_e32 v18, 0, v18, vcc
	v_cmp_nlt_f32_e32 vcc, s14, v24
	v_sub_f32_e32 v24, v62, v12
	v_mul_f32_e32 v22, 0x3fb8aa3b, v24
	v_fma_f32 v61, v24, s12, -v22
	v_rndne_f32_e32 v62, v22
	v_fmac_f32_e32 v61, 0x32a5705f, v24
	v_sub_f32_e32 v22, v22, v62
	v_add_f32_e32 v22, v22, v61
	v_cvt_i32_f32_e32 v61, v62
	v_mul_f32_e32 v62, 0x3fb8aa3b, v65
	v_fma_f32 v66, v65, s12, -v62
	v_rndne_f32_e32 v67, v62
	v_fmac_f32_e32 v66, 0x32a5705f, v65
	v_sub_f32_e32 v62, v62, v67
	v_exp_f32_e32 v22, v22
	v_add_f32_e32 v62, v62, v66
	v_exp_f32_e32 v62, v62
	v_cvt_i32_f32_e32 v66, v67
	v_cndmask_b32_e32 v18, v58, v18, vcc
	v_ldexp_f32 v22, v22, v61
	v_cmp_ngt_f32_e32 vcc, s13, v24
	v_sub_f32_e32 v69, v60, v14
	s_add_u32 s40, s18, s40
	v_cndmask_b32_e32 v61, 0, v22, vcc
	v_ldexp_f32 v22, v62, v66
	v_cmp_ngt_f32_e32 vcc, s13, v65
	s_addc_u32 s41, s19, s41
	s_nop 0
	v_cndmask_b32_e32 v22, 0, v22, vcc
	v_cmp_nlt_f32_e32 vcc, s14, v65
	v_mul_f32_e32 v65, 0x3fb8aa3b, v64
	v_fma_f32 v66, v64, s12, -v65
	v_rndne_f32_e32 v67, v65
	v_cndmask_b32_e32 v22, v58, v22, vcc
	v_fmac_f32_e32 v66, 0x32a5705f, v64
	v_sub_f32_e32 v65, v65, v67
	v_cvt_f16_f32_e32 v62, v22
	v_add_f32_e32 v65, v65, v66
	v_exp_f32_e32 v65, v65
	v_cvt_i32_f32_e32 v66, v67
	v_cmp_nlt_f32_e32 vcc, s14, v24
	v_mul_u32_u24_e32 v78, 0x10001, v62
	v_sub_f32_e32 v62, v23, v13
	v_cndmask_b32_e32 v24, v58, v61, vcc
	v_sub_f32_e32 v61, v19, v13
	v_ldexp_f32 v19, v65, v66
	v_cmp_ngt_f32_e32 vcc, s13, v64
	v_mul_f32_e32 v23, 0x3fb8aa3b, v62
	v_rndne_f32_e32 v65, v23
	v_cndmask_b32_e32 v19, 0, v19, vcc
	v_cmp_nlt_f32_e32 vcc, s14, v64
	v_fma_f32 v64, v62, s12, -v23
	v_fmac_f32_e32 v64, 0x32a5705f, v62
	v_sub_f32_e32 v23, v23, v65
	v_add_f32_e32 v23, v23, v64
	v_cvt_i32_f32_e32 v64, v65
	v_mul_f32_e32 v65, 0x3fb8aa3b, v61
	v_fma_f32 v66, v61, s12, -v65
	v_rndne_f32_e32 v67, v65
	v_fmac_f32_e32 v66, 0x32a5705f, v61
	v_sub_f32_e32 v65, v65, v67
	v_exp_f32_e32 v23, v23
	v_add_f32_e32 v65, v65, v66
	v_exp_f32_e32 v65, v65
	v_cvt_i32_f32_e32 v66, v67
	v_cndmask_b32_e32 v19, v58, v19, vcc
	v_ldexp_f32 v23, v23, v64
	v_cmp_ngt_f32_e32 vcc, s13, v62
	s_barrier
	s_nop 0
	v_cndmask_b32_e32 v64, 0, v23, vcc
	v_ldexp_f32 v23, v65, v66
	v_sub_f32_e32 v65, v25, v14
	v_mul_f32_e32 v25, 0x3fb8aa3b, v65
	v_fma_f32 v66, v65, s12, -v25
	v_rndne_f32_e32 v67, v25
	v_fmac_f32_e32 v66, 0x32a5705f, v65
	v_sub_f32_e32 v25, v25, v67
	v_cmp_ngt_f32_e32 vcc, s13, v61
	v_add_f32_e32 v25, v25, v66
	v_exp_f32_e32 v66, v25
	v_cndmask_b32_e32 v23, 0, v23, vcc
	v_cmp_nlt_f32_e32 vcc, s14, v61
	v_cvt_i32_f32_e32 v67, v67
	v_sub_f32_e32 v74, v63, v14
	v_cndmask_b32_e32 v23, v58, v23, vcc
	v_cvt_f16_f32_e32 v61, v23
	v_cmp_nlt_f32_e32 vcc, s14, v62
	v_ldexp_f32 v60, v66, v67
	v_mul_f32_e32 v77, 0x3fb8aa3b, v74
	v_cndmask_b32_e32 v25, v58, v64, vcc
	v_cmp_ngt_f32_e32 vcc, s13, v65
	v_mul_u32_u24_e32 v79, 0x10001, v61
	v_fma_f32 v80, v74, s12, -v77
	v_cndmask_b32_e32 v60, 0, v60, vcc
	v_cmp_nlt_f32_e32 vcc, s14, v65
	v_rndne_f32_e32 v81, v77
	v_fmac_f32_e32 v80, 0x32a5705f, v74
	v_cndmask_b32_e32 v68, v58, v60, vcc
	v_lshl_add_u64 v[60:61], v[6:7], 2, s[40:41]
	v_lshl_add_u64 v[70:71], v[60:61], 0, v[0:1]
	v_lshl_add_u64 v[60:61], v[16:17], 2, s[40:41]
	v_lshl_add_u64 v[72:73], v[60:61], 0, v[0:1]
	global_load_dwordx4 v[60:63], v[70:71], off
	global_load_dwordx4 v[64:67], v[72:73], off
	v_mul_f32_e32 v72, 0x3fb8aa3b, v69
	v_sub_f32_e32 v70, v77, v81
	v_fma_f32 v73, v69, s12, -v72
	v_rndne_f32_e32 v77, v72
	v_add_f32_e32 v70, v70, v80
	v_fmac_f32_e32 v73, 0x32a5705f, v69
	v_sub_f32_e32 v72, v72, v77
	v_exp_f32_e32 v70, v70
	v_cvt_i32_f32_e32 v71, v81
	v_add_f32_e32 v72, v72, v73
	v_exp_f32_e32 v72, v72
	v_cvt_i32_f32_e32 v73, v77
	v_ldexp_f32 v70, v70, v71
	v_cmp_ngt_f32_e32 vcc, s13, v74
	v_sub_f32_e32 v59, v59, v15
	s_nop 0
	v_cndmask_b32_e32 v71, 0, v70, vcc
	v_ldexp_f32 v70, v72, v73
	v_sub_f32_e32 v73, v75, v15
	v_mul_f32_e32 v72, 0x3fb8aa3b, v73
	v_cmp_ngt_f32_e32 vcc, s13, v69
	v_fma_f32 v75, v73, s12, -v72
	v_rndne_f32_e32 v77, v72
	v_cndmask_b32_e32 v70, 0, v70, vcc
	v_cmp_nlt_f32_e32 vcc, s14, v69
	v_fmac_f32_e32 v75, 0x32a5705f, v73
	v_sub_f32_e32 v72, v72, v77
	v_cndmask_b32_e32 v70, v58, v70, vcc
	v_add_f32_e32 v72, v72, v75
	v_cvt_f16_f32_e32 v69, v70
	v_exp_f32_e32 v75, v72
	v_cvt_i32_f32_e32 v77, v77
	v_cmp_nlt_f32_e32 vcc, s14, v74
	v_mul_u32_u24_e32 v80, 0x10001, v69
	v_ldexp_f32 v69, v75, v77
	v_cndmask_b32_e32 v72, v58, v71, vcc
	v_sub_f32_e32 v71, v76, v15
	v_mul_f32_e32 v74, 0x3fb8aa3b, v71
	v_fma_f32 v75, v71, s12, -v74
	v_rndne_f32_e32 v76, v74
	v_fmac_f32_e32 v75, 0x32a5705f, v71
	v_sub_f32_e32 v74, v74, v76
	v_add_f32_e32 v74, v74, v75
	v_exp_f32_e32 v74, v74
	v_cvt_i32_f32_e32 v75, v76
	v_cmp_ngt_f32_e32 vcc, s13, v73
	s_nop 1
	v_cndmask_b32_e32 v69, 0, v69, vcc
	v_cmp_nlt_f32_e32 vcc, s14, v73
	v_ldexp_f32 v73, v74, v75
	v_mul_f32_e32 v74, 0x3fb8aa3b, v59
	v_fma_f32 v75, v59, s12, -v74
	v_rndne_f32_e32 v76, v74
	v_fmac_f32_e32 v75, 0x32a5705f, v59
	v_sub_f32_e32 v74, v74, v76
	v_add_f32_e32 v74, v74, v75
	v_exp_f32_e32 v74, v74
	v_cvt_i32_f32_e32 v75, v76
	v_cndmask_b32_e32 v69, v58, v69, vcc
	v_cmp_ngt_f32_e32 vcc, s13, v71
	s_nop 1
	v_cndmask_b32_e32 v73, 0, v73, vcc
	v_cmp_nlt_f32_e32 vcc, s14, v71
	v_ldexp_f32 v71, v74, v75
	v_pk_add_f32 v[74:75], v[18:19], v[24:25]
	v_cndmask_b32_e32 v73, v58, v73, vcc
	v_cmp_ngt_f32_e32 vcc, s13, v59
	v_pk_fma_f32 v[8:9], v[8:9], v[22:23], v[74:75]
	v_pk_add_f32 v[76:77], v[68:69], v[72:73]
	v_cndmask_b32_e32 v71, 0, v71, vcc
	v_cmp_nlt_f32_e32 vcc, s14, v59
	v_cvt_pk_f16_f32 v23, v68, v69
	s_nop 0
	v_cndmask_b32_e32 v71, v58, v71, vcc
	v_cvt_f16_f32_e32 v59, v71
	v_pk_fma_f32 v[10:11], v[10:11], v[70:71], v[76:77]
	v_mul_u32_u24_e32 v22, 0x10001, v59
	v_pk_mul_f16 v37, v37, v22
	v_cvt_pk_f16_f32 v22, v18, v19
	v_cvt_pk_f16_f32 v19, v72, v73
	;; [unrolled: 1-line block ×3, first 2 shown]
	ds_write2_b64 v56, v[22:23], v[18:19] offset1:32
	s_waitcnt vmcnt(1)
	ds_write_b128 v54, v[60:63]
	s_waitcnt vmcnt(0)
	ds_write_b128 v55, v[64:67]
	s_waitcnt lgkmcnt(0)
	s_barrier
	ds_read_b128 v[22:25], v53
	ds_read2_b32 v[18:19], v35 offset1:32
	ds_read_b128 v[60:63], v53 offset:16
	ds_read_b128 v[64:67], v53 offset:32
	;; [unrolled: 1-line block ×3, first 2 shown]
	s_waitcnt lgkmcnt(4)
	v_mul_u32_u24_sdwa v59, v22, s15 dst_sel:DWORD dst_unused:UNUSED_PAD src0_sel:WORD_0 src1_sel:DWORD
	v_mul_u32_u24_sdwa v22, v22, s15 dst_sel:DWORD dst_unused:UNUSED_PAD src0_sel:WORD_1 src1_sel:DWORD
	v_mul_u32_u24_sdwa v72, v23, s15 dst_sel:DWORD dst_unused:UNUSED_PAD src0_sel:WORD_0 src1_sel:DWORD
	s_waitcnt lgkmcnt(3)
	v_pk_mul_f16 v22, v18, v22
	v_mul_u32_u24_sdwa v23, v23, s15 dst_sel:DWORD dst_unused:UNUSED_PAD src0_sel:WORD_1 src1_sel:DWORD
	v_pk_mul_f16 v59, v18, v59
	v_pk_fma_f16 v22, v39, v79, v22
	v_pk_mul_f16 v39, v18, v72
	v_pk_fma_f16 v40, v40, v78, v59
	v_pk_fma_f16 v38, v38, v80, v39
	;; [unrolled: 1-line block ×3, first 2 shown]
	v_mul_u32_u24_sdwa v23, v24, s15 dst_sel:DWORD dst_unused:UNUSED_PAD src0_sel:WORD_0 src1_sel:DWORD
	v_mul_u32_u24_sdwa v24, v24, s15 dst_sel:DWORD dst_unused:UNUSED_PAD src0_sel:WORD_1 src1_sel:DWORD
	v_mul_u32_u24_sdwa v37, v25, s15 dst_sel:DWORD dst_unused:UNUSED_PAD src0_sel:WORD_0 src1_sel:DWORD
	v_mul_u32_u24_sdwa v25, v25, s15 dst_sel:DWORD dst_unused:UNUSED_PAD src0_sel:WORD_1 src1_sel:DWORD
	v_pk_fma_f16 v23, v19, v23, v40
	v_pk_fma_f16 v22, v19, v24, v22
	;; [unrolled: 1-line block ×4, first 2 shown]
	ds_read2_b32 v[18:19], v35 offset0:64 offset1:96
	s_waitcnt lgkmcnt(3)
	v_mul_u32_u24_sdwa v37, v60, s15 dst_sel:DWORD dst_unused:UNUSED_PAD src0_sel:WORD_0 src1_sel:DWORD
	v_mul_u32_u24_sdwa v38, v60, s15 dst_sel:DWORD dst_unused:UNUSED_PAD src0_sel:WORD_1 src1_sel:DWORD
	v_mul_u32_u24_sdwa v39, v61, s15 dst_sel:DWORD dst_unused:UNUSED_PAD src0_sel:WORD_0 src1_sel:DWORD
	v_mul_u32_u24_sdwa v40, v61, s15 dst_sel:DWORD dst_unused:UNUSED_PAD src0_sel:WORD_1 src1_sel:DWORD
	s_waitcnt lgkmcnt(0)
	v_pk_fma_f16 v23, v18, v37, v23
	v_pk_fma_f16 v22, v18, v38, v22
	v_pk_fma_f16 v24, v18, v39, v24
	v_pk_fma_f16 v18, v18, v40, v25
	v_mul_u32_u24_sdwa v25, v62, s15 dst_sel:DWORD dst_unused:UNUSED_PAD src0_sel:WORD_0 src1_sel:DWORD
	v_mul_u32_u24_sdwa v37, v62, s15 dst_sel:DWORD dst_unused:UNUSED_PAD src0_sel:WORD_1 src1_sel:DWORD
	v_mul_u32_u24_sdwa v38, v63, s15 dst_sel:DWORD dst_unused:UNUSED_PAD src0_sel:WORD_0 src1_sel:DWORD
	v_mul_u32_u24_sdwa v39, v63, s15 dst_sel:DWORD dst_unused:UNUSED_PAD src0_sel:WORD_1 src1_sel:DWORD
	v_pk_fma_f16 v23, v19, v25, v23
	v_pk_fma_f16 v22, v19, v37, v22
	;; [unrolled: 1-line block ×4, first 2 shown]
	ds_read2_b32 v[18:19], v35 offset0:128 offset1:160
	v_mul_u32_u24_sdwa v37, v64, s15 dst_sel:DWORD dst_unused:UNUSED_PAD src0_sel:WORD_0 src1_sel:DWORD
	v_mul_u32_u24_sdwa v38, v64, s15 dst_sel:DWORD dst_unused:UNUSED_PAD src0_sel:WORD_1 src1_sel:DWORD
	v_mul_u32_u24_sdwa v39, v65, s15 dst_sel:DWORD dst_unused:UNUSED_PAD src0_sel:WORD_0 src1_sel:DWORD
	v_mul_u32_u24_sdwa v40, v65, s15 dst_sel:DWORD dst_unused:UNUSED_PAD src0_sel:WORD_1 src1_sel:DWORD
	s_waitcnt lgkmcnt(0)
	v_pk_fma_f16 v23, v18, v37, v23
	v_pk_fma_f16 v22, v18, v38, v22
	;; [unrolled: 1-line block ×4, first 2 shown]
	v_mul_u32_u24_sdwa v25, v66, s15 dst_sel:DWORD dst_unused:UNUSED_PAD src0_sel:WORD_0 src1_sel:DWORD
	v_mul_u32_u24_sdwa v37, v66, s15 dst_sel:DWORD dst_unused:UNUSED_PAD src0_sel:WORD_1 src1_sel:DWORD
	v_mul_u32_u24_sdwa v38, v67, s15 dst_sel:DWORD dst_unused:UNUSED_PAD src0_sel:WORD_0 src1_sel:DWORD
	v_mul_u32_u24_sdwa v39, v67, s15 dst_sel:DWORD dst_unused:UNUSED_PAD src0_sel:WORD_1 src1_sel:DWORD
	v_pk_fma_f16 v23, v19, v25, v23
	v_pk_fma_f16 v22, v19, v37, v22
	;; [unrolled: 1-line block ×4, first 2 shown]
	ds_read2_b32 v[18:19], v35 offset0:192 offset1:224
	v_mul_u32_u24_sdwa v37, v68, s15 dst_sel:DWORD dst_unused:UNUSED_PAD src0_sel:WORD_0 src1_sel:DWORD
	v_mul_u32_u24_sdwa v38, v68, s15 dst_sel:DWORD dst_unused:UNUSED_PAD src0_sel:WORD_1 src1_sel:DWORD
	v_mul_u32_u24_sdwa v39, v69, s15 dst_sel:DWORD dst_unused:UNUSED_PAD src0_sel:WORD_0 src1_sel:DWORD
	v_mul_u32_u24_sdwa v40, v69, s15 dst_sel:DWORD dst_unused:UNUSED_PAD src0_sel:WORD_1 src1_sel:DWORD
	s_waitcnt lgkmcnt(0)
	v_pk_fma_f16 v23, v18, v37, v23
	v_pk_fma_f16 v22, v18, v38, v22
	;; [unrolled: 1-line block ×4, first 2 shown]
	v_mul_u32_u24_sdwa v25, v70, s15 dst_sel:DWORD dst_unused:UNUSED_PAD src0_sel:WORD_0 src1_sel:DWORD
	v_mul_u32_u24_sdwa v37, v70, s15 dst_sel:DWORD dst_unused:UNUSED_PAD src0_sel:WORD_1 src1_sel:DWORD
	v_mul_u32_u24_sdwa v38, v71, s15 dst_sel:DWORD dst_unused:UNUSED_PAD src0_sel:WORD_0 src1_sel:DWORD
	v_pk_fma_f16 v40, v19, v25, v23
	v_pk_fma_f16 v37, v19, v37, v22
	;; [unrolled: 1-line block ×3, first 2 shown]
	ds_read_b128 v[22:25], v53 offset:64
	v_mul_u32_u24_sdwa v39, v71, s15 dst_sel:DWORD dst_unused:UNUSED_PAD src0_sel:WORD_1 src1_sel:DWORD
	v_add_u32_e32 v59, 0x400, v35
	v_pk_fma_f16 v39, v19, v39, v18
	ds_read2_b32 v[18:19], v59 offset1:32
	ds_read_b128 v[60:63], v53 offset:80
	s_waitcnt lgkmcnt(2)
	v_mul_u32_u24_sdwa v64, v22, s15 dst_sel:DWORD dst_unused:UNUSED_PAD src0_sel:WORD_0 src1_sel:DWORD
	v_mul_u32_u24_sdwa v22, v22, s15 dst_sel:DWORD dst_unused:UNUSED_PAD src0_sel:WORD_1 src1_sel:DWORD
	v_mul_u32_u24_sdwa v65, v23, s15 dst_sel:DWORD dst_unused:UNUSED_PAD src0_sel:WORD_0 src1_sel:DWORD
	v_mul_u32_u24_sdwa v23, v23, s15 dst_sel:DWORD dst_unused:UNUSED_PAD src0_sel:WORD_1 src1_sel:DWORD
	s_waitcnt lgkmcnt(1)
	v_pk_fma_f16 v40, v18, v64, v40
	v_pk_fma_f16 v22, v18, v22, v37
	;; [unrolled: 1-line block ×4, first 2 shown]
	v_mul_u32_u24_sdwa v23, v24, s15 dst_sel:DWORD dst_unused:UNUSED_PAD src0_sel:WORD_0 src1_sel:DWORD
	v_mul_u32_u24_sdwa v24, v24, s15 dst_sel:DWORD dst_unused:UNUSED_PAD src0_sel:WORD_1 src1_sel:DWORD
	v_mul_u32_u24_sdwa v38, v25, s15 dst_sel:DWORD dst_unused:UNUSED_PAD src0_sel:WORD_0 src1_sel:DWORD
	v_mul_u32_u24_sdwa v25, v25, s15 dst_sel:DWORD dst_unused:UNUSED_PAD src0_sel:WORD_1 src1_sel:DWORD
	v_pk_fma_f16 v23, v19, v23, v40
	v_pk_fma_f16 v22, v19, v24, v22
	;; [unrolled: 1-line block ×4, first 2 shown]
	ds_read2_b32 v[18:19], v59 offset0:64 offset1:96
	s_waitcnt lgkmcnt(1)
	v_mul_u32_u24_sdwa v37, v60, s15 dst_sel:DWORD dst_unused:UNUSED_PAD src0_sel:WORD_0 src1_sel:DWORD
	v_mul_u32_u24_sdwa v38, v60, s15 dst_sel:DWORD dst_unused:UNUSED_PAD src0_sel:WORD_1 src1_sel:DWORD
	v_mul_u32_u24_sdwa v39, v61, s15 dst_sel:DWORD dst_unused:UNUSED_PAD src0_sel:WORD_0 src1_sel:DWORD
	v_mul_u32_u24_sdwa v40, v61, s15 dst_sel:DWORD dst_unused:UNUSED_PAD src0_sel:WORD_1 src1_sel:DWORD
	s_waitcnt lgkmcnt(0)
	v_pk_fma_f16 v23, v18, v37, v23
	v_pk_fma_f16 v22, v18, v38, v22
	;; [unrolled: 1-line block ×4, first 2 shown]
	v_mul_u32_u24_sdwa v24, v62, s15 dst_sel:DWORD dst_unused:UNUSED_PAD src0_sel:WORD_0 src1_sel:DWORD
	v_mul_u32_u24_sdwa v25, v62, s15 dst_sel:DWORD dst_unused:UNUSED_PAD src0_sel:WORD_1 src1_sel:DWORD
	v_pk_fma_f16 v40, v19, v24, v23
	v_pk_fma_f16 v64, v19, v25, v22
	ds_read_b128 v[22:25], v53 offset:96
	v_mul_u32_u24_sdwa v38, v63, s15 dst_sel:DWORD dst_unused:UNUSED_PAD src0_sel:WORD_0 src1_sel:DWORD
	v_mul_u32_u24_sdwa v39, v63, s15 dst_sel:DWORD dst_unused:UNUSED_PAD src0_sel:WORD_1 src1_sel:DWORD
	v_pk_fma_f16 v37, v19, v38, v37
	v_pk_fma_f16 v38, v19, v39, v18
	ds_read2_b32 v[18:19], v59 offset0:128 offset1:160
	ds_read_b128 v[60:63], v53 offset:112
	s_waitcnt lgkmcnt(2)
	v_mul_u32_u24_sdwa v39, v22, s15 dst_sel:DWORD dst_unused:UNUSED_PAD src0_sel:WORD_0 src1_sel:DWORD
	v_mul_u32_u24_sdwa v22, v22, s15 dst_sel:DWORD dst_unused:UNUSED_PAD src0_sel:WORD_1 src1_sel:DWORD
	v_mul_u32_u24_sdwa v65, v23, s15 dst_sel:DWORD dst_unused:UNUSED_PAD src0_sel:WORD_0 src1_sel:DWORD
	v_mul_u32_u24_sdwa v23, v23, s15 dst_sel:DWORD dst_unused:UNUSED_PAD src0_sel:WORD_1 src1_sel:DWORD
	s_waitcnt lgkmcnt(1)
	v_pk_fma_f16 v39, v18, v39, v40
	v_pk_fma_f16 v22, v18, v22, v64
	;; [unrolled: 1-line block ×4, first 2 shown]
	v_mul_u32_u24_sdwa v23, v24, s15 dst_sel:DWORD dst_unused:UNUSED_PAD src0_sel:WORD_0 src1_sel:DWORD
	v_mul_u32_u24_sdwa v24, v24, s15 dst_sel:DWORD dst_unused:UNUSED_PAD src0_sel:WORD_1 src1_sel:DWORD
	v_mul_u32_u24_sdwa v38, v25, s15 dst_sel:DWORD dst_unused:UNUSED_PAD src0_sel:WORD_0 src1_sel:DWORD
	v_mul_u32_u24_sdwa v25, v25, s15 dst_sel:DWORD dst_unused:UNUSED_PAD src0_sel:WORD_1 src1_sel:DWORD
	v_pk_fma_f16 v23, v19, v23, v39
	v_pk_fma_f16 v22, v19, v24, v22
	;; [unrolled: 1-line block ×4, first 2 shown]
	ds_read2_b32 v[18:19], v59 offset0:192 offset1:224
	s_waitcnt lgkmcnt(1)
	v_mul_u32_u24_sdwa v37, v60, s15 dst_sel:DWORD dst_unused:UNUSED_PAD src0_sel:WORD_0 src1_sel:DWORD
	v_mul_u32_u24_sdwa v38, v60, s15 dst_sel:DWORD dst_unused:UNUSED_PAD src0_sel:WORD_1 src1_sel:DWORD
	v_mul_u32_u24_sdwa v39, v61, s15 dst_sel:DWORD dst_unused:UNUSED_PAD src0_sel:WORD_0 src1_sel:DWORD
	v_mul_u32_u24_sdwa v40, v61, s15 dst_sel:DWORD dst_unused:UNUSED_PAD src0_sel:WORD_1 src1_sel:DWORD
	s_waitcnt lgkmcnt(0)
	v_pk_fma_f16 v23, v18, v37, v23
	v_pk_fma_f16 v22, v18, v38, v22
	;; [unrolled: 1-line block ×4, first 2 shown]
	v_mul_u32_u24_sdwa v25, v62, s15 dst_sel:DWORD dst_unused:UNUSED_PAD src0_sel:WORD_0 src1_sel:DWORD
	v_mul_u32_u24_sdwa v37, v62, s15 dst_sel:DWORD dst_unused:UNUSED_PAD src0_sel:WORD_1 src1_sel:DWORD
	v_mul_u32_u24_sdwa v38, v63, s15 dst_sel:DWORD dst_unused:UNUSED_PAD src0_sel:WORD_0 src1_sel:DWORD
	v_pk_fma_f16 v40, v19, v25, v23
	v_pk_fma_f16 v37, v19, v37, v22
	;; [unrolled: 1-line block ×3, first 2 shown]
	ds_read_b128 v[22:25], v53 offset:128
	v_mul_u32_u24_sdwa v39, v63, s15 dst_sel:DWORD dst_unused:UNUSED_PAD src0_sel:WORD_1 src1_sel:DWORD
	v_add_u32_e32 v59, 0x800, v35
	v_pk_fma_f16 v39, v19, v39, v18
	ds_read2_b32 v[18:19], v59 offset1:32
	ds_read_b128 v[60:63], v53 offset:144
	s_waitcnt lgkmcnt(2)
	v_mul_u32_u24_sdwa v64, v22, s15 dst_sel:DWORD dst_unused:UNUSED_PAD src0_sel:WORD_0 src1_sel:DWORD
	v_mul_u32_u24_sdwa v22, v22, s15 dst_sel:DWORD dst_unused:UNUSED_PAD src0_sel:WORD_1 src1_sel:DWORD
	v_mul_u32_u24_sdwa v65, v23, s15 dst_sel:DWORD dst_unused:UNUSED_PAD src0_sel:WORD_0 src1_sel:DWORD
	v_mul_u32_u24_sdwa v23, v23, s15 dst_sel:DWORD dst_unused:UNUSED_PAD src0_sel:WORD_1 src1_sel:DWORD
	s_waitcnt lgkmcnt(1)
	v_pk_fma_f16 v40, v18, v64, v40
	v_pk_fma_f16 v22, v18, v22, v37
	;; [unrolled: 1-line block ×4, first 2 shown]
	v_mul_u32_u24_sdwa v23, v24, s15 dst_sel:DWORD dst_unused:UNUSED_PAD src0_sel:WORD_0 src1_sel:DWORD
	v_mul_u32_u24_sdwa v24, v24, s15 dst_sel:DWORD dst_unused:UNUSED_PAD src0_sel:WORD_1 src1_sel:DWORD
	v_mul_u32_u24_sdwa v38, v25, s15 dst_sel:DWORD dst_unused:UNUSED_PAD src0_sel:WORD_0 src1_sel:DWORD
	v_mul_u32_u24_sdwa v25, v25, s15 dst_sel:DWORD dst_unused:UNUSED_PAD src0_sel:WORD_1 src1_sel:DWORD
	v_pk_fma_f16 v23, v19, v23, v40
	v_pk_fma_f16 v22, v19, v24, v22
	;; [unrolled: 1-line block ×4, first 2 shown]
	ds_read2_b32 v[18:19], v59 offset0:64 offset1:96
	s_waitcnt lgkmcnt(1)
	v_mul_u32_u24_sdwa v37, v60, s15 dst_sel:DWORD dst_unused:UNUSED_PAD src0_sel:WORD_0 src1_sel:DWORD
	v_mul_u32_u24_sdwa v38, v60, s15 dst_sel:DWORD dst_unused:UNUSED_PAD src0_sel:WORD_1 src1_sel:DWORD
	v_mul_u32_u24_sdwa v39, v61, s15 dst_sel:DWORD dst_unused:UNUSED_PAD src0_sel:WORD_0 src1_sel:DWORD
	v_mul_u32_u24_sdwa v40, v61, s15 dst_sel:DWORD dst_unused:UNUSED_PAD src0_sel:WORD_1 src1_sel:DWORD
	s_waitcnt lgkmcnt(0)
	v_pk_fma_f16 v23, v18, v37, v23
	v_pk_fma_f16 v22, v18, v38, v22
	;; [unrolled: 1-line block ×4, first 2 shown]
	v_mul_u32_u24_sdwa v24, v62, s15 dst_sel:DWORD dst_unused:UNUSED_PAD src0_sel:WORD_0 src1_sel:DWORD
	v_mul_u32_u24_sdwa v25, v62, s15 dst_sel:DWORD dst_unused:UNUSED_PAD src0_sel:WORD_1 src1_sel:DWORD
	v_pk_fma_f16 v40, v19, v24, v23
	v_pk_fma_f16 v64, v19, v25, v22
	ds_read_b128 v[22:25], v53 offset:160
	v_mul_u32_u24_sdwa v38, v63, s15 dst_sel:DWORD dst_unused:UNUSED_PAD src0_sel:WORD_0 src1_sel:DWORD
	v_mul_u32_u24_sdwa v39, v63, s15 dst_sel:DWORD dst_unused:UNUSED_PAD src0_sel:WORD_1 src1_sel:DWORD
	v_pk_fma_f16 v37, v19, v38, v37
	v_pk_fma_f16 v38, v19, v39, v18
	ds_read2_b32 v[18:19], v59 offset0:128 offset1:160
	ds_read_b128 v[60:63], v53 offset:176
	s_waitcnt lgkmcnt(2)
	v_mul_u32_u24_sdwa v39, v22, s15 dst_sel:DWORD dst_unused:UNUSED_PAD src0_sel:WORD_0 src1_sel:DWORD
	v_mul_u32_u24_sdwa v22, v22, s15 dst_sel:DWORD dst_unused:UNUSED_PAD src0_sel:WORD_1 src1_sel:DWORD
	v_mul_u32_u24_sdwa v65, v23, s15 dst_sel:DWORD dst_unused:UNUSED_PAD src0_sel:WORD_0 src1_sel:DWORD
	v_mul_u32_u24_sdwa v23, v23, s15 dst_sel:DWORD dst_unused:UNUSED_PAD src0_sel:WORD_1 src1_sel:DWORD
	s_waitcnt lgkmcnt(1)
	v_pk_fma_f16 v39, v18, v39, v40
	v_pk_fma_f16 v22, v18, v22, v64
	;; [unrolled: 1-line block ×4, first 2 shown]
	v_mul_u32_u24_sdwa v23, v24, s15 dst_sel:DWORD dst_unused:UNUSED_PAD src0_sel:WORD_0 src1_sel:DWORD
	v_mul_u32_u24_sdwa v24, v24, s15 dst_sel:DWORD dst_unused:UNUSED_PAD src0_sel:WORD_1 src1_sel:DWORD
	v_mul_u32_u24_sdwa v38, v25, s15 dst_sel:DWORD dst_unused:UNUSED_PAD src0_sel:WORD_0 src1_sel:DWORD
	v_mul_u32_u24_sdwa v25, v25, s15 dst_sel:DWORD dst_unused:UNUSED_PAD src0_sel:WORD_1 src1_sel:DWORD
	v_pk_fma_f16 v23, v19, v23, v39
	v_pk_fma_f16 v22, v19, v24, v22
	;; [unrolled: 1-line block ×4, first 2 shown]
	ds_read2_b32 v[18:19], v59 offset0:192 offset1:224
	s_waitcnt lgkmcnt(1)
	v_mul_u32_u24_sdwa v37, v60, s15 dst_sel:DWORD dst_unused:UNUSED_PAD src0_sel:WORD_0 src1_sel:DWORD
	v_mul_u32_u24_sdwa v38, v60, s15 dst_sel:DWORD dst_unused:UNUSED_PAD src0_sel:WORD_1 src1_sel:DWORD
	v_mul_u32_u24_sdwa v39, v61, s15 dst_sel:DWORD dst_unused:UNUSED_PAD src0_sel:WORD_0 src1_sel:DWORD
	v_mul_u32_u24_sdwa v40, v61, s15 dst_sel:DWORD dst_unused:UNUSED_PAD src0_sel:WORD_1 src1_sel:DWORD
	s_waitcnt lgkmcnt(0)
	v_pk_fma_f16 v23, v18, v37, v23
	v_pk_fma_f16 v22, v18, v38, v22
	;; [unrolled: 1-line block ×4, first 2 shown]
	v_mul_u32_u24_sdwa v25, v62, s15 dst_sel:DWORD dst_unused:UNUSED_PAD src0_sel:WORD_0 src1_sel:DWORD
	v_mul_u32_u24_sdwa v37, v62, s15 dst_sel:DWORD dst_unused:UNUSED_PAD src0_sel:WORD_1 src1_sel:DWORD
	v_mul_u32_u24_sdwa v38, v63, s15 dst_sel:DWORD dst_unused:UNUSED_PAD src0_sel:WORD_0 src1_sel:DWORD
	v_pk_fma_f16 v40, v19, v25, v23
	v_pk_fma_f16 v37, v19, v37, v22
	;; [unrolled: 1-line block ×3, first 2 shown]
	ds_read_b128 v[22:25], v53 offset:192
	v_mul_u32_u24_sdwa v39, v63, s15 dst_sel:DWORD dst_unused:UNUSED_PAD src0_sel:WORD_1 src1_sel:DWORD
	v_add_u32_e32 v59, 0xc00, v35
	v_pk_fma_f16 v39, v19, v39, v18
	ds_read2_b32 v[18:19], v59 offset1:32
	ds_read_b128 v[60:63], v53 offset:208
	s_waitcnt lgkmcnt(2)
	v_mul_u32_u24_sdwa v64, v22, s15 dst_sel:DWORD dst_unused:UNUSED_PAD src0_sel:WORD_0 src1_sel:DWORD
	v_mul_u32_u24_sdwa v22, v22, s15 dst_sel:DWORD dst_unused:UNUSED_PAD src0_sel:WORD_1 src1_sel:DWORD
	v_mul_u32_u24_sdwa v65, v23, s15 dst_sel:DWORD dst_unused:UNUSED_PAD src0_sel:WORD_0 src1_sel:DWORD
	v_mul_u32_u24_sdwa v23, v23, s15 dst_sel:DWORD dst_unused:UNUSED_PAD src0_sel:WORD_1 src1_sel:DWORD
	s_waitcnt lgkmcnt(1)
	v_pk_fma_f16 v40, v18, v64, v40
	v_pk_fma_f16 v22, v18, v22, v37
	;; [unrolled: 1-line block ×4, first 2 shown]
	v_mul_u32_u24_sdwa v23, v24, s15 dst_sel:DWORD dst_unused:UNUSED_PAD src0_sel:WORD_0 src1_sel:DWORD
	v_mul_u32_u24_sdwa v24, v24, s15 dst_sel:DWORD dst_unused:UNUSED_PAD src0_sel:WORD_1 src1_sel:DWORD
	v_mul_u32_u24_sdwa v38, v25, s15 dst_sel:DWORD dst_unused:UNUSED_PAD src0_sel:WORD_0 src1_sel:DWORD
	v_mul_u32_u24_sdwa v25, v25, s15 dst_sel:DWORD dst_unused:UNUSED_PAD src0_sel:WORD_1 src1_sel:DWORD
	v_pk_fma_f16 v23, v19, v23, v40
	v_pk_fma_f16 v22, v19, v24, v22
	;; [unrolled: 1-line block ×4, first 2 shown]
	ds_read2_b32 v[18:19], v59 offset0:64 offset1:96
	s_waitcnt lgkmcnt(1)
	v_mul_u32_u24_sdwa v37, v60, s15 dst_sel:DWORD dst_unused:UNUSED_PAD src0_sel:WORD_0 src1_sel:DWORD
	v_mul_u32_u24_sdwa v38, v60, s15 dst_sel:DWORD dst_unused:UNUSED_PAD src0_sel:WORD_1 src1_sel:DWORD
	v_mul_u32_u24_sdwa v39, v61, s15 dst_sel:DWORD dst_unused:UNUSED_PAD src0_sel:WORD_0 src1_sel:DWORD
	v_mul_u32_u24_sdwa v40, v61, s15 dst_sel:DWORD dst_unused:UNUSED_PAD src0_sel:WORD_1 src1_sel:DWORD
	s_waitcnt lgkmcnt(0)
	v_pk_fma_f16 v23, v18, v37, v23
	v_pk_fma_f16 v22, v18, v38, v22
	;; [unrolled: 1-line block ×4, first 2 shown]
	v_mul_u32_u24_sdwa v24, v62, s15 dst_sel:DWORD dst_unused:UNUSED_PAD src0_sel:WORD_0 src1_sel:DWORD
	v_mul_u32_u24_sdwa v25, v62, s15 dst_sel:DWORD dst_unused:UNUSED_PAD src0_sel:WORD_1 src1_sel:DWORD
	v_pk_fma_f16 v40, v19, v24, v23
	v_pk_fma_f16 v64, v19, v25, v22
	ds_read_b128 v[22:25], v53 offset:224
	v_mul_u32_u24_sdwa v38, v63, s15 dst_sel:DWORD dst_unused:UNUSED_PAD src0_sel:WORD_0 src1_sel:DWORD
	v_mul_u32_u24_sdwa v39, v63, s15 dst_sel:DWORD dst_unused:UNUSED_PAD src0_sel:WORD_1 src1_sel:DWORD
	v_pk_fma_f16 v37, v19, v38, v37
	v_pk_fma_f16 v38, v19, v39, v18
	ds_read2_b32 v[18:19], v59 offset0:128 offset1:160
	ds_read_b128 v[60:63], v53 offset:240
	s_waitcnt lgkmcnt(2)
	v_mul_u32_u24_sdwa v39, v22, s15 dst_sel:DWORD dst_unused:UNUSED_PAD src0_sel:WORD_0 src1_sel:DWORD
	v_mul_u32_u24_sdwa v22, v22, s15 dst_sel:DWORD dst_unused:UNUSED_PAD src0_sel:WORD_1 src1_sel:DWORD
	v_mul_u32_u24_sdwa v65, v23, s15 dst_sel:DWORD dst_unused:UNUSED_PAD src0_sel:WORD_0 src1_sel:DWORD
	v_mul_u32_u24_sdwa v23, v23, s15 dst_sel:DWORD dst_unused:UNUSED_PAD src0_sel:WORD_1 src1_sel:DWORD
	s_waitcnt lgkmcnt(1)
	v_pk_fma_f16 v39, v18, v39, v40
	v_pk_fma_f16 v22, v18, v22, v64
	;; [unrolled: 1-line block ×4, first 2 shown]
	v_mul_u32_u24_sdwa v23, v24, s15 dst_sel:DWORD dst_unused:UNUSED_PAD src0_sel:WORD_0 src1_sel:DWORD
	v_mul_u32_u24_sdwa v24, v24, s15 dst_sel:DWORD dst_unused:UNUSED_PAD src0_sel:WORD_1 src1_sel:DWORD
	v_mul_u32_u24_sdwa v38, v25, s15 dst_sel:DWORD dst_unused:UNUSED_PAD src0_sel:WORD_0 src1_sel:DWORD
	v_mul_u32_u24_sdwa v25, v25, s15 dst_sel:DWORD dst_unused:UNUSED_PAD src0_sel:WORD_1 src1_sel:DWORD
	v_pk_fma_f16 v23, v19, v23, v39
	v_pk_fma_f16 v22, v19, v24, v22
	;; [unrolled: 1-line block ×4, first 2 shown]
	ds_read2_b32 v[18:19], v59 offset0:192 offset1:224
	s_waitcnt lgkmcnt(1)
	v_mul_u32_u24_sdwa v37, v60, s15 dst_sel:DWORD dst_unused:UNUSED_PAD src0_sel:WORD_0 src1_sel:DWORD
	v_mul_u32_u24_sdwa v38, v60, s15 dst_sel:DWORD dst_unused:UNUSED_PAD src0_sel:WORD_1 src1_sel:DWORD
	v_mul_u32_u24_sdwa v39, v61, s15 dst_sel:DWORD dst_unused:UNUSED_PAD src0_sel:WORD_0 src1_sel:DWORD
	v_mul_u32_u24_sdwa v40, v61, s15 dst_sel:DWORD dst_unused:UNUSED_PAD src0_sel:WORD_1 src1_sel:DWORD
	s_waitcnt lgkmcnt(0)
	v_pk_fma_f16 v23, v18, v37, v23
	v_pk_fma_f16 v22, v18, v38, v22
	;; [unrolled: 1-line block ×4, first 2 shown]
	v_mul_u32_u24_sdwa v25, v62, s15 dst_sel:DWORD dst_unused:UNUSED_PAD src0_sel:WORD_0 src1_sel:DWORD
	v_mul_u32_u24_sdwa v37, v62, s15 dst_sel:DWORD dst_unused:UNUSED_PAD src0_sel:WORD_1 src1_sel:DWORD
	v_mul_u32_u24_sdwa v38, v63, s15 dst_sel:DWORD dst_unused:UNUSED_PAD src0_sel:WORD_0 src1_sel:DWORD
	v_pk_fma_f16 v40, v19, v25, v23
	v_pk_fma_f16 v37, v19, v37, v22
	;; [unrolled: 1-line block ×3, first 2 shown]
	ds_read_b128 v[22:25], v53 offset:256
	v_mul_u32_u24_sdwa v39, v63, s15 dst_sel:DWORD dst_unused:UNUSED_PAD src0_sel:WORD_1 src1_sel:DWORD
	v_add_u32_e32 v59, 0x1000, v35
	v_pk_fma_f16 v39, v19, v39, v18
	ds_read2_b32 v[18:19], v59 offset1:32
	ds_read_b128 v[60:63], v53 offset:272
	s_waitcnt lgkmcnt(2)
	v_mul_u32_u24_sdwa v64, v22, s15 dst_sel:DWORD dst_unused:UNUSED_PAD src0_sel:WORD_0 src1_sel:DWORD
	v_mul_u32_u24_sdwa v22, v22, s15 dst_sel:DWORD dst_unused:UNUSED_PAD src0_sel:WORD_1 src1_sel:DWORD
	v_mul_u32_u24_sdwa v65, v23, s15 dst_sel:DWORD dst_unused:UNUSED_PAD src0_sel:WORD_0 src1_sel:DWORD
	v_mul_u32_u24_sdwa v23, v23, s15 dst_sel:DWORD dst_unused:UNUSED_PAD src0_sel:WORD_1 src1_sel:DWORD
	s_waitcnt lgkmcnt(1)
	v_pk_fma_f16 v40, v18, v64, v40
	v_pk_fma_f16 v22, v18, v22, v37
	v_pk_fma_f16 v37, v18, v65, v38
	v_pk_fma_f16 v18, v18, v23, v39
	v_mul_u32_u24_sdwa v23, v24, s15 dst_sel:DWORD dst_unused:UNUSED_PAD src0_sel:WORD_0 src1_sel:DWORD
	v_mul_u32_u24_sdwa v24, v24, s15 dst_sel:DWORD dst_unused:UNUSED_PAD src0_sel:WORD_1 src1_sel:DWORD
	v_mul_u32_u24_sdwa v38, v25, s15 dst_sel:DWORD dst_unused:UNUSED_PAD src0_sel:WORD_0 src1_sel:DWORD
	v_mul_u32_u24_sdwa v25, v25, s15 dst_sel:DWORD dst_unused:UNUSED_PAD src0_sel:WORD_1 src1_sel:DWORD
	v_pk_fma_f16 v23, v19, v23, v40
	v_pk_fma_f16 v22, v19, v24, v22
	;; [unrolled: 1-line block ×4, first 2 shown]
	ds_read2_b32 v[18:19], v59 offset0:64 offset1:96
	s_waitcnt lgkmcnt(1)
	v_mul_u32_u24_sdwa v37, v60, s15 dst_sel:DWORD dst_unused:UNUSED_PAD src0_sel:WORD_0 src1_sel:DWORD
	v_mul_u32_u24_sdwa v38, v60, s15 dst_sel:DWORD dst_unused:UNUSED_PAD src0_sel:WORD_1 src1_sel:DWORD
	v_mul_u32_u24_sdwa v39, v61, s15 dst_sel:DWORD dst_unused:UNUSED_PAD src0_sel:WORD_0 src1_sel:DWORD
	v_mul_u32_u24_sdwa v40, v61, s15 dst_sel:DWORD dst_unused:UNUSED_PAD src0_sel:WORD_1 src1_sel:DWORD
	s_waitcnt lgkmcnt(0)
	v_pk_fma_f16 v23, v18, v37, v23
	v_pk_fma_f16 v22, v18, v38, v22
	;; [unrolled: 1-line block ×4, first 2 shown]
	v_mul_u32_u24_sdwa v24, v62, s15 dst_sel:DWORD dst_unused:UNUSED_PAD src0_sel:WORD_0 src1_sel:DWORD
	v_mul_u32_u24_sdwa v25, v62, s15 dst_sel:DWORD dst_unused:UNUSED_PAD src0_sel:WORD_1 src1_sel:DWORD
	v_pk_fma_f16 v40, v19, v24, v23
	v_pk_fma_f16 v64, v19, v25, v22
	ds_read_b128 v[22:25], v53 offset:288
	v_mul_u32_u24_sdwa v38, v63, s15 dst_sel:DWORD dst_unused:UNUSED_PAD src0_sel:WORD_0 src1_sel:DWORD
	v_mul_u32_u24_sdwa v39, v63, s15 dst_sel:DWORD dst_unused:UNUSED_PAD src0_sel:WORD_1 src1_sel:DWORD
	v_pk_fma_f16 v37, v19, v38, v37
	v_pk_fma_f16 v38, v19, v39, v18
	ds_read2_b32 v[18:19], v59 offset0:128 offset1:160
	ds_read_b128 v[60:63], v53 offset:304
	s_waitcnt lgkmcnt(2)
	v_mul_u32_u24_sdwa v39, v22, s15 dst_sel:DWORD dst_unused:UNUSED_PAD src0_sel:WORD_0 src1_sel:DWORD
	v_mul_u32_u24_sdwa v22, v22, s15 dst_sel:DWORD dst_unused:UNUSED_PAD src0_sel:WORD_1 src1_sel:DWORD
	v_mul_u32_u24_sdwa v65, v23, s15 dst_sel:DWORD dst_unused:UNUSED_PAD src0_sel:WORD_0 src1_sel:DWORD
	v_mul_u32_u24_sdwa v23, v23, s15 dst_sel:DWORD dst_unused:UNUSED_PAD src0_sel:WORD_1 src1_sel:DWORD
	s_waitcnt lgkmcnt(1)
	v_pk_fma_f16 v39, v18, v39, v40
	v_pk_fma_f16 v22, v18, v22, v64
	;; [unrolled: 1-line block ×4, first 2 shown]
	v_mul_u32_u24_sdwa v23, v24, s15 dst_sel:DWORD dst_unused:UNUSED_PAD src0_sel:WORD_0 src1_sel:DWORD
	v_mul_u32_u24_sdwa v24, v24, s15 dst_sel:DWORD dst_unused:UNUSED_PAD src0_sel:WORD_1 src1_sel:DWORD
	v_mul_u32_u24_sdwa v38, v25, s15 dst_sel:DWORD dst_unused:UNUSED_PAD src0_sel:WORD_0 src1_sel:DWORD
	v_mul_u32_u24_sdwa v25, v25, s15 dst_sel:DWORD dst_unused:UNUSED_PAD src0_sel:WORD_1 src1_sel:DWORD
	v_pk_fma_f16 v23, v19, v23, v39
	v_pk_fma_f16 v22, v19, v24, v22
	v_pk_fma_f16 v24, v19, v38, v37
	v_pk_fma_f16 v25, v19, v25, v18
	ds_read2_b32 v[18:19], v59 offset0:192 offset1:224
	s_waitcnt lgkmcnt(1)
	v_mul_u32_u24_sdwa v37, v60, s15 dst_sel:DWORD dst_unused:UNUSED_PAD src0_sel:WORD_0 src1_sel:DWORD
	v_mul_u32_u24_sdwa v38, v60, s15 dst_sel:DWORD dst_unused:UNUSED_PAD src0_sel:WORD_1 src1_sel:DWORD
	v_mul_u32_u24_sdwa v39, v61, s15 dst_sel:DWORD dst_unused:UNUSED_PAD src0_sel:WORD_0 src1_sel:DWORD
	v_mul_u32_u24_sdwa v40, v61, s15 dst_sel:DWORD dst_unused:UNUSED_PAD src0_sel:WORD_1 src1_sel:DWORD
	s_waitcnt lgkmcnt(0)
	v_pk_fma_f16 v23, v18, v37, v23
	v_pk_fma_f16 v22, v18, v38, v22
	;; [unrolled: 1-line block ×4, first 2 shown]
	v_mul_u32_u24_sdwa v25, v62, s15 dst_sel:DWORD dst_unused:UNUSED_PAD src0_sel:WORD_0 src1_sel:DWORD
	v_mul_u32_u24_sdwa v37, v62, s15 dst_sel:DWORD dst_unused:UNUSED_PAD src0_sel:WORD_1 src1_sel:DWORD
	v_mul_u32_u24_sdwa v38, v63, s15 dst_sel:DWORD dst_unused:UNUSED_PAD src0_sel:WORD_0 src1_sel:DWORD
	v_pk_fma_f16 v40, v19, v25, v23
	v_pk_fma_f16 v37, v19, v37, v22
	v_pk_fma_f16 v38, v19, v38, v24
	ds_read_b128 v[22:25], v53 offset:320
	v_mul_u32_u24_sdwa v39, v63, s15 dst_sel:DWORD dst_unused:UNUSED_PAD src0_sel:WORD_1 src1_sel:DWORD
	v_add_u32_e32 v59, 0x1400, v35
	v_pk_fma_f16 v39, v19, v39, v18
	ds_read2_b32 v[18:19], v59 offset1:32
	ds_read_b128 v[60:63], v53 offset:336
	s_waitcnt lgkmcnt(2)
	v_mul_u32_u24_sdwa v64, v22, s15 dst_sel:DWORD dst_unused:UNUSED_PAD src0_sel:WORD_0 src1_sel:DWORD
	v_mul_u32_u24_sdwa v22, v22, s15 dst_sel:DWORD dst_unused:UNUSED_PAD src0_sel:WORD_1 src1_sel:DWORD
	v_mul_u32_u24_sdwa v65, v23, s15 dst_sel:DWORD dst_unused:UNUSED_PAD src0_sel:WORD_0 src1_sel:DWORD
	v_mul_u32_u24_sdwa v23, v23, s15 dst_sel:DWORD dst_unused:UNUSED_PAD src0_sel:WORD_1 src1_sel:DWORD
	s_waitcnt lgkmcnt(1)
	v_pk_fma_f16 v40, v18, v64, v40
	v_pk_fma_f16 v22, v18, v22, v37
	;; [unrolled: 1-line block ×4, first 2 shown]
	v_mul_u32_u24_sdwa v23, v24, s15 dst_sel:DWORD dst_unused:UNUSED_PAD src0_sel:WORD_0 src1_sel:DWORD
	v_mul_u32_u24_sdwa v24, v24, s15 dst_sel:DWORD dst_unused:UNUSED_PAD src0_sel:WORD_1 src1_sel:DWORD
	v_mul_u32_u24_sdwa v38, v25, s15 dst_sel:DWORD dst_unused:UNUSED_PAD src0_sel:WORD_0 src1_sel:DWORD
	v_mul_u32_u24_sdwa v25, v25, s15 dst_sel:DWORD dst_unused:UNUSED_PAD src0_sel:WORD_1 src1_sel:DWORD
	v_pk_fma_f16 v23, v19, v23, v40
	v_pk_fma_f16 v22, v19, v24, v22
	;; [unrolled: 1-line block ×4, first 2 shown]
	ds_read2_b32 v[18:19], v59 offset0:64 offset1:96
	s_waitcnt lgkmcnt(1)
	v_mul_u32_u24_sdwa v37, v60, s15 dst_sel:DWORD dst_unused:UNUSED_PAD src0_sel:WORD_0 src1_sel:DWORD
	v_mul_u32_u24_sdwa v38, v60, s15 dst_sel:DWORD dst_unused:UNUSED_PAD src0_sel:WORD_1 src1_sel:DWORD
	v_mul_u32_u24_sdwa v39, v61, s15 dst_sel:DWORD dst_unused:UNUSED_PAD src0_sel:WORD_0 src1_sel:DWORD
	v_mul_u32_u24_sdwa v40, v61, s15 dst_sel:DWORD dst_unused:UNUSED_PAD src0_sel:WORD_1 src1_sel:DWORD
	s_waitcnt lgkmcnt(0)
	v_pk_fma_f16 v23, v18, v37, v23
	v_pk_fma_f16 v22, v18, v38, v22
	;; [unrolled: 1-line block ×4, first 2 shown]
	v_mul_u32_u24_sdwa v24, v62, s15 dst_sel:DWORD dst_unused:UNUSED_PAD src0_sel:WORD_0 src1_sel:DWORD
	v_mul_u32_u24_sdwa v25, v62, s15 dst_sel:DWORD dst_unused:UNUSED_PAD src0_sel:WORD_1 src1_sel:DWORD
	v_pk_fma_f16 v40, v19, v24, v23
	v_pk_fma_f16 v64, v19, v25, v22
	ds_read_b128 v[22:25], v53 offset:352
	v_mul_u32_u24_sdwa v38, v63, s15 dst_sel:DWORD dst_unused:UNUSED_PAD src0_sel:WORD_0 src1_sel:DWORD
	v_mul_u32_u24_sdwa v39, v63, s15 dst_sel:DWORD dst_unused:UNUSED_PAD src0_sel:WORD_1 src1_sel:DWORD
	v_pk_fma_f16 v37, v19, v38, v37
	v_pk_fma_f16 v38, v19, v39, v18
	ds_read2_b32 v[18:19], v59 offset0:128 offset1:160
	ds_read_b128 v[60:63], v53 offset:368
	s_waitcnt lgkmcnt(2)
	v_mul_u32_u24_sdwa v39, v22, s15 dst_sel:DWORD dst_unused:UNUSED_PAD src0_sel:WORD_0 src1_sel:DWORD
	v_mul_u32_u24_sdwa v22, v22, s15 dst_sel:DWORD dst_unused:UNUSED_PAD src0_sel:WORD_1 src1_sel:DWORD
	v_mul_u32_u24_sdwa v65, v23, s15 dst_sel:DWORD dst_unused:UNUSED_PAD src0_sel:WORD_0 src1_sel:DWORD
	v_mul_u32_u24_sdwa v23, v23, s15 dst_sel:DWORD dst_unused:UNUSED_PAD src0_sel:WORD_1 src1_sel:DWORD
	s_waitcnt lgkmcnt(1)
	v_pk_fma_f16 v39, v18, v39, v40
	v_pk_fma_f16 v22, v18, v22, v64
	;; [unrolled: 1-line block ×4, first 2 shown]
	v_mul_u32_u24_sdwa v23, v24, s15 dst_sel:DWORD dst_unused:UNUSED_PAD src0_sel:WORD_0 src1_sel:DWORD
	v_mul_u32_u24_sdwa v24, v24, s15 dst_sel:DWORD dst_unused:UNUSED_PAD src0_sel:WORD_1 src1_sel:DWORD
	v_mul_u32_u24_sdwa v38, v25, s15 dst_sel:DWORD dst_unused:UNUSED_PAD src0_sel:WORD_0 src1_sel:DWORD
	v_mul_u32_u24_sdwa v25, v25, s15 dst_sel:DWORD dst_unused:UNUSED_PAD src0_sel:WORD_1 src1_sel:DWORD
	v_pk_fma_f16 v23, v19, v23, v39
	v_pk_fma_f16 v22, v19, v24, v22
	;; [unrolled: 1-line block ×4, first 2 shown]
	ds_read2_b32 v[18:19], v59 offset0:192 offset1:224
	s_waitcnt lgkmcnt(1)
	v_mul_u32_u24_sdwa v37, v60, s15 dst_sel:DWORD dst_unused:UNUSED_PAD src0_sel:WORD_0 src1_sel:DWORD
	v_mul_u32_u24_sdwa v38, v60, s15 dst_sel:DWORD dst_unused:UNUSED_PAD src0_sel:WORD_1 src1_sel:DWORD
	v_mul_u32_u24_sdwa v39, v61, s15 dst_sel:DWORD dst_unused:UNUSED_PAD src0_sel:WORD_0 src1_sel:DWORD
	v_mul_u32_u24_sdwa v40, v61, s15 dst_sel:DWORD dst_unused:UNUSED_PAD src0_sel:WORD_1 src1_sel:DWORD
	s_waitcnt lgkmcnt(0)
	v_pk_fma_f16 v23, v18, v37, v23
	v_pk_fma_f16 v22, v18, v38, v22
	;; [unrolled: 1-line block ×4, first 2 shown]
	v_mul_u32_u24_sdwa v25, v62, s15 dst_sel:DWORD dst_unused:UNUSED_PAD src0_sel:WORD_0 src1_sel:DWORD
	v_mul_u32_u24_sdwa v37, v62, s15 dst_sel:DWORD dst_unused:UNUSED_PAD src0_sel:WORD_1 src1_sel:DWORD
	v_mul_u32_u24_sdwa v38, v63, s15 dst_sel:DWORD dst_unused:UNUSED_PAD src0_sel:WORD_0 src1_sel:DWORD
	v_pk_fma_f16 v40, v19, v25, v23
	v_pk_fma_f16 v37, v19, v37, v22
	;; [unrolled: 1-line block ×3, first 2 shown]
	ds_read_b128 v[22:25], v53 offset:384
	v_mul_u32_u24_sdwa v39, v63, s15 dst_sel:DWORD dst_unused:UNUSED_PAD src0_sel:WORD_1 src1_sel:DWORD
	v_add_u32_e32 v59, 0x1800, v35
	v_pk_fma_f16 v39, v19, v39, v18
	ds_read2_b32 v[18:19], v59 offset1:32
	ds_read_b128 v[60:63], v53 offset:400
	s_waitcnt lgkmcnt(2)
	v_mul_u32_u24_sdwa v64, v22, s15 dst_sel:DWORD dst_unused:UNUSED_PAD src0_sel:WORD_0 src1_sel:DWORD
	v_mul_u32_u24_sdwa v22, v22, s15 dst_sel:DWORD dst_unused:UNUSED_PAD src0_sel:WORD_1 src1_sel:DWORD
	v_mul_u32_u24_sdwa v65, v23, s15 dst_sel:DWORD dst_unused:UNUSED_PAD src0_sel:WORD_0 src1_sel:DWORD
	v_mul_u32_u24_sdwa v23, v23, s15 dst_sel:DWORD dst_unused:UNUSED_PAD src0_sel:WORD_1 src1_sel:DWORD
	s_waitcnt lgkmcnt(1)
	v_pk_fma_f16 v40, v18, v64, v40
	v_pk_fma_f16 v22, v18, v22, v37
	;; [unrolled: 1-line block ×4, first 2 shown]
	v_mul_u32_u24_sdwa v23, v24, s15 dst_sel:DWORD dst_unused:UNUSED_PAD src0_sel:WORD_0 src1_sel:DWORD
	v_mul_u32_u24_sdwa v24, v24, s15 dst_sel:DWORD dst_unused:UNUSED_PAD src0_sel:WORD_1 src1_sel:DWORD
	v_mul_u32_u24_sdwa v38, v25, s15 dst_sel:DWORD dst_unused:UNUSED_PAD src0_sel:WORD_0 src1_sel:DWORD
	v_mul_u32_u24_sdwa v25, v25, s15 dst_sel:DWORD dst_unused:UNUSED_PAD src0_sel:WORD_1 src1_sel:DWORD
	v_pk_fma_f16 v23, v19, v23, v40
	v_pk_fma_f16 v22, v19, v24, v22
	;; [unrolled: 1-line block ×4, first 2 shown]
	ds_read2_b32 v[18:19], v59 offset0:64 offset1:96
	s_waitcnt lgkmcnt(1)
	v_mul_u32_u24_sdwa v37, v60, s15 dst_sel:DWORD dst_unused:UNUSED_PAD src0_sel:WORD_0 src1_sel:DWORD
	v_mul_u32_u24_sdwa v38, v60, s15 dst_sel:DWORD dst_unused:UNUSED_PAD src0_sel:WORD_1 src1_sel:DWORD
	v_mul_u32_u24_sdwa v39, v61, s15 dst_sel:DWORD dst_unused:UNUSED_PAD src0_sel:WORD_0 src1_sel:DWORD
	v_mul_u32_u24_sdwa v40, v61, s15 dst_sel:DWORD dst_unused:UNUSED_PAD src0_sel:WORD_1 src1_sel:DWORD
	s_waitcnt lgkmcnt(0)
	v_pk_fma_f16 v23, v18, v37, v23
	v_pk_fma_f16 v22, v18, v38, v22
	;; [unrolled: 1-line block ×4, first 2 shown]
	v_mul_u32_u24_sdwa v24, v62, s15 dst_sel:DWORD dst_unused:UNUSED_PAD src0_sel:WORD_0 src1_sel:DWORD
	v_mul_u32_u24_sdwa v25, v62, s15 dst_sel:DWORD dst_unused:UNUSED_PAD src0_sel:WORD_1 src1_sel:DWORD
	v_pk_fma_f16 v40, v19, v24, v23
	v_pk_fma_f16 v64, v19, v25, v22
	ds_read_b128 v[22:25], v53 offset:416
	v_mul_u32_u24_sdwa v38, v63, s15 dst_sel:DWORD dst_unused:UNUSED_PAD src0_sel:WORD_0 src1_sel:DWORD
	v_mul_u32_u24_sdwa v39, v63, s15 dst_sel:DWORD dst_unused:UNUSED_PAD src0_sel:WORD_1 src1_sel:DWORD
	v_pk_fma_f16 v37, v19, v38, v37
	v_pk_fma_f16 v38, v19, v39, v18
	ds_read2_b32 v[18:19], v59 offset0:128 offset1:160
	ds_read_b128 v[60:63], v53 offset:432
	s_waitcnt lgkmcnt(2)
	v_mul_u32_u24_sdwa v39, v22, s15 dst_sel:DWORD dst_unused:UNUSED_PAD src0_sel:WORD_0 src1_sel:DWORD
	v_mul_u32_u24_sdwa v22, v22, s15 dst_sel:DWORD dst_unused:UNUSED_PAD src0_sel:WORD_1 src1_sel:DWORD
	v_mul_u32_u24_sdwa v65, v23, s15 dst_sel:DWORD dst_unused:UNUSED_PAD src0_sel:WORD_0 src1_sel:DWORD
	v_mul_u32_u24_sdwa v23, v23, s15 dst_sel:DWORD dst_unused:UNUSED_PAD src0_sel:WORD_1 src1_sel:DWORD
	s_waitcnt lgkmcnt(1)
	v_pk_fma_f16 v39, v18, v39, v40
	v_pk_fma_f16 v22, v18, v22, v64
	;; [unrolled: 1-line block ×4, first 2 shown]
	v_mul_u32_u24_sdwa v23, v24, s15 dst_sel:DWORD dst_unused:UNUSED_PAD src0_sel:WORD_0 src1_sel:DWORD
	v_mul_u32_u24_sdwa v24, v24, s15 dst_sel:DWORD dst_unused:UNUSED_PAD src0_sel:WORD_1 src1_sel:DWORD
	v_mul_u32_u24_sdwa v38, v25, s15 dst_sel:DWORD dst_unused:UNUSED_PAD src0_sel:WORD_0 src1_sel:DWORD
	v_mul_u32_u24_sdwa v25, v25, s15 dst_sel:DWORD dst_unused:UNUSED_PAD src0_sel:WORD_1 src1_sel:DWORD
	v_pk_fma_f16 v23, v19, v23, v39
	v_pk_fma_f16 v22, v19, v24, v22
	v_pk_fma_f16 v24, v19, v38, v37
	v_pk_fma_f16 v25, v19, v25, v18
	ds_read2_b32 v[18:19], v59 offset0:192 offset1:224
	s_waitcnt lgkmcnt(1)
	v_mul_u32_u24_sdwa v37, v60, s15 dst_sel:DWORD dst_unused:UNUSED_PAD src0_sel:WORD_0 src1_sel:DWORD
	v_mul_u32_u24_sdwa v38, v60, s15 dst_sel:DWORD dst_unused:UNUSED_PAD src0_sel:WORD_1 src1_sel:DWORD
	v_mul_u32_u24_sdwa v39, v61, s15 dst_sel:DWORD dst_unused:UNUSED_PAD src0_sel:WORD_0 src1_sel:DWORD
	v_mul_u32_u24_sdwa v40, v61, s15 dst_sel:DWORD dst_unused:UNUSED_PAD src0_sel:WORD_1 src1_sel:DWORD
	s_waitcnt lgkmcnt(0)
	v_pk_fma_f16 v23, v18, v37, v23
	v_pk_fma_f16 v22, v18, v38, v22
	;; [unrolled: 1-line block ×4, first 2 shown]
	v_mul_u32_u24_sdwa v25, v62, s15 dst_sel:DWORD dst_unused:UNUSED_PAD src0_sel:WORD_0 src1_sel:DWORD
	v_mul_u32_u24_sdwa v37, v62, s15 dst_sel:DWORD dst_unused:UNUSED_PAD src0_sel:WORD_1 src1_sel:DWORD
	v_mul_u32_u24_sdwa v38, v63, s15 dst_sel:DWORD dst_unused:UNUSED_PAD src0_sel:WORD_0 src1_sel:DWORD
	v_pk_fma_f16 v40, v19, v25, v23
	v_pk_fma_f16 v37, v19, v37, v22
	;; [unrolled: 1-line block ×3, first 2 shown]
	ds_read_b128 v[22:25], v53 offset:448
	v_mul_u32_u24_sdwa v39, v63, s15 dst_sel:DWORD dst_unused:UNUSED_PAD src0_sel:WORD_1 src1_sel:DWORD
	v_add_u32_e32 v59, 0x1c00, v35
	v_pk_fma_f16 v39, v19, v39, v18
	ds_read2_b32 v[18:19], v59 offset1:32
	ds_read_b128 v[60:63], v53 offset:464
	s_waitcnt lgkmcnt(2)
	v_mul_u32_u24_sdwa v64, v22, s15 dst_sel:DWORD dst_unused:UNUSED_PAD src0_sel:WORD_0 src1_sel:DWORD
	v_mul_u32_u24_sdwa v22, v22, s15 dst_sel:DWORD dst_unused:UNUSED_PAD src0_sel:WORD_1 src1_sel:DWORD
	v_mul_u32_u24_sdwa v65, v23, s15 dst_sel:DWORD dst_unused:UNUSED_PAD src0_sel:WORD_0 src1_sel:DWORD
	v_mul_u32_u24_sdwa v23, v23, s15 dst_sel:DWORD dst_unused:UNUSED_PAD src0_sel:WORD_1 src1_sel:DWORD
	s_waitcnt lgkmcnt(1)
	v_pk_fma_f16 v40, v18, v64, v40
	v_pk_fma_f16 v22, v18, v22, v37
	;; [unrolled: 1-line block ×4, first 2 shown]
	v_mul_u32_u24_sdwa v23, v24, s15 dst_sel:DWORD dst_unused:UNUSED_PAD src0_sel:WORD_0 src1_sel:DWORD
	v_mul_u32_u24_sdwa v24, v24, s15 dst_sel:DWORD dst_unused:UNUSED_PAD src0_sel:WORD_1 src1_sel:DWORD
	v_mul_u32_u24_sdwa v38, v25, s15 dst_sel:DWORD dst_unused:UNUSED_PAD src0_sel:WORD_0 src1_sel:DWORD
	v_mul_u32_u24_sdwa v25, v25, s15 dst_sel:DWORD dst_unused:UNUSED_PAD src0_sel:WORD_1 src1_sel:DWORD
	v_pk_fma_f16 v23, v19, v23, v40
	v_pk_fma_f16 v22, v19, v24, v22
	;; [unrolled: 1-line block ×4, first 2 shown]
	ds_read2_b32 v[18:19], v59 offset0:64 offset1:96
	s_waitcnt lgkmcnt(1)
	v_mul_u32_u24_sdwa v37, v60, s15 dst_sel:DWORD dst_unused:UNUSED_PAD src0_sel:WORD_0 src1_sel:DWORD
	v_mul_u32_u24_sdwa v38, v60, s15 dst_sel:DWORD dst_unused:UNUSED_PAD src0_sel:WORD_1 src1_sel:DWORD
	v_mul_u32_u24_sdwa v39, v61, s15 dst_sel:DWORD dst_unused:UNUSED_PAD src0_sel:WORD_0 src1_sel:DWORD
	v_mul_u32_u24_sdwa v40, v61, s15 dst_sel:DWORD dst_unused:UNUSED_PAD src0_sel:WORD_1 src1_sel:DWORD
	s_waitcnt lgkmcnt(0)
	v_pk_fma_f16 v23, v18, v37, v23
	v_pk_fma_f16 v22, v18, v38, v22
	;; [unrolled: 1-line block ×4, first 2 shown]
	v_mul_u32_u24_sdwa v24, v62, s15 dst_sel:DWORD dst_unused:UNUSED_PAD src0_sel:WORD_0 src1_sel:DWORD
	v_mul_u32_u24_sdwa v25, v62, s15 dst_sel:DWORD dst_unused:UNUSED_PAD src0_sel:WORD_1 src1_sel:DWORD
	v_pk_fma_f16 v40, v19, v24, v23
	v_pk_fma_f16 v64, v19, v25, v22
	ds_read_b128 v[22:25], v53 offset:480
	v_mul_u32_u24_sdwa v38, v63, s15 dst_sel:DWORD dst_unused:UNUSED_PAD src0_sel:WORD_0 src1_sel:DWORD
	v_mul_u32_u24_sdwa v39, v63, s15 dst_sel:DWORD dst_unused:UNUSED_PAD src0_sel:WORD_1 src1_sel:DWORD
	v_pk_fma_f16 v37, v19, v38, v37
	v_pk_fma_f16 v38, v19, v39, v18
	ds_read2_b32 v[18:19], v59 offset0:128 offset1:160
	ds_read_b128 v[60:63], v53 offset:496
	s_waitcnt lgkmcnt(2)
	v_mul_u32_u24_sdwa v39, v22, s15 dst_sel:DWORD dst_unused:UNUSED_PAD src0_sel:WORD_0 src1_sel:DWORD
	v_mul_u32_u24_sdwa v22, v22, s15 dst_sel:DWORD dst_unused:UNUSED_PAD src0_sel:WORD_1 src1_sel:DWORD
	v_mul_u32_u24_sdwa v65, v23, s15 dst_sel:DWORD dst_unused:UNUSED_PAD src0_sel:WORD_0 src1_sel:DWORD
	v_mul_u32_u24_sdwa v23, v23, s15 dst_sel:DWORD dst_unused:UNUSED_PAD src0_sel:WORD_1 src1_sel:DWORD
	s_waitcnt lgkmcnt(1)
	v_pk_fma_f16 v39, v18, v39, v40
	v_pk_fma_f16 v22, v18, v22, v64
	;; [unrolled: 1-line block ×4, first 2 shown]
	v_mul_u32_u24_sdwa v23, v24, s15 dst_sel:DWORD dst_unused:UNUSED_PAD src0_sel:WORD_0 src1_sel:DWORD
	v_mul_u32_u24_sdwa v24, v24, s15 dst_sel:DWORD dst_unused:UNUSED_PAD src0_sel:WORD_1 src1_sel:DWORD
	v_mul_u32_u24_sdwa v38, v25, s15 dst_sel:DWORD dst_unused:UNUSED_PAD src0_sel:WORD_0 src1_sel:DWORD
	v_mul_u32_u24_sdwa v25, v25, s15 dst_sel:DWORD dst_unused:UNUSED_PAD src0_sel:WORD_1 src1_sel:DWORD
	v_pk_fma_f16 v23, v19, v23, v39
	v_pk_fma_f16 v22, v19, v24, v22
	;; [unrolled: 1-line block ×4, first 2 shown]
	ds_read2_b32 v[18:19], v59 offset0:192 offset1:224
	s_waitcnt lgkmcnt(0)
	s_barrier
	s_load_dword s31, s[6:7], 0x4
	v_mul_u32_u24_sdwa v37, v60, s15 dst_sel:DWORD dst_unused:UNUSED_PAD src0_sel:WORD_0 src1_sel:DWORD
	v_mul_u32_u24_sdwa v38, v60, s15 dst_sel:DWORD dst_unused:UNUSED_PAD src0_sel:WORD_1 src1_sel:DWORD
	v_mul_u32_u24_sdwa v39, v61, s15 dst_sel:DWORD dst_unused:UNUSED_PAD src0_sel:WORD_0 src1_sel:DWORD
	v_mul_u32_u24_sdwa v40, v61, s15 dst_sel:DWORD dst_unused:UNUSED_PAD src0_sel:WORD_1 src1_sel:DWORD
	s_waitcnt lgkmcnt(0)
	s_lshl_b32 s31, s31, 6
	v_pk_fma_f16 v23, v18, v37, v23
	v_pk_fma_f16 v22, v18, v38, v22
	;; [unrolled: 1-line block ×4, first 2 shown]
	v_mul_u32_u24_sdwa v25, v62, s15 dst_sel:DWORD dst_unused:UNUSED_PAD src0_sel:WORD_0 src1_sel:DWORD
	v_mul_u32_u24_sdwa v37, v62, s15 dst_sel:DWORD dst_unused:UNUSED_PAD src0_sel:WORD_1 src1_sel:DWORD
	v_mul_u32_u24_sdwa v38, v63, s15 dst_sel:DWORD dst_unused:UNUSED_PAD src0_sel:WORD_0 src1_sel:DWORD
	v_mul_u32_u24_sdwa v59, v63, s15 dst_sel:DWORD dst_unused:UNUSED_PAD src0_sel:WORD_1 src1_sel:DWORD
	s_add_i32 s28, s31, s28
	v_pk_fma_f16 v40, v19, v25, v23
	v_pk_fma_f16 v39, v19, v37, v22
	;; [unrolled: 1-line block ×3, first 2 shown]
	s_cmp_lt_i32 s28, s11
	v_pk_fma_f16 v37, v19, v59, v18
	s_cbranch_scc0 .LBB56_28
; %bb.26:                               ;   in Loop: Header=BB56_8 Depth=1
	v_mov_b32_e32 v18, v12
	v_mov_b32_e32 v19, v13
	;; [unrolled: 1-line block ×4, first 2 shown]
	s_branch .LBB56_8
.LBB56_27:
	v_mov_b32_e32 v12, 0xfeffffff
	v_mov_b32_e32 v13, v12
	v_mov_b32_e32 v14, v12
	v_mov_b32_e32 v15, v12
	v_mov_b32_e32 v40, 0
	v_mov_b32_e32 v10, 0
	v_mov_b32_e32 v9, 0
	v_mov_b32_e32 v8, 0
	v_mov_b32_e32 v39, 0
	v_mov_b32_e32 v38, 0
	v_mov_b32_e32 v37, 0
.LBB56_28:
	v_lshlrev_b32_e32 v45, 1, v20
	s_cmp_gt_i32 s38, s28
	s_cbranch_scc1 .LBB56_30
; %bb.29:
	v_mbcnt_hi_u32_b32 v48, -1, v44
	v_and_b32_e32 v0, 0x60, v48
	v_add_u32_e32 v49, 32, v0
	v_xor_b32_e32 v51, 16, v48
	v_xor_b32_e32 v53, 8, v48
	;; [unrolled: 1-line block ×5, first 2 shown]
	s_cbranch_execz .LBB56_31
	s_branch .LBB56_71
.LBB56_30:
                                        ; implicit-def: $vgpr48
                                        ; implicit-def: $vgpr49
                                        ; implicit-def: $vgpr51
                                        ; implicit-def: $vgpr53
                                        ; implicit-def: $vgpr54
                                        ; implicit-def: $vgpr52
                                        ; implicit-def: $vgpr50
.LBB56_31:
	s_mul_hi_i32 s5, s28, s8
	s_mul_i32 s4, s28, s8
	s_sub_i32 s31, s38, s28
	s_lshl_b64 s[4:5], s[4:5], 2
	v_add_u32_e32 v47, v46, v31
	s_mov_b64 s[6:7], src_private_base
	s_add_u32 s14, s9, s4
	v_mul_lo_u32 v4, s8, v47
	s_mov_b32 s4, 0
	s_addc_u32 s15, s10, s5
	v_and_b32_e32 v0, 28, v35
	v_ashrrev_i32_e32 v5, 31, v4
	s_mov_b32 s6, s4
	v_mov_b32_e32 v23, 0
	v_lshlrev_b32_e32 v22, 2, v0
	s_mov_b32 s5, s4
	v_mov_b32_e32 v50, s6
	v_lshl_add_u64 v[0:1], v[4:5], 2, s[14:15]
	v_mov_b32_e32 v49, s5
	v_mov_b32_e32 v48, s4
	v_lshl_add_u64 v[0:1], v[0:1], 0, v[22:23]
	v_mov_b32_e32 v6, s7
	v_cmp_gt_i32_e64 s[12:13], s31, v47
	v_mov_b32_e32 v7, 0
	scratch_store_dword off, v23, off
	scratch_store_dwordx3 off, v[48:50], off offset:4
	v_cndmask_b32_e64 v1, v6, v1, s[12:13]
	v_cndmask_b32_e64 v0, v7, v0, s[12:13]
	flat_load_dwordx4 v[0:3], v[0:1]
	v_lshl_add_u32 v4, s8, 5, v4
	v_ashrrev_i32_e32 v5, 31, v4
	s_movk_i32 s4, 0x90
	v_add_u32_e32 v46, 32, v47
	v_lshl_add_u64 v[4:5], v[4:5], 2, s[14:15]
	v_mad_u32_u24 v17, v47, s4, v22
	v_lshl_add_u64 v[4:5], v[4:5], 0, v[22:23]
	v_cmp_gt_i32_e64 s[4:5], s31, v46
	scratch_store_dword off, v23, off
	scratch_store_dwordx3 off, v[48:50], off offset:4
	v_cndmask_b32_e64 v5, v6, v5, s[4:5]
	v_cndmask_b32_e64 v4, v7, v4, s[4:5]
	v_mul_u32_u24_e32 v16, 0x90, v20
	v_mov_b32_e32 v6, v23
	v_mov_b32_e32 v7, v23
	s_cmp_lg_u64 s[36:37], 0
	s_cselect_b64 s[6:7], -1, 0
	v_add_u32_e32 v24, s28, v21
	v_cndmask_b32_e64 v21, 0, 1, s[6:7]
	v_cmp_gt_i32_e64 s[8:9], s31, v20
	v_cmp_ne_u32_e64 s[6:7], 1, v21
	s_waitcnt vmcnt(0) lgkmcnt(0)
	ds_write_b128 v17, v[0:3]
	flat_load_dwordx4 v[48:51], v[4:5]
	v_mov_b32_e32 v0, v23
	v_mov_b32_e32 v1, v23
	;; [unrolled: 1-line block ×6, first 2 shown]
	s_waitcnt vmcnt(0) lgkmcnt(0)
	ds_write_b128 v17, v[48:51] offset:4608
	s_waitcnt lgkmcnt(0)
	s_barrier
	ds_read_b128 v[48:51], v34 offset:13312
	ds_read_b128 v[52:55], v16
	ds_read_b128 v[56:59], v16 offset:4608
	ds_read_b128 v[60:63], v34 offset:13440
	;; [unrolled: 1-line block ×4, first 2 shown]
	s_waitcnt lgkmcnt(4)
	;;#ASMSTART
	v_dot2_f32_f16 v0, v52, v48, v0
	;;#ASMEND
	s_nop 0
	;;#ASMSTART
	v_dot2_f32_f16 v0, v53, v49, v0
	;;#ASMEND
	s_nop 0
	;;#ASMSTART
	v_dot2_f32_f16 v0, v54, v50, v0
	;;#ASMEND
	s_nop 0
	;;#ASMSTART
	v_dot2_f32_f16 v0, v55, v51, v0
	;;#ASMEND
	s_waitcnt lgkmcnt(2)
	;;#ASMSTART
	v_dot2_f32_f16 v1, v52, v60, v1
	;;#ASMEND
	s_nop 0
	;;#ASMSTART
	v_dot2_f32_f16 v1, v53, v61, v1
	;;#ASMEND
	s_nop 0
	;;#ASMSTART
	v_dot2_f32_f16 v1, v54, v62, v1
	;;#ASMEND
	s_nop 0
	;;#ASMSTART
	v_dot2_f32_f16 v1, v55, v63, v1
	;;#ASMEND
	;; [unrolled: 16-line block ×4, first 2 shown]
	;;#ASMSTART
	v_dot2_f32_f16 v4, v56, v48, v4
	;;#ASMEND
	s_nop 0
	;;#ASMSTART
	v_dot2_f32_f16 v4, v57, v49, v4
	;;#ASMEND
	s_nop 0
	;;#ASMSTART
	v_dot2_f32_f16 v4, v58, v50, v4
	;;#ASMEND
	s_nop 0
	;;#ASMSTART
	v_dot2_f32_f16 v4, v59, v51, v4
	;;#ASMEND
	;;#ASMSTART
	v_dot2_f32_f16 v5, v56, v60, v5
	;;#ASMEND
	s_nop 0
	;;#ASMSTART
	v_dot2_f32_f16 v5, v57, v61, v5
	;;#ASMEND
	s_nop 0
	;;#ASMSTART
	v_dot2_f32_f16 v5, v58, v62, v5
	;;#ASMEND
	s_nop 0
	;;#ASMSTART
	v_dot2_f32_f16 v5, v59, v63, v5
	;;#ASMEND
	;; [unrolled: 15-line block ×4, first 2 shown]
	ds_read_b128 v[48:51], v34 offset:13328
	ds_read_b128 v[52:55], v16 offset:16
	;; [unrolled: 1-line block ×6, first 2 shown]
	s_waitcnt lgkmcnt(4)
	;;#ASMSTART
	v_dot2_f32_f16 v0, v52, v48, v0
	;;#ASMEND
	s_nop 0
	;;#ASMSTART
	v_dot2_f32_f16 v0, v53, v49, v0
	;;#ASMEND
	s_nop 0
	;;#ASMSTART
	v_dot2_f32_f16 v0, v54, v50, v0
	;;#ASMEND
	s_nop 0
	;;#ASMSTART
	v_dot2_f32_f16 v0, v55, v51, v0
	;;#ASMEND
	s_waitcnt lgkmcnt(2)
	;;#ASMSTART
	v_dot2_f32_f16 v1, v52, v60, v1
	;;#ASMEND
	s_nop 0
	;;#ASMSTART
	v_dot2_f32_f16 v1, v53, v61, v1
	;;#ASMEND
	s_nop 0
	;;#ASMSTART
	v_dot2_f32_f16 v1, v54, v62, v1
	;;#ASMEND
	s_nop 0
	;;#ASMSTART
	v_dot2_f32_f16 v1, v55, v63, v1
	;;#ASMEND
	;; [unrolled: 16-line block ×4, first 2 shown]
	;;#ASMSTART
	v_dot2_f32_f16 v4, v56, v48, v4
	;;#ASMEND
	s_nop 0
	;;#ASMSTART
	v_dot2_f32_f16 v4, v57, v49, v4
	;;#ASMEND
	s_nop 0
	;;#ASMSTART
	v_dot2_f32_f16 v4, v58, v50, v4
	;;#ASMEND
	s_nop 0
	;;#ASMSTART
	v_dot2_f32_f16 v4, v59, v51, v4
	;;#ASMEND
	;;#ASMSTART
	v_dot2_f32_f16 v5, v56, v60, v5
	;;#ASMEND
	s_nop 0
	;;#ASMSTART
	v_dot2_f32_f16 v5, v57, v61, v5
	;;#ASMEND
	s_nop 0
	;;#ASMSTART
	v_dot2_f32_f16 v5, v58, v62, v5
	;;#ASMEND
	s_nop 0
	;;#ASMSTART
	v_dot2_f32_f16 v5, v59, v63, v5
	;;#ASMEND
	;; [unrolled: 15-line block ×4, first 2 shown]
	ds_read_b128 v[48:51], v34 offset:13344
	ds_read_b128 v[52:55], v16 offset:32
	;; [unrolled: 1-line block ×6, first 2 shown]
	s_waitcnt lgkmcnt(4)
	;;#ASMSTART
	v_dot2_f32_f16 v0, v52, v48, v0
	;;#ASMEND
	s_nop 0
	;;#ASMSTART
	v_dot2_f32_f16 v0, v53, v49, v0
	;;#ASMEND
	s_nop 0
	;;#ASMSTART
	v_dot2_f32_f16 v0, v54, v50, v0
	;;#ASMEND
	s_nop 0
	;;#ASMSTART
	v_dot2_f32_f16 v0, v55, v51, v0
	;;#ASMEND
	s_waitcnt lgkmcnt(2)
	;;#ASMSTART
	v_dot2_f32_f16 v1, v52, v60, v1
	;;#ASMEND
	s_nop 0
	;;#ASMSTART
	v_dot2_f32_f16 v1, v53, v61, v1
	;;#ASMEND
	s_nop 0
	;;#ASMSTART
	v_dot2_f32_f16 v1, v54, v62, v1
	;;#ASMEND
	s_nop 0
	;;#ASMSTART
	v_dot2_f32_f16 v1, v55, v63, v1
	;;#ASMEND
	;; [unrolled: 16-line block ×4, first 2 shown]
	;;#ASMSTART
	v_dot2_f32_f16 v4, v56, v48, v4
	;;#ASMEND
	s_nop 0
	;;#ASMSTART
	v_dot2_f32_f16 v4, v57, v49, v4
	;;#ASMEND
	s_nop 0
	;;#ASMSTART
	v_dot2_f32_f16 v4, v58, v50, v4
	;;#ASMEND
	s_nop 0
	;;#ASMSTART
	v_dot2_f32_f16 v4, v59, v51, v4
	;;#ASMEND
	;;#ASMSTART
	v_dot2_f32_f16 v5, v56, v60, v5
	;;#ASMEND
	s_nop 0
	;;#ASMSTART
	v_dot2_f32_f16 v5, v57, v61, v5
	;;#ASMEND
	s_nop 0
	;;#ASMSTART
	v_dot2_f32_f16 v5, v58, v62, v5
	;;#ASMEND
	s_nop 0
	;;#ASMSTART
	v_dot2_f32_f16 v5, v59, v63, v5
	;;#ASMEND
	;;#ASMSTART
	v_dot2_f32_f16 v6, v56, v64, v6
	;;#ASMEND
	s_nop 0
	;;#ASMSTART
	v_dot2_f32_f16 v6, v57, v65, v6
	;;#ASMEND
	s_nop 0
	;;#ASMSTART
	v_dot2_f32_f16 v6, v58, v66, v6
	;;#ASMEND
	s_nop 0
	;;#ASMSTART
	v_dot2_f32_f16 v6, v59, v67, v6
	;;#ASMEND
	;;#ASMSTART
	v_dot2_f32_f16 v7, v56, v68, v7
	;;#ASMEND
	s_nop 0
	;;#ASMSTART
	v_dot2_f32_f16 v7, v57, v69, v7
	;;#ASMEND
	s_nop 0
	;;#ASMSTART
	v_dot2_f32_f16 v7, v58, v70, v7
	;;#ASMEND
	s_nop 0
	;;#ASMSTART
	v_dot2_f32_f16 v7, v59, v71, v7
	;;#ASMEND
	ds_read_b128 v[48:51], v34 offset:13360
	ds_read_b128 v[52:55], v16 offset:48
	;; [unrolled: 1-line block ×6, first 2 shown]
	s_waitcnt lgkmcnt(4)
	;;#ASMSTART
	v_dot2_f32_f16 v0, v52, v48, v0
	;;#ASMEND
	s_nop 0
	;;#ASMSTART
	v_dot2_f32_f16 v0, v53, v49, v0
	;;#ASMEND
	s_nop 0
	;;#ASMSTART
	v_dot2_f32_f16 v0, v54, v50, v0
	;;#ASMEND
	s_nop 0
	;;#ASMSTART
	v_dot2_f32_f16 v0, v55, v51, v0
	;;#ASMEND
	s_waitcnt lgkmcnt(2)
	;;#ASMSTART
	v_dot2_f32_f16 v1, v52, v60, v1
	;;#ASMEND
	s_nop 0
	;;#ASMSTART
	v_dot2_f32_f16 v1, v53, v61, v1
	;;#ASMEND
	s_nop 0
	;;#ASMSTART
	v_dot2_f32_f16 v1, v54, v62, v1
	;;#ASMEND
	s_nop 0
	;;#ASMSTART
	v_dot2_f32_f16 v1, v55, v63, v1
	;;#ASMEND
	;; [unrolled: 16-line block ×4, first 2 shown]
	;;#ASMSTART
	v_dot2_f32_f16 v4, v56, v48, v4
	;;#ASMEND
	s_nop 0
	;;#ASMSTART
	v_dot2_f32_f16 v4, v57, v49, v4
	;;#ASMEND
	s_nop 0
	;;#ASMSTART
	v_dot2_f32_f16 v4, v58, v50, v4
	;;#ASMEND
	s_nop 0
	;;#ASMSTART
	v_dot2_f32_f16 v4, v59, v51, v4
	;;#ASMEND
	;;#ASMSTART
	v_dot2_f32_f16 v5, v56, v60, v5
	;;#ASMEND
	s_nop 0
	;;#ASMSTART
	v_dot2_f32_f16 v5, v57, v61, v5
	;;#ASMEND
	s_nop 0
	;;#ASMSTART
	v_dot2_f32_f16 v5, v58, v62, v5
	;;#ASMEND
	s_nop 0
	;;#ASMSTART
	v_dot2_f32_f16 v5, v59, v63, v5
	;;#ASMEND
	;; [unrolled: 15-line block ×4, first 2 shown]
	ds_read_b128 v[48:51], v34 offset:13376
	ds_read_b128 v[52:55], v16 offset:64
	;; [unrolled: 1-line block ×6, first 2 shown]
	s_waitcnt lgkmcnt(4)
	;;#ASMSTART
	v_dot2_f32_f16 v0, v52, v48, v0
	;;#ASMEND
	s_nop 0
	;;#ASMSTART
	v_dot2_f32_f16 v0, v53, v49, v0
	;;#ASMEND
	s_nop 0
	;;#ASMSTART
	v_dot2_f32_f16 v0, v54, v50, v0
	;;#ASMEND
	s_nop 0
	;;#ASMSTART
	v_dot2_f32_f16 v0, v55, v51, v0
	;;#ASMEND
	s_waitcnt lgkmcnt(2)
	;;#ASMSTART
	v_dot2_f32_f16 v1, v52, v60, v1
	;;#ASMEND
	s_nop 0
	;;#ASMSTART
	v_dot2_f32_f16 v1, v53, v61, v1
	;;#ASMEND
	s_nop 0
	;;#ASMSTART
	v_dot2_f32_f16 v1, v54, v62, v1
	;;#ASMEND
	s_nop 0
	;;#ASMSTART
	v_dot2_f32_f16 v1, v55, v63, v1
	;;#ASMEND
	;; [unrolled: 16-line block ×4, first 2 shown]
	;;#ASMSTART
	v_dot2_f32_f16 v4, v56, v48, v4
	;;#ASMEND
	s_nop 0
	;;#ASMSTART
	v_dot2_f32_f16 v4, v57, v49, v4
	;;#ASMEND
	s_nop 0
	;;#ASMSTART
	v_dot2_f32_f16 v4, v58, v50, v4
	;;#ASMEND
	s_nop 0
	;;#ASMSTART
	v_dot2_f32_f16 v4, v59, v51, v4
	;;#ASMEND
	;;#ASMSTART
	v_dot2_f32_f16 v5, v56, v60, v5
	;;#ASMEND
	s_nop 0
	;;#ASMSTART
	v_dot2_f32_f16 v5, v57, v61, v5
	;;#ASMEND
	s_nop 0
	;;#ASMSTART
	v_dot2_f32_f16 v5, v58, v62, v5
	;;#ASMEND
	s_nop 0
	;;#ASMSTART
	v_dot2_f32_f16 v5, v59, v63, v5
	;;#ASMEND
	;; [unrolled: 15-line block ×4, first 2 shown]
	ds_read_b128 v[48:51], v34 offset:13392
	ds_read_b128 v[52:55], v16 offset:80
	;; [unrolled: 1-line block ×6, first 2 shown]
	s_waitcnt lgkmcnt(4)
	;;#ASMSTART
	v_dot2_f32_f16 v0, v52, v48, v0
	;;#ASMEND
	s_nop 0
	;;#ASMSTART
	v_dot2_f32_f16 v0, v53, v49, v0
	;;#ASMEND
	s_nop 0
	;;#ASMSTART
	v_dot2_f32_f16 v0, v54, v50, v0
	;;#ASMEND
	s_nop 0
	;;#ASMSTART
	v_dot2_f32_f16 v0, v55, v51, v0
	;;#ASMEND
	s_waitcnt lgkmcnt(2)
	;;#ASMSTART
	v_dot2_f32_f16 v1, v52, v60, v1
	;;#ASMEND
	s_nop 0
	;;#ASMSTART
	v_dot2_f32_f16 v1, v53, v61, v1
	;;#ASMEND
	s_nop 0
	;;#ASMSTART
	v_dot2_f32_f16 v1, v54, v62, v1
	;;#ASMEND
	s_nop 0
	;;#ASMSTART
	v_dot2_f32_f16 v1, v55, v63, v1
	;;#ASMEND
	;; [unrolled: 16-line block ×4, first 2 shown]
	;;#ASMSTART
	v_dot2_f32_f16 v4, v56, v48, v4
	;;#ASMEND
	s_nop 0
	;;#ASMSTART
	v_dot2_f32_f16 v4, v57, v49, v4
	;;#ASMEND
	s_nop 0
	;;#ASMSTART
	v_dot2_f32_f16 v4, v58, v50, v4
	;;#ASMEND
	s_nop 0
	;;#ASMSTART
	v_dot2_f32_f16 v4, v59, v51, v4
	;;#ASMEND
	;;#ASMSTART
	v_dot2_f32_f16 v5, v56, v60, v5
	;;#ASMEND
	s_nop 0
	;;#ASMSTART
	v_dot2_f32_f16 v5, v57, v61, v5
	;;#ASMEND
	s_nop 0
	;;#ASMSTART
	v_dot2_f32_f16 v5, v58, v62, v5
	;;#ASMEND
	s_nop 0
	;;#ASMSTART
	v_dot2_f32_f16 v5, v59, v63, v5
	;;#ASMEND
	;; [unrolled: 15-line block ×4, first 2 shown]
	ds_read_b128 v[48:51], v34 offset:13408
	ds_read_b128 v[52:55], v16 offset:96
	;; [unrolled: 1-line block ×6, first 2 shown]
	s_waitcnt lgkmcnt(4)
	;;#ASMSTART
	v_dot2_f32_f16 v0, v52, v48, v0
	;;#ASMEND
	s_nop 0
	;;#ASMSTART
	v_dot2_f32_f16 v0, v53, v49, v0
	;;#ASMEND
	s_nop 0
	;;#ASMSTART
	v_dot2_f32_f16 v0, v54, v50, v0
	;;#ASMEND
	s_nop 0
	;;#ASMSTART
	v_dot2_f32_f16 v0, v55, v51, v0
	;;#ASMEND
	s_waitcnt lgkmcnt(2)
	;;#ASMSTART
	v_dot2_f32_f16 v1, v52, v60, v1
	;;#ASMEND
	s_nop 0
	;;#ASMSTART
	v_dot2_f32_f16 v1, v53, v61, v1
	;;#ASMEND
	s_nop 0
	;;#ASMSTART
	v_dot2_f32_f16 v1, v54, v62, v1
	;;#ASMEND
	s_nop 0
	;;#ASMSTART
	v_dot2_f32_f16 v1, v55, v63, v1
	;;#ASMEND
	;; [unrolled: 16-line block ×4, first 2 shown]
	;;#ASMSTART
	v_dot2_f32_f16 v4, v56, v48, v4
	;;#ASMEND
	s_nop 0
	;;#ASMSTART
	v_dot2_f32_f16 v4, v57, v49, v4
	;;#ASMEND
	s_nop 0
	;;#ASMSTART
	v_dot2_f32_f16 v4, v58, v50, v4
	;;#ASMEND
	s_nop 0
	;;#ASMSTART
	v_dot2_f32_f16 v4, v59, v51, v4
	;;#ASMEND
	;;#ASMSTART
	v_dot2_f32_f16 v5, v56, v60, v5
	;;#ASMEND
	s_nop 0
	;;#ASMSTART
	v_dot2_f32_f16 v5, v57, v61, v5
	;;#ASMEND
	s_nop 0
	;;#ASMSTART
	v_dot2_f32_f16 v5, v58, v62, v5
	;;#ASMEND
	s_nop 0
	;;#ASMSTART
	v_dot2_f32_f16 v5, v59, v63, v5
	;;#ASMEND
	;;#ASMSTART
	v_dot2_f32_f16 v6, v56, v64, v6
	;;#ASMEND
	s_nop 0
	;;#ASMSTART
	v_dot2_f32_f16 v6, v57, v65, v6
	;;#ASMEND
	s_nop 0
	;;#ASMSTART
	v_dot2_f32_f16 v6, v58, v66, v6
	;;#ASMEND
	s_nop 0
	;;#ASMSTART
	v_dot2_f32_f16 v6, v59, v67, v6
	;;#ASMEND
	;;#ASMSTART
	v_dot2_f32_f16 v7, v56, v68, v7
	;;#ASMEND
	s_nop 0
	;;#ASMSTART
	v_dot2_f32_f16 v7, v57, v69, v7
	;;#ASMEND
	s_nop 0
	;;#ASMSTART
	v_dot2_f32_f16 v7, v58, v70, v7
	;;#ASMEND
	s_nop 0
	;;#ASMSTART
	v_dot2_f32_f16 v7, v59, v71, v7
	;;#ASMEND
	ds_read_b128 v[48:51], v34 offset:13424
	ds_read_b128 v[52:55], v16 offset:112
	;; [unrolled: 1-line block ×6, first 2 shown]
	s_waitcnt lgkmcnt(4)
	;;#ASMSTART
	v_dot2_f32_f16 v0, v52, v48, v0
	;;#ASMEND
	s_nop 0
	;;#ASMSTART
	v_dot2_f32_f16 v0, v53, v49, v0
	;;#ASMEND
	s_nop 0
	;;#ASMSTART
	v_dot2_f32_f16 v0, v54, v50, v0
	;;#ASMEND
	s_nop 0
	;;#ASMSTART
	v_dot2_f32_f16 v0, v55, v51, v0
	;;#ASMEND
	s_waitcnt lgkmcnt(2)
	;;#ASMSTART
	v_dot2_f32_f16 v1, v52, v56, v1
	;;#ASMEND
	s_nop 0
	;;#ASMSTART
	v_dot2_f32_f16 v1, v53, v57, v1
	;;#ASMEND
	s_nop 0
	;;#ASMSTART
	v_dot2_f32_f16 v1, v54, v58, v1
	;;#ASMEND
	s_nop 0
	;;#ASMSTART
	v_dot2_f32_f16 v1, v55, v59, v1
	;;#ASMEND
	;; [unrolled: 16-line block ×4, first 2 shown]
	;;#ASMSTART
	v_dot2_f32_f16 v4, v16, v48, v4
	;;#ASMEND
	s_nop 0
	;;#ASMSTART
	v_dot2_f32_f16 v4, v17, v49, v4
	;;#ASMEND
	s_nop 0
	;;#ASMSTART
	v_dot2_f32_f16 v4, v18, v50, v4
	;;#ASMEND
	s_nop 0
	;;#ASMSTART
	v_dot2_f32_f16 v4, v19, v51, v4
	;;#ASMEND
	;;#ASMSTART
	v_dot2_f32_f16 v5, v16, v56, v5
	;;#ASMEND
	s_nop 0
	;;#ASMSTART
	v_dot2_f32_f16 v5, v17, v57, v5
	;;#ASMEND
	s_nop 0
	;;#ASMSTART
	v_dot2_f32_f16 v5, v18, v58, v5
	;;#ASMEND
	s_nop 0
	;;#ASMSTART
	v_dot2_f32_f16 v5, v19, v59, v5
	;;#ASMEND
	;; [unrolled: 15-line block ×4, first 2 shown]
	v_mov_b64_e32 v[18:19], v[14:15]
	v_mov_b64_e32 v[16:17], v[12:13]
	s_and_saveexec_b64 s[10:11], s[8:9]
	s_cbranch_execz .LBB56_35
; %bb.32:
	s_and_b64 vcc, exec, s[6:7]
	s_cbranch_vccnz .LBB56_34
; %bb.33:
	v_add_u32_e32 v16, v24, v20
	v_ashrrev_i32_e32 v17, 31, v16
	v_lshl_add_u64 v[16:17], v[16:17], 1, s[36:37]
	global_load_ushort v16, v[16:17], off
	s_waitcnt vmcnt(0)
	v_cvt_f32_f16_e32 v16, v16
	v_mul_f32_e32 v23, v36, v16
.LBB56_34:
	v_add_f32_e32 v0, v0, v23
	v_add_f32_e32 v16, 0x40051340, v0
	v_max_f32_e32 v17, v12, v12
	v_max_f32_e32 v21, v17, v16
	v_mov_b64_e32 v[18:19], v[14:15]
	v_mov_b64_e32 v[16:17], v[12:13]
	v_mov_b32_e32 v16, v21
.LBB56_35:
	s_or_b64 exec, exec, s[10:11]
	v_add_u32_e32 v23, 32, v20
	v_cmp_gt_i32_e64 s[10:11], s31, v23
	s_and_saveexec_b64 s[14:15], s[10:11]
	s_cbranch_execz .LBB56_40
; %bb.36:
	s_and_b64 vcc, exec, s[6:7]
	s_cbranch_vccnz .LBB56_38
; %bb.37:
	v_ashrrev_i32_e32 v25, 31, v24
	v_mov_b32_e32 v21, 0
	v_lshl_add_u64 v[24:25], v[24:25], 0, v[20:21]
	v_lshl_add_u64 v[24:25], v[24:25], 1, s[36:37]
	global_load_ushort v21, v[24:25], off offset:64
	s_waitcnt vmcnt(0)
	v_cvt_f32_f16_e32 v21, v21
	v_mul_f32_e32 v21, v36, v21
	s_branch .LBB56_39
.LBB56_38:
	v_mov_b32_e32 v21, 0
.LBB56_39:
	v_add_f32_e32 v4, v4, v21
	v_add_f32_e32 v21, 0x40051340, v4
	v_max_f32_e32 v16, v16, v16
	v_max_f32_e32 v16, v16, v21
.LBB56_40:
	s_or_b64 exec, exec, s[14:15]
	v_mbcnt_hi_u32_b32 v48, -1, v44
	v_and_b32_e32 v21, 0x60, v48
	v_add_u32_e32 v49, 32, v21
	v_xor_b32_e32 v51, 16, v48
	v_cmp_lt_i32_e32 vcc, v51, v49
	v_xor_b32_e32 v53, 8, v48
	v_xor_b32_e32 v54, 4, v48
	v_cndmask_b32_e32 v21, v48, v51, vcc
	v_lshlrev_b32_e32 v44, 2, v21
	ds_bpermute_b32 v21, v44, v16
	v_cmp_lt_i32_e32 vcc, v53, v49
	v_max_f32_e32 v16, v16, v16
	v_xor_b32_e32 v52, 2, v48
	v_cndmask_b32_e32 v24, v48, v53, vcc
	s_waitcnt lgkmcnt(0)
	v_max_f32_e32 v21, v21, v21
	v_lshlrev_b32_e32 v58, 2, v24
	v_max_f32_e32 v16, v16, v21
	ds_bpermute_b32 v21, v58, v16
	v_cmp_lt_i32_e32 vcc, v54, v49
	v_xor_b32_e32 v50, 1, v48
	s_waitcnt lgkmcnt(0)
	v_max_f32_e32 v21, v21, v21
	v_cndmask_b32_e32 v24, v48, v54, vcc
	v_lshlrev_b32_e32 v55, 2, v24
	v_max_f32_e32 v16, v16, v21
	ds_bpermute_b32 v21, v55, v16
	v_cmp_lt_i32_e32 vcc, v52, v49
	s_waitcnt lgkmcnt(0)
	v_max_f32_e32 v21, v21, v21
	v_cndmask_b32_e32 v24, v48, v52, vcc
	v_lshlrev_b32_e32 v56, 2, v24
	v_max_f32_e32 v16, v16, v21
	ds_bpermute_b32 v21, v56, v16
	v_cmp_lt_i32_e32 vcc, v50, v49
	s_waitcnt lgkmcnt(0)
	v_max_f32_e32 v21, v21, v21
	v_cndmask_b32_e32 v24, v48, v50, vcc
	v_lshlrev_b32_e32 v57, 2, v24
	v_max_f32_e32 v16, v16, v21
	ds_bpermute_b32 v21, v57, v16
	v_mul_hi_u32 v24, s24, v43
	s_waitcnt lgkmcnt(0)
	v_max_f32_e32 v21, v21, v21
	v_max_f32_e32 v16, v16, v21
	v_add_u32_e32 v21, v43, v24
	v_lshrrev_b32_e32 v21, s25, v21
	v_mul_lo_u32 v21, v21, s26
	v_sub_u32_e32 v21, v43, v21
	v_mul_lo_u32 v21, v21, s30
	v_add_u32_e32 v24, s28, v21
	s_and_saveexec_b64 s[14:15], s[8:9]
	s_cbranch_execz .LBB56_45
; %bb.41:
	s_and_b64 vcc, exec, s[6:7]
	s_cbranch_vccnz .LBB56_43
; %bb.42:
	v_add_u32_e32 v60, v24, v20
	v_ashrrev_i32_e32 v61, 31, v60
	v_lshl_add_u64 v[60:61], v[60:61], 1, s[36:37]
	global_load_ushort v21, v[60:61], off
	s_waitcnt vmcnt(0)
	v_cvt_f32_f16_e32 v21, v21
	v_mul_f32_e32 v21, v36, v21
	s_branch .LBB56_44
.LBB56_43:
	v_mov_b32_e32 v21, 0
.LBB56_44:
	v_add_f32_e32 v1, v1, v21
	v_add_f32_e32 v21, 0x40051340, v1
	v_max_f32_e32 v17, v17, v17
	v_max_f32_e32 v17, v17, v21
.LBB56_45:
	s_or_b64 exec, exec, s[14:15]
	s_and_saveexec_b64 s[14:15], s[10:11]
	s_cbranch_execz .LBB56_50
; %bb.46:
	s_and_b64 vcc, exec, s[6:7]
	s_cbranch_vccnz .LBB56_48
; %bb.47:
	v_ashrrev_i32_e32 v25, 31, v24
	v_mov_b32_e32 v21, 0
	v_lshl_add_u64 v[24:25], v[24:25], 0, v[20:21]
	v_lshl_add_u64 v[24:25], v[24:25], 1, s[36:37]
	global_load_ushort v21, v[24:25], off offset:64
	s_waitcnt vmcnt(0)
	v_cvt_f32_f16_e32 v21, v21
	v_mul_f32_e32 v21, v36, v21
	s_branch .LBB56_49
.LBB56_48:
	v_mov_b32_e32 v21, 0
.LBB56_49:
	v_add_f32_e32 v5, v5, v21
	v_add_f32_e32 v21, 0x40051340, v5
	v_max_f32_e32 v17, v17, v17
	v_max_f32_e32 v17, v17, v21
.LBB56_50:
	s_or_b64 exec, exec, s[14:15]
	ds_bpermute_b32 v21, v44, v17
	v_max_f32_e32 v17, v17, v17
	v_mul_hi_u32 v24, s24, v42
	v_add_u32_e32 v24, v42, v24
	v_lshrrev_b32_e32 v24, s25, v24
	s_waitcnt lgkmcnt(0)
	v_max_f32_e32 v21, v21, v21
	v_max_f32_e32 v17, v17, v21
	ds_bpermute_b32 v21, v58, v17
	v_mul_lo_u32 v24, v24, s26
	v_sub_u32_e32 v24, v42, v24
	v_mul_lo_u32 v24, v24, s30
	v_add_u32_e32 v24, s28, v24
	s_waitcnt lgkmcnt(0)
	v_max_f32_e32 v21, v21, v21
	v_max_f32_e32 v17, v17, v21
	ds_bpermute_b32 v21, v55, v17
	s_waitcnt lgkmcnt(0)
	v_max_f32_e32 v21, v21, v21
	v_max_f32_e32 v17, v17, v21
	ds_bpermute_b32 v21, v56, v17
	;; [unrolled: 4-line block ×3, first 2 shown]
	s_waitcnt lgkmcnt(0)
	v_max_f32_e32 v21, v21, v21
	v_max_f32_e32 v17, v17, v21
	s_and_saveexec_b64 s[14:15], s[8:9]
	s_cbranch_execz .LBB56_55
; %bb.51:
	s_and_b64 vcc, exec, s[6:7]
	s_cbranch_vccnz .LBB56_53
; %bb.52:
	v_add_u32_e32 v42, v24, v20
	v_ashrrev_i32_e32 v43, 31, v42
	v_lshl_add_u64 v[42:43], v[42:43], 1, s[36:37]
	global_load_ushort v21, v[42:43], off
	s_waitcnt vmcnt(0)
	v_cvt_f32_f16_e32 v21, v21
	v_mul_f32_e32 v21, v36, v21
	s_branch .LBB56_54
.LBB56_53:
	v_mov_b32_e32 v21, 0
.LBB56_54:
	v_add_f32_e32 v2, v2, v21
	v_add_f32_e32 v21, 0x40051340, v2
	v_max_f32_e32 v18, v18, v18
	v_max_f32_e32 v18, v18, v21
.LBB56_55:
	s_or_b64 exec, exec, s[14:15]
	s_and_saveexec_b64 s[14:15], s[10:11]
	s_cbranch_execz .LBB56_60
; %bb.56:
	s_and_b64 vcc, exec, s[6:7]
	s_cbranch_vccnz .LBB56_58
; %bb.57:
	v_ashrrev_i32_e32 v25, 31, v24
	v_mov_b32_e32 v21, 0
	v_lshl_add_u64 v[24:25], v[24:25], 0, v[20:21]
	v_lshl_add_u64 v[24:25], v[24:25], 1, s[36:37]
	global_load_ushort v21, v[24:25], off offset:64
	s_waitcnt vmcnt(0)
	v_cvt_f32_f16_e32 v21, v21
	v_mul_f32_e32 v21, v36, v21
	s_branch .LBB56_59
.LBB56_58:
	v_mov_b32_e32 v21, 0
.LBB56_59:
	v_add_f32_e32 v6, v6, v21
	v_add_f32_e32 v21, 0x40051340, v6
	v_max_f32_e32 v18, v18, v18
	v_max_f32_e32 v18, v18, v21
.LBB56_60:
	s_or_b64 exec, exec, s[14:15]
	ds_bpermute_b32 v21, v44, v18
	v_max_f32_e32 v18, v18, v18
	v_mul_hi_u32 v24, s24, v41
	v_add_u32_e32 v24, v41, v24
	v_lshrrev_b32_e32 v24, s25, v24
	s_waitcnt lgkmcnt(0)
	v_max_f32_e32 v21, v21, v21
	v_max_f32_e32 v18, v18, v21
	ds_bpermute_b32 v21, v58, v18
	v_mul_lo_u32 v24, v24, s26
	v_sub_u32_e32 v24, v41, v24
	v_mul_lo_u32 v24, v24, s30
	v_add_u32_e32 v24, s28, v24
	s_waitcnt lgkmcnt(0)
	v_max_f32_e32 v21, v21, v21
	v_max_f32_e32 v18, v18, v21
	ds_bpermute_b32 v21, v55, v18
	s_waitcnt lgkmcnt(0)
	v_max_f32_e32 v21, v21, v21
	v_max_f32_e32 v18, v18, v21
	ds_bpermute_b32 v21, v56, v18
	;; [unrolled: 4-line block ×3, first 2 shown]
	s_waitcnt lgkmcnt(0)
	v_max_f32_e32 v21, v21, v21
	v_max_f32_e32 v18, v18, v21
	s_and_saveexec_b64 s[14:15], s[8:9]
	s_cbranch_execz .LBB56_65
; %bb.61:
	s_and_b64 vcc, exec, s[6:7]
	s_cbranch_vccnz .LBB56_63
; %bb.62:
	v_add_u32_e32 v42, v24, v20
	v_ashrrev_i32_e32 v43, 31, v42
	v_lshl_add_u64 v[42:43], v[42:43], 1, s[36:37]
	global_load_ushort v21, v[42:43], off
	s_waitcnt vmcnt(0)
	v_cvt_f32_f16_e32 v21, v21
	v_mul_f32_e32 v21, v36, v21
	s_branch .LBB56_64
.LBB56_63:
	v_mov_b32_e32 v21, 0
.LBB56_64:
	v_add_f32_e32 v3, v3, v21
	v_add_f32_e32 v21, 0x40051340, v3
	v_max_f32_e32 v19, v19, v19
	v_max_f32_e32 v19, v19, v21
.LBB56_65:
	s_or_b64 exec, exec, s[14:15]
	s_and_saveexec_b64 s[8:9], s[10:11]
	s_cbranch_execz .LBB56_70
; %bb.66:
	s_and_b64 vcc, exec, s[6:7]
	s_cbranch_vccnz .LBB56_68
; %bb.67:
	v_ashrrev_i32_e32 v25, 31, v24
	v_mov_b32_e32 v21, 0
	v_lshl_add_u64 v[24:25], v[24:25], 0, v[20:21]
	v_lshl_add_u64 v[24:25], v[24:25], 1, s[36:37]
	global_load_ushort v21, v[24:25], off offset:64
	s_waitcnt vmcnt(0)
	v_cvt_f32_f16_e32 v21, v21
	v_mul_f32_e32 v21, v36, v21
	s_branch .LBB56_69
.LBB56_68:
	v_mov_b32_e32 v21, 0
.LBB56_69:
	v_add_f32_e32 v7, v7, v21
	v_add_f32_e32 v21, 0x40051340, v7
	v_max_f32_e32 v19, v19, v19
	v_max_f32_e32 v19, v19, v21
.LBB56_70:
	s_or_b64 exec, exec, s[8:9]
	ds_bpermute_b32 v21, v44, v19
	v_max_f32_e32 v19, v19, v19
	v_sub_f32_e32 v0, v0, v16
	s_mov_b32 s14, 0x3fb8aa3b
	v_mul_f32_e32 v24, 0x3fb8aa3b, v0
	s_waitcnt lgkmcnt(0)
	v_max_f32_e32 v21, v21, v21
	v_max_f32_e32 v19, v19, v21
	ds_bpermute_b32 v21, v58, v19
	v_fma_f32 v25, v0, s14, -v24
	v_rndne_f32_e32 v36, v24
	v_fmac_f32_e32 v25, 0x32a5705f, v0
	v_sub_f32_e32 v24, v24, v36
	s_waitcnt lgkmcnt(0)
	v_max_f32_e32 v21, v21, v21
	v_max_f32_e32 v19, v19, v21
	ds_bpermute_b32 v21, v55, v19
	v_add_f32_e32 v24, v24, v25
	v_cvt_i32_f32_e32 v36, v36
	v_exp_f32_e32 v24, v24
	v_sub_f32_e32 v4, v4, v16
	s_waitcnt lgkmcnt(0)
	v_max_f32_e32 v21, v21, v21
	v_max_f32_e32 v19, v19, v21
	ds_bpermute_b32 v21, v56, v19
	v_mul_f32_e32 v25, 0x3fb8aa3b, v4
	v_ldexp_f32 v24, v24, v36
	v_fma_f32 v36, v4, s14, -v25
	v_rndne_f32_e32 v41, v25
	s_waitcnt lgkmcnt(0)
	v_max_f32_e32 v21, v21, v21
	v_max_f32_e32 v19, v19, v21
	ds_bpermute_b32 v21, v57, v19
	v_fmac_f32_e32 v36, 0x32a5705f, v4
	v_sub_f32_e32 v25, v25, v41
	s_mov_b64 s[10:11], src_private_base
	v_add_f32_e32 v25, v25, v36
	s_mov_b32 s10, 0xc2ce8ed0
	v_exp_f32_e32 v25, v25
	v_cvt_i32_f32_e32 v36, v41
	s_mov_b32 s15, 0x42b17218
	v_cmp_ngt_f32_e32 vcc, s10, v0
	s_waitcnt lgkmcnt(0)
	v_max_f32_e32 v21, v21, v21
	v_max_f32_e32 v19, v19, v21
	v_cndmask_b32_e32 v24, 0, v24, vcc
	v_mov_b32_e32 v21, 0x7f800000
	v_cmp_nlt_f32_e32 vcc, s15, v0
	v_sub_f32_e32 v1, v1, v17
	v_cmp_ngt_f32_e64 s[6:7], s10, v4
	v_cndmask_b32_e32 v0, v21, v24, vcc
	v_cmp_gt_u32_e32 vcc, s31, v20
	v_cmp_ngt_f32_e64 s[8:9], s10, v1
	s_mov_b32 s36, 0
	v_cndmask_b32_e32 v24, 0, v0, vcc
	v_ldexp_f32 v0, v25, v36
	v_mul_f32_e32 v25, 0x3fb8aa3b, v1
	v_fma_f32 v36, v1, s14, -v25
	v_rndne_f32_e32 v41, v25
	v_fmac_f32_e32 v36, 0x32a5705f, v1
	v_sub_f32_e32 v25, v25, v41
	v_add_f32_e32 v25, v25, v36
	v_exp_f32_e32 v25, v25
	v_cvt_i32_f32_e32 v36, v41
	v_cndmask_b32_e64 v0, 0, v0, s[6:7]
	v_cmp_nlt_f32_e64 s[6:7], s15, v4
	v_sub_f32_e32 v4, v5, v17
	v_mul_f32_e32 v5, 0x3fb8aa3b, v4
	v_cndmask_b32_e64 v0, v21, v0, s[6:7]
	v_cmp_gt_u32_e64 s[6:7], s31, v23
	s_barrier
	s_nop 0
	v_cndmask_b32_e64 v41, 0, v0, s[6:7]
	v_ldexp_f32 v0, v25, v36
	v_fma_f32 v25, v4, s14, -v5
	v_rndne_f32_e32 v36, v5
	v_fmac_f32_e32 v25, 0x32a5705f, v4
	v_sub_f32_e32 v5, v5, v36
	v_add_f32_e32 v5, v5, v25
	v_exp_f32_e32 v5, v5
	v_cvt_i32_f32_e32 v25, v36
	v_cndmask_b32_e64 v0, 0, v0, s[8:9]
	v_cmp_nlt_f32_e64 s[8:9], s15, v1
	v_sub_f32_e32 v1, v2, v18
	v_mul_f32_e32 v2, 0x3fb8aa3b, v1
	v_cndmask_b32_e64 v0, v21, v0, s[8:9]
	v_cndmask_b32_e32 v36, 0, v0, vcc
	v_ldexp_f32 v0, v5, v25
	v_fma_f32 v5, v1, s14, -v2
	v_rndne_f32_e32 v25, v2
	v_fmac_f32_e32 v5, 0x32a5705f, v1
	v_sub_f32_e32 v2, v2, v25
	v_add_f32_e32 v2, v2, v5
	v_exp_f32_e32 v2, v2
	v_cvt_i32_f32_e32 v5, v25
	v_cmp_ngt_f32_e64 s[8:9], s10, v4
	s_mov_b32 s38, s36
	s_nop 0
	v_cndmask_b32_e64 v0, 0, v0, s[8:9]
	v_cmp_nlt_f32_e64 s[8:9], s15, v4
	s_mov_b32 s37, s36
	v_mov_b32_e32 v58, s38
	v_cndmask_b32_e64 v0, v21, v0, s[8:9]
	v_cndmask_b32_e64 v25, 0, v0, s[6:7]
	v_ldexp_f32 v0, v2, v5
	v_sub_f32_e32 v2, v6, v18
	v_mul_f32_e32 v4, 0x3fb8aa3b, v2
	v_fma_f32 v5, v2, s14, -v4
	v_rndne_f32_e32 v6, v4
	v_fmac_f32_e32 v5, 0x32a5705f, v2
	v_sub_f32_e32 v4, v4, v6
	v_add_f32_e32 v4, v4, v5
	v_exp_f32_e32 v4, v4
	v_cvt_i32_f32_e32 v5, v6
	v_cmp_ngt_f32_e64 s[8:9], s10, v1
	v_mov_b32_e32 v57, s37
	v_mov_b32_e32 v56, s36
	v_cndmask_b32_e64 v0, 0, v0, s[8:9]
	v_cmp_nlt_f32_e64 s[8:9], s15, v1
	v_sub_f32_e32 v1, v3, v19
	v_mul_f32_e32 v3, 0x3fb8aa3b, v1
	v_cndmask_b32_e64 v0, v21, v0, s[8:9]
	v_cndmask_b32_e32 v42, 0, v0, vcc
	v_ldexp_f32 v0, v4, v5
	v_fma_f32 v4, v1, s14, -v3
	v_rndne_f32_e32 v5, v3
	v_fmac_f32_e32 v4, 0x32a5705f, v1
	v_sub_f32_e32 v3, v3, v5
	v_add_f32_e32 v3, v3, v4
	v_exp_f32_e32 v3, v3
	v_cvt_i32_f32_e32 v4, v5
	v_cmp_ngt_f32_e64 s[8:9], s10, v2
	v_mov_b32_e32 v6, s11
	scratch_store_dwordx3 off, v[56:58], off offset:4
	v_cndmask_b32_e64 v0, 0, v0, s[8:9]
	v_cmp_nlt_f32_e64 s[8:9], s15, v2
	v_sub_f32_e32 v2, v7, v19
	v_mov_b32_e32 v7, 0
	v_cndmask_b32_e64 v0, v21, v0, s[8:9]
	v_cndmask_b32_e64 v43, 0, v0, s[6:7]
	v_ldexp_f32 v0, v3, v4
	v_mul_f32_e32 v3, 0x3fb8aa3b, v2
	v_fma_f32 v4, v2, s14, -v3
	v_rndne_f32_e32 v5, v3
	v_fmac_f32_e32 v4, 0x32a5705f, v2
	v_sub_f32_e32 v3, v3, v5
	v_add_f32_e32 v3, v3, v4
	v_exp_f32_e32 v3, v3
	v_cvt_i32_f32_e32 v4, v5
	v_cmp_ngt_f32_e64 s[8:9], s10, v1
	s_nop 1
	v_cndmask_b32_e64 v0, 0, v0, s[8:9]
	v_cmp_nlt_f32_e64 s[8:9], s15, v1
	s_nop 1
	v_cndmask_b32_e64 v0, v21, v0, s[8:9]
	v_cndmask_b32_e32 v44, 0, v0, vcc
	v_ldexp_f32 v0, v3, v4
	v_cmp_ngt_f32_e32 vcc, s10, v2
	v_cvt_pk_f16_f32 v1, v42, v44
	v_mul_lo_u32 v4, s2, v47
	v_cndmask_b32_e32 v0, 0, v0, vcc
	v_cmp_nlt_f32_e32 vcc, s15, v2
	v_add_u32_e32 v2, 0x2400, v34
	v_lshl_add_u32 v3, v20, 3, v2
	v_cndmask_b32_e32 v0, v21, v0, vcc
	v_cndmask_b32_e64 v55, 0, v0, s[6:7]
	s_mul_hi_i32 s7, s28, s2
	s_mul_i32 s6, s28, s2
	s_lshl_b64 s[6:7], s[6:7], 2
	v_cvt_pk_f16_f32 v0, v24, v36
	s_add_u32 s6, s18, s6
	ds_write_b64 v3, v[0:1]
	v_lshl_add_u32 v2, v23, 3, v2
	v_cvt_pk_f16_f32 v1, v43, v55
	v_cvt_pk_f16_f32 v0, v41, v25
	s_addc_u32 s7, s19, s7
	v_ashrrev_i32_e32 v5, 31, v4
	ds_write_b64 v2, v[0:1]
	v_lshl_add_u64 v[0:1], v[4:5], 2, s[6:7]
	v_mov_b32_e32 v23, 0
	v_lshl_add_u64 v[0:1], v[0:1], 0, v[22:23]
	scratch_store_dword off, v23, off
	v_cndmask_b32_e64 v1, v6, v1, s[12:13]
	v_cndmask_b32_e64 v0, v7, v0, s[12:13]
	flat_load_dwordx4 v[0:3], v[0:1]
	v_lshl_add_u32 v4, s2, 5, v4
	v_ashrrev_i32_e32 v5, 31, v4
	v_lshl_add_u64 v[4:5], v[4:5], 2, s[6:7]
	v_lshl_or_b32 v47, v47, 7, v22
	v_lshl_add_u64 v[4:5], v[4:5], 0, v[22:23]
	s_mov_b32 s2, 0x10001
	s_waitcnt vmcnt(0) lgkmcnt(0)
	ds_write_b128 v47, v[0:3]
	scratch_store_dword off, v23, off
	scratch_store_dwordx3 off, v[56:58], off offset:4
	v_cndmask_b32_e64 v1, v6, v5, s[4:5]
	v_cndmask_b32_e64 v0, v7, v4, s[4:5]
	flat_load_dwordx4 v[4:7], v[0:1]
	v_sub_f32_e32 v1, v12, v16
	v_mul_f32_e32 v0, 0x3fb8aa3b, v1
	v_fma_f32 v2, v1, s14, -v0
	v_rndne_f32_e32 v3, v0
	v_fmac_f32_e32 v2, 0x32a5705f, v1
	v_sub_f32_e32 v0, v0, v3
	v_add_f32_e32 v0, v0, v2
	v_exp_f32_e32 v2, v0
	v_cvt_i32_f32_e32 v3, v3
	v_cmp_ngt_f32_e32 vcc, s10, v1
	v_add_f32_e32 v0, v24, v41
	v_ldexp_f32 v2, v2, v3
	v_cndmask_b32_e32 v2, 0, v2, vcc
	v_cmp_nlt_f32_e32 vcc, s15, v1
	s_nop 1
	v_cndmask_b32_e32 v1, v21, v2, vcc
	v_sub_f32_e32 v2, v13, v17
	v_mul_f32_e32 v3, 0x3fb8aa3b, v2
	v_fmac_f32_e32 v0, v8, v1
	v_fma_f32 v8, v2, s14, -v3
	v_rndne_f32_e32 v12, v3
	v_fmac_f32_e32 v8, 0x32a5705f, v2
	v_sub_f32_e32 v3, v3, v12
	v_add_f32_e32 v3, v3, v8
	v_exp_f32_e32 v3, v3
	v_cvt_i32_f32_e32 v8, v12
	v_cmp_ngt_f32_e32 vcc, s10, v2
	v_cvt_f16_f32_e32 v1, v1
	v_ldexp_f32 v3, v3, v8
	v_sub_f32_e32 v8, v14, v18
	v_mul_f32_e32 v12, 0x3fb8aa3b, v8
	v_fma_f32 v13, v8, s14, -v12
	v_rndne_f32_e32 v14, v12
	v_cndmask_b32_e32 v3, 0, v3, vcc
	v_cmp_nlt_f32_e32 vcc, s15, v2
	v_fmac_f32_e32 v13, 0x32a5705f, v8
	v_sub_f32_e32 v12, v12, v14
	v_cndmask_b32_e32 v2, v21, v3, vcc
	v_add_f32_e32 v12, v12, v13
	v_cvt_f16_f32_e32 v3, v2
	v_exp_f32_e32 v12, v12
	v_cvt_i32_f32_e32 v13, v14
	v_mul_u32_u24_e32 v41, 0x10001, v1
	v_add_f32_e32 v1, v36, v25
	v_fmac_f32_e32 v1, v9, v2
	v_sub_f32_e32 v9, v15, v19
	v_mul_u32_u24_e32 v47, 0x10001, v3
	v_ldexp_f32 v3, v12, v13
	v_mul_f32_e32 v12, 0x3fb8aa3b, v9
	v_fma_f32 v13, v9, s14, -v12
	v_rndne_f32_e32 v14, v12
	v_fmac_f32_e32 v13, 0x32a5705f, v9
	v_sub_f32_e32 v12, v12, v14
	v_add_f32_e32 v12, v12, v13
	v_exp_f32_e32 v12, v12
	v_cvt_i32_f32_e32 v13, v14
	v_cmp_ngt_f32_e32 vcc, s10, v8
	v_add_f32_e32 v2, v42, v43
	s_nop 0
	v_cndmask_b32_e32 v3, 0, v3, vcc
	v_cmp_nlt_f32_e32 vcc, s15, v8
	v_ldexp_f32 v8, v12, v13
	s_nop 0
	v_cndmask_b32_e32 v3, v21, v3, vcc
	v_cmp_ngt_f32_e32 vcc, s10, v9
	v_fmac_f32_e32 v2, v10, v3
	v_cvt_f16_f32_e32 v3, v3
	v_cndmask_b32_e32 v8, 0, v8, vcc
	v_cmp_nlt_f32_e32 vcc, s15, v9
	s_nop 1
	v_cndmask_b32_e32 v8, v21, v8, vcc
	v_cvt_f16_f32_e32 v9, v8
	v_mul_u32_u24_e32 v21, 0x10001, v3
	v_add_f32_e32 v3, v44, v55
	v_fmac_f32_e32 v3, v11, v8
	v_mul_u32_u24_e32 v8, 0x10001, v9
	v_pk_mul_f16 v42, v37, v8
	v_lshl_or_b32 v8, v46, 7, v22
	s_waitcnt vmcnt(0) lgkmcnt(0)
	ds_write_b128 v8, v[4:7]
	s_waitcnt lgkmcnt(0)
	s_barrier
	ds_read_b128 v[4:7], v34 offset:9216
	ds_read2_b32 v[36:37], v35 offset1:32
	ds_read_b128 v[8:11], v34 offset:9232
	ds_read_b128 v[12:15], v34 offset:9248
	;; [unrolled: 1-line block ×3, first 2 shown]
	s_waitcnt lgkmcnt(4)
	v_mul_u32_u24_sdwa v43, v4, s2 dst_sel:DWORD dst_unused:UNUSED_PAD src0_sel:WORD_0 src1_sel:DWORD
	v_mul_u32_u24_sdwa v4, v4, s2 dst_sel:DWORD dst_unused:UNUSED_PAD src0_sel:WORD_1 src1_sel:DWORD
	v_mul_u32_u24_sdwa v44, v5, s2 dst_sel:DWORD dst_unused:UNUSED_PAD src0_sel:WORD_0 src1_sel:DWORD
	s_waitcnt lgkmcnt(3)
	v_pk_mul_f16 v4, v36, v4
	v_mul_u32_u24_sdwa v5, v5, s2 dst_sel:DWORD dst_unused:UNUSED_PAD src0_sel:WORD_1 src1_sel:DWORD
	v_pk_fma_f16 v4, v39, v47, v4
	v_pk_mul_f16 v39, v36, v44
	v_pk_mul_f16 v43, v36, v43
	v_pk_fma_f16 v21, v38, v21, v39
	v_pk_fma_f16 v5, v36, v5, v42
	v_mul_u32_u24_sdwa v36, v6, s2 dst_sel:DWORD dst_unused:UNUSED_PAD src0_sel:WORD_0 src1_sel:DWORD
	v_mul_u32_u24_sdwa v6, v6, s2 dst_sel:DWORD dst_unused:UNUSED_PAD src0_sel:WORD_1 src1_sel:DWORD
	v_mul_u32_u24_sdwa v38, v7, s2 dst_sel:DWORD dst_unused:UNUSED_PAD src0_sel:WORD_0 src1_sel:DWORD
	v_mul_u32_u24_sdwa v7, v7, s2 dst_sel:DWORD dst_unused:UNUSED_PAD src0_sel:WORD_1 src1_sel:DWORD
	v_pk_fma_f16 v6, v37, v6, v4
	v_pk_fma_f16 v7, v37, v7, v5
	ds_read2_b32 v[4:5], v35 offset0:64 offset1:96
	v_pk_fma_f16 v40, v40, v41, v43
	v_pk_fma_f16 v21, v37, v38, v21
	v_pk_fma_f16 v36, v37, v36, v40
	s_waitcnt lgkmcnt(3)
	v_mul_u32_u24_sdwa v37, v8, s2 dst_sel:DWORD dst_unused:UNUSED_PAD src0_sel:WORD_0 src1_sel:DWORD
	v_mul_u32_u24_sdwa v8, v8, s2 dst_sel:DWORD dst_unused:UNUSED_PAD src0_sel:WORD_1 src1_sel:DWORD
	v_mul_u32_u24_sdwa v38, v9, s2 dst_sel:DWORD dst_unused:UNUSED_PAD src0_sel:WORD_0 src1_sel:DWORD
	v_mul_u32_u24_sdwa v9, v9, s2 dst_sel:DWORD dst_unused:UNUSED_PAD src0_sel:WORD_1 src1_sel:DWORD
	s_waitcnt lgkmcnt(0)
	v_pk_fma_f16 v36, v4, v37, v36
	v_pk_fma_f16 v6, v4, v8, v6
	;; [unrolled: 1-line block ×4, first 2 shown]
	v_mul_u32_u24_sdwa v7, v10, s2 dst_sel:DWORD dst_unused:UNUSED_PAD src0_sel:WORD_0 src1_sel:DWORD
	v_mul_u32_u24_sdwa v9, v10, s2 dst_sel:DWORD dst_unused:UNUSED_PAD src0_sel:WORD_1 src1_sel:DWORD
	v_mul_u32_u24_sdwa v10, v11, s2 dst_sel:DWORD dst_unused:UNUSED_PAD src0_sel:WORD_0 src1_sel:DWORD
	v_mul_u32_u24_sdwa v11, v11, s2 dst_sel:DWORD dst_unused:UNUSED_PAD src0_sel:WORD_1 src1_sel:DWORD
	v_pk_fma_f16 v7, v5, v7, v36
	v_pk_fma_f16 v6, v5, v9, v6
	;; [unrolled: 1-line block ×4, first 2 shown]
	ds_read2_b32 v[4:5], v35 offset0:128 offset1:160
	v_mul_u32_u24_sdwa v10, v12, s2 dst_sel:DWORD dst_unused:UNUSED_PAD src0_sel:WORD_0 src1_sel:DWORD
	v_mul_u32_u24_sdwa v11, v12, s2 dst_sel:DWORD dst_unused:UNUSED_PAD src0_sel:WORD_1 src1_sel:DWORD
	v_mul_u32_u24_sdwa v12, v13, s2 dst_sel:DWORD dst_unused:UNUSED_PAD src0_sel:WORD_0 src1_sel:DWORD
	v_mul_u32_u24_sdwa v13, v13, s2 dst_sel:DWORD dst_unused:UNUSED_PAD src0_sel:WORD_1 src1_sel:DWORD
	s_waitcnt lgkmcnt(0)
	v_pk_fma_f16 v7, v4, v10, v7
	v_pk_fma_f16 v6, v4, v11, v6
	;; [unrolled: 1-line block ×4, first 2 shown]
	v_mul_u32_u24_sdwa v9, v14, s2 dst_sel:DWORD dst_unused:UNUSED_PAD src0_sel:WORD_0 src1_sel:DWORD
	v_mul_u32_u24_sdwa v10, v14, s2 dst_sel:DWORD dst_unused:UNUSED_PAD src0_sel:WORD_1 src1_sel:DWORD
	v_mul_u32_u24_sdwa v11, v15, s2 dst_sel:DWORD dst_unused:UNUSED_PAD src0_sel:WORD_0 src1_sel:DWORD
	v_pk_fma_f16 v7, v5, v9, v7
	v_pk_fma_f16 v6, v5, v10, v6
	;; [unrolled: 1-line block ×3, first 2 shown]
	ds_read2_b32 v[8:9], v35 offset0:192 offset1:224
	v_mul_u32_u24_sdwa v12, v15, s2 dst_sel:DWORD dst_unused:UNUSED_PAD src0_sel:WORD_1 src1_sel:DWORD
	v_pk_fma_f16 v4, v5, v12, v4
	v_mul_u32_u24_sdwa v5, v22, s2 dst_sel:DWORD dst_unused:UNUSED_PAD src0_sel:WORD_0 src1_sel:DWORD
	v_mul_u32_u24_sdwa v11, v22, s2 dst_sel:DWORD dst_unused:UNUSED_PAD src0_sel:WORD_1 src1_sel:DWORD
	v_mul_u32_u24_sdwa v12, v23, s2 dst_sel:DWORD dst_unused:UNUSED_PAD src0_sel:WORD_0 src1_sel:DWORD
	v_mul_u32_u24_sdwa v13, v23, s2 dst_sel:DWORD dst_unused:UNUSED_PAD src0_sel:WORD_1 src1_sel:DWORD
	s_waitcnt lgkmcnt(0)
	v_pk_fma_f16 v5, v8, v5, v7
	v_pk_fma_f16 v6, v8, v11, v6
	v_pk_fma_f16 v7, v8, v12, v10
	v_pk_fma_f16 v8, v8, v13, v4
	v_mul_u32_u24_sdwa v4, v24, s2 dst_sel:DWORD dst_unused:UNUSED_PAD src0_sel:WORD_0 src1_sel:DWORD
	v_mul_u32_u24_sdwa v10, v24, s2 dst_sel:DWORD dst_unused:UNUSED_PAD src0_sel:WORD_1 src1_sel:DWORD
	v_mul_u32_u24_sdwa v11, v25, s2 dst_sel:DWORD dst_unused:UNUSED_PAD src0_sel:WORD_0 src1_sel:DWORD
	v_pk_fma_f16 v14, v9, v4, v5
	v_pk_fma_f16 v15, v9, v10, v6
	v_pk_fma_f16 v21, v9, v11, v7
	ds_read_b128 v[4:7], v34 offset:9280
	v_mul_u32_u24_sdwa v12, v25, s2 dst_sel:DWORD dst_unused:UNUSED_PAD src0_sel:WORD_1 src1_sel:DWORD
	v_add_u32_e32 v23, 0x400, v35
	v_pk_fma_f16 v22, v9, v12, v8
	ds_read2_b32 v[12:13], v23 offset1:32
	ds_read_b128 v[8:11], v34 offset:9296
	s_waitcnt lgkmcnt(2)
	v_mul_u32_u24_sdwa v24, v4, s2 dst_sel:DWORD dst_unused:UNUSED_PAD src0_sel:WORD_0 src1_sel:DWORD
	v_mul_u32_u24_sdwa v4, v4, s2 dst_sel:DWORD dst_unused:UNUSED_PAD src0_sel:WORD_1 src1_sel:DWORD
	v_mul_u32_u24_sdwa v25, v5, s2 dst_sel:DWORD dst_unused:UNUSED_PAD src0_sel:WORD_0 src1_sel:DWORD
	v_mul_u32_u24_sdwa v5, v5, s2 dst_sel:DWORD dst_unused:UNUSED_PAD src0_sel:WORD_1 src1_sel:DWORD
	s_waitcnt lgkmcnt(1)
	v_pk_fma_f16 v14, v12, v24, v14
	v_pk_fma_f16 v4, v12, v4, v15
	;; [unrolled: 1-line block ×4, first 2 shown]
	v_mul_u32_u24_sdwa v12, v6, s2 dst_sel:DWORD dst_unused:UNUSED_PAD src0_sel:WORD_0 src1_sel:DWORD
	v_mul_u32_u24_sdwa v6, v6, s2 dst_sel:DWORD dst_unused:UNUSED_PAD src0_sel:WORD_1 src1_sel:DWORD
	v_mul_u32_u24_sdwa v21, v7, s2 dst_sel:DWORD dst_unused:UNUSED_PAD src0_sel:WORD_0 src1_sel:DWORD
	v_mul_u32_u24_sdwa v7, v7, s2 dst_sel:DWORD dst_unused:UNUSED_PAD src0_sel:WORD_1 src1_sel:DWORD
	v_pk_fma_f16 v14, v13, v12, v14
	v_pk_fma_f16 v4, v13, v6, v4
	;; [unrolled: 1-line block ×4, first 2 shown]
	ds_read2_b32 v[12:13], v23 offset0:64 offset1:96
	s_waitcnt lgkmcnt(1)
	v_mul_u32_u24_sdwa v7, v8, s2 dst_sel:DWORD dst_unused:UNUSED_PAD src0_sel:WORD_0 src1_sel:DWORD
	v_mul_u32_u24_sdwa v8, v8, s2 dst_sel:DWORD dst_unused:UNUSED_PAD src0_sel:WORD_1 src1_sel:DWORD
	v_mul_u32_u24_sdwa v15, v9, s2 dst_sel:DWORD dst_unused:UNUSED_PAD src0_sel:WORD_0 src1_sel:DWORD
	v_mul_u32_u24_sdwa v9, v9, s2 dst_sel:DWORD dst_unused:UNUSED_PAD src0_sel:WORD_1 src1_sel:DWORD
	s_waitcnt lgkmcnt(0)
	v_pk_fma_f16 v7, v12, v7, v14
	v_pk_fma_f16 v4, v12, v8, v4
	;; [unrolled: 1-line block ×4, first 2 shown]
	v_mul_u32_u24_sdwa v5, v10, s2 dst_sel:DWORD dst_unused:UNUSED_PAD src0_sel:WORD_0 src1_sel:DWORD
	v_mul_u32_u24_sdwa v6, v10, s2 dst_sel:DWORD dst_unused:UNUSED_PAD src0_sel:WORD_1 src1_sel:DWORD
	v_pk_fma_f16 v14, v13, v5, v7
	v_pk_fma_f16 v15, v13, v6, v4
	ds_read_b128 v[4:7], v34 offset:9312
	v_mul_u32_u24_sdwa v10, v11, s2 dst_sel:DWORD dst_unused:UNUSED_PAD src0_sel:WORD_0 src1_sel:DWORD
	v_mul_u32_u24_sdwa v11, v11, s2 dst_sel:DWORD dst_unused:UNUSED_PAD src0_sel:WORD_1 src1_sel:DWORD
	v_pk_fma_f16 v21, v13, v10, v8
	v_pk_fma_f16 v22, v13, v11, v9
	ds_read2_b32 v[12:13], v23 offset0:128 offset1:160
	ds_read_b128 v[8:11], v34 offset:9328
	s_waitcnt lgkmcnt(2)
	v_mul_u32_u24_sdwa v24, v4, s2 dst_sel:DWORD dst_unused:UNUSED_PAD src0_sel:WORD_0 src1_sel:DWORD
	v_mul_u32_u24_sdwa v4, v4, s2 dst_sel:DWORD dst_unused:UNUSED_PAD src0_sel:WORD_1 src1_sel:DWORD
	v_mul_u32_u24_sdwa v25, v5, s2 dst_sel:DWORD dst_unused:UNUSED_PAD src0_sel:WORD_0 src1_sel:DWORD
	v_mul_u32_u24_sdwa v5, v5, s2 dst_sel:DWORD dst_unused:UNUSED_PAD src0_sel:WORD_1 src1_sel:DWORD
	s_waitcnt lgkmcnt(1)
	v_pk_fma_f16 v14, v12, v24, v14
	v_pk_fma_f16 v4, v12, v4, v15
	;; [unrolled: 1-line block ×4, first 2 shown]
	v_mul_u32_u24_sdwa v12, v6, s2 dst_sel:DWORD dst_unused:UNUSED_PAD src0_sel:WORD_0 src1_sel:DWORD
	v_mul_u32_u24_sdwa v6, v6, s2 dst_sel:DWORD dst_unused:UNUSED_PAD src0_sel:WORD_1 src1_sel:DWORD
	v_mul_u32_u24_sdwa v21, v7, s2 dst_sel:DWORD dst_unused:UNUSED_PAD src0_sel:WORD_0 src1_sel:DWORD
	v_mul_u32_u24_sdwa v7, v7, s2 dst_sel:DWORD dst_unused:UNUSED_PAD src0_sel:WORD_1 src1_sel:DWORD
	v_pk_fma_f16 v14, v13, v12, v14
	v_pk_fma_f16 v4, v13, v6, v4
	;; [unrolled: 1-line block ×4, first 2 shown]
	ds_read2_b32 v[12:13], v23 offset0:192 offset1:224
	s_waitcnt lgkmcnt(1)
	v_mul_u32_u24_sdwa v7, v8, s2 dst_sel:DWORD dst_unused:UNUSED_PAD src0_sel:WORD_0 src1_sel:DWORD
	v_mul_u32_u24_sdwa v8, v8, s2 dst_sel:DWORD dst_unused:UNUSED_PAD src0_sel:WORD_1 src1_sel:DWORD
	v_mul_u32_u24_sdwa v15, v9, s2 dst_sel:DWORD dst_unused:UNUSED_PAD src0_sel:WORD_0 src1_sel:DWORD
	v_mul_u32_u24_sdwa v9, v9, s2 dst_sel:DWORD dst_unused:UNUSED_PAD src0_sel:WORD_1 src1_sel:DWORD
	s_waitcnt lgkmcnt(0)
	v_pk_fma_f16 v7, v12, v7, v14
	v_pk_fma_f16 v4, v12, v8, v4
	;; [unrolled: 1-line block ×4, first 2 shown]
	v_mul_u32_u24_sdwa v5, v10, s2 dst_sel:DWORD dst_unused:UNUSED_PAD src0_sel:WORD_0 src1_sel:DWORD
	v_mul_u32_u24_sdwa v9, v10, s2 dst_sel:DWORD dst_unused:UNUSED_PAD src0_sel:WORD_1 src1_sel:DWORD
	v_mul_u32_u24_sdwa v10, v11, s2 dst_sel:DWORD dst_unused:UNUSED_PAD src0_sel:WORD_0 src1_sel:DWORD
	v_pk_fma_f16 v14, v13, v5, v7
	v_pk_fma_f16 v15, v13, v9, v4
	;; [unrolled: 1-line block ×3, first 2 shown]
	ds_read_b128 v[4:7], v34 offset:9344
	v_mul_u32_u24_sdwa v11, v11, s2 dst_sel:DWORD dst_unused:UNUSED_PAD src0_sel:WORD_1 src1_sel:DWORD
	v_add_u32_e32 v23, 0x800, v35
	v_pk_fma_f16 v22, v13, v11, v8
	ds_read2_b32 v[12:13], v23 offset1:32
	ds_read_b128 v[8:11], v34 offset:9360
	s_waitcnt lgkmcnt(2)
	v_mul_u32_u24_sdwa v24, v4, s2 dst_sel:DWORD dst_unused:UNUSED_PAD src0_sel:WORD_0 src1_sel:DWORD
	v_mul_u32_u24_sdwa v4, v4, s2 dst_sel:DWORD dst_unused:UNUSED_PAD src0_sel:WORD_1 src1_sel:DWORD
	v_mul_u32_u24_sdwa v25, v5, s2 dst_sel:DWORD dst_unused:UNUSED_PAD src0_sel:WORD_0 src1_sel:DWORD
	v_mul_u32_u24_sdwa v5, v5, s2 dst_sel:DWORD dst_unused:UNUSED_PAD src0_sel:WORD_1 src1_sel:DWORD
	s_waitcnt lgkmcnt(1)
	v_pk_fma_f16 v14, v12, v24, v14
	v_pk_fma_f16 v4, v12, v4, v15
	;; [unrolled: 1-line block ×4, first 2 shown]
	v_mul_u32_u24_sdwa v12, v6, s2 dst_sel:DWORD dst_unused:UNUSED_PAD src0_sel:WORD_0 src1_sel:DWORD
	v_mul_u32_u24_sdwa v6, v6, s2 dst_sel:DWORD dst_unused:UNUSED_PAD src0_sel:WORD_1 src1_sel:DWORD
	v_mul_u32_u24_sdwa v21, v7, s2 dst_sel:DWORD dst_unused:UNUSED_PAD src0_sel:WORD_0 src1_sel:DWORD
	v_mul_u32_u24_sdwa v7, v7, s2 dst_sel:DWORD dst_unused:UNUSED_PAD src0_sel:WORD_1 src1_sel:DWORD
	v_pk_fma_f16 v14, v13, v12, v14
	v_pk_fma_f16 v4, v13, v6, v4
	;; [unrolled: 1-line block ×4, first 2 shown]
	ds_read2_b32 v[12:13], v23 offset0:64 offset1:96
	s_waitcnt lgkmcnt(1)
	v_mul_u32_u24_sdwa v7, v8, s2 dst_sel:DWORD dst_unused:UNUSED_PAD src0_sel:WORD_0 src1_sel:DWORD
	v_mul_u32_u24_sdwa v8, v8, s2 dst_sel:DWORD dst_unused:UNUSED_PAD src0_sel:WORD_1 src1_sel:DWORD
	v_mul_u32_u24_sdwa v15, v9, s2 dst_sel:DWORD dst_unused:UNUSED_PAD src0_sel:WORD_0 src1_sel:DWORD
	v_mul_u32_u24_sdwa v9, v9, s2 dst_sel:DWORD dst_unused:UNUSED_PAD src0_sel:WORD_1 src1_sel:DWORD
	s_waitcnt lgkmcnt(0)
	v_pk_fma_f16 v7, v12, v7, v14
	v_pk_fma_f16 v4, v12, v8, v4
	;; [unrolled: 1-line block ×4, first 2 shown]
	v_mul_u32_u24_sdwa v5, v10, s2 dst_sel:DWORD dst_unused:UNUSED_PAD src0_sel:WORD_0 src1_sel:DWORD
	v_mul_u32_u24_sdwa v6, v10, s2 dst_sel:DWORD dst_unused:UNUSED_PAD src0_sel:WORD_1 src1_sel:DWORD
	v_pk_fma_f16 v14, v13, v5, v7
	v_pk_fma_f16 v15, v13, v6, v4
	ds_read_b128 v[4:7], v34 offset:9376
	v_mul_u32_u24_sdwa v10, v11, s2 dst_sel:DWORD dst_unused:UNUSED_PAD src0_sel:WORD_0 src1_sel:DWORD
	v_mul_u32_u24_sdwa v11, v11, s2 dst_sel:DWORD dst_unused:UNUSED_PAD src0_sel:WORD_1 src1_sel:DWORD
	v_pk_fma_f16 v21, v13, v10, v8
	v_pk_fma_f16 v22, v13, v11, v9
	ds_read2_b32 v[12:13], v23 offset0:128 offset1:160
	ds_read_b128 v[8:11], v34 offset:9392
	s_waitcnt lgkmcnt(2)
	v_mul_u32_u24_sdwa v24, v4, s2 dst_sel:DWORD dst_unused:UNUSED_PAD src0_sel:WORD_0 src1_sel:DWORD
	v_mul_u32_u24_sdwa v4, v4, s2 dst_sel:DWORD dst_unused:UNUSED_PAD src0_sel:WORD_1 src1_sel:DWORD
	v_mul_u32_u24_sdwa v25, v5, s2 dst_sel:DWORD dst_unused:UNUSED_PAD src0_sel:WORD_0 src1_sel:DWORD
	v_mul_u32_u24_sdwa v5, v5, s2 dst_sel:DWORD dst_unused:UNUSED_PAD src0_sel:WORD_1 src1_sel:DWORD
	s_waitcnt lgkmcnt(1)
	v_pk_fma_f16 v14, v12, v24, v14
	v_pk_fma_f16 v4, v12, v4, v15
	;; [unrolled: 1-line block ×4, first 2 shown]
	v_mul_u32_u24_sdwa v12, v6, s2 dst_sel:DWORD dst_unused:UNUSED_PAD src0_sel:WORD_0 src1_sel:DWORD
	v_mul_u32_u24_sdwa v6, v6, s2 dst_sel:DWORD dst_unused:UNUSED_PAD src0_sel:WORD_1 src1_sel:DWORD
	v_mul_u32_u24_sdwa v21, v7, s2 dst_sel:DWORD dst_unused:UNUSED_PAD src0_sel:WORD_0 src1_sel:DWORD
	v_mul_u32_u24_sdwa v7, v7, s2 dst_sel:DWORD dst_unused:UNUSED_PAD src0_sel:WORD_1 src1_sel:DWORD
	v_pk_fma_f16 v14, v13, v12, v14
	v_pk_fma_f16 v4, v13, v6, v4
	;; [unrolled: 1-line block ×4, first 2 shown]
	ds_read2_b32 v[12:13], v23 offset0:192 offset1:224
	s_waitcnt lgkmcnt(1)
	v_mul_u32_u24_sdwa v7, v8, s2 dst_sel:DWORD dst_unused:UNUSED_PAD src0_sel:WORD_0 src1_sel:DWORD
	v_mul_u32_u24_sdwa v8, v8, s2 dst_sel:DWORD dst_unused:UNUSED_PAD src0_sel:WORD_1 src1_sel:DWORD
	v_mul_u32_u24_sdwa v15, v9, s2 dst_sel:DWORD dst_unused:UNUSED_PAD src0_sel:WORD_0 src1_sel:DWORD
	v_mul_u32_u24_sdwa v9, v9, s2 dst_sel:DWORD dst_unused:UNUSED_PAD src0_sel:WORD_1 src1_sel:DWORD
	s_waitcnt lgkmcnt(0)
	v_pk_fma_f16 v7, v12, v7, v14
	v_pk_fma_f16 v4, v12, v8, v4
	;; [unrolled: 1-line block ×4, first 2 shown]
	v_mul_u32_u24_sdwa v5, v10, s2 dst_sel:DWORD dst_unused:UNUSED_PAD src0_sel:WORD_0 src1_sel:DWORD
	v_mul_u32_u24_sdwa v9, v10, s2 dst_sel:DWORD dst_unused:UNUSED_PAD src0_sel:WORD_1 src1_sel:DWORD
	v_mul_u32_u24_sdwa v10, v11, s2 dst_sel:DWORD dst_unused:UNUSED_PAD src0_sel:WORD_0 src1_sel:DWORD
	v_pk_fma_f16 v14, v13, v5, v7
	v_pk_fma_f16 v15, v13, v9, v4
	;; [unrolled: 1-line block ×3, first 2 shown]
	ds_read_b128 v[4:7], v34 offset:9408
	v_mul_u32_u24_sdwa v11, v11, s2 dst_sel:DWORD dst_unused:UNUSED_PAD src0_sel:WORD_1 src1_sel:DWORD
	v_add_u32_e32 v23, 0xc00, v35
	v_pk_fma_f16 v22, v13, v11, v8
	ds_read2_b32 v[12:13], v23 offset1:32
	ds_read_b128 v[8:11], v34 offset:9424
	s_waitcnt lgkmcnt(2)
	v_mul_u32_u24_sdwa v24, v4, s2 dst_sel:DWORD dst_unused:UNUSED_PAD src0_sel:WORD_0 src1_sel:DWORD
	v_mul_u32_u24_sdwa v4, v4, s2 dst_sel:DWORD dst_unused:UNUSED_PAD src0_sel:WORD_1 src1_sel:DWORD
	v_mul_u32_u24_sdwa v25, v5, s2 dst_sel:DWORD dst_unused:UNUSED_PAD src0_sel:WORD_0 src1_sel:DWORD
	v_mul_u32_u24_sdwa v5, v5, s2 dst_sel:DWORD dst_unused:UNUSED_PAD src0_sel:WORD_1 src1_sel:DWORD
	s_waitcnt lgkmcnt(1)
	v_pk_fma_f16 v14, v12, v24, v14
	v_pk_fma_f16 v4, v12, v4, v15
	;; [unrolled: 1-line block ×4, first 2 shown]
	v_mul_u32_u24_sdwa v12, v6, s2 dst_sel:DWORD dst_unused:UNUSED_PAD src0_sel:WORD_0 src1_sel:DWORD
	v_mul_u32_u24_sdwa v6, v6, s2 dst_sel:DWORD dst_unused:UNUSED_PAD src0_sel:WORD_1 src1_sel:DWORD
	v_mul_u32_u24_sdwa v21, v7, s2 dst_sel:DWORD dst_unused:UNUSED_PAD src0_sel:WORD_0 src1_sel:DWORD
	v_mul_u32_u24_sdwa v7, v7, s2 dst_sel:DWORD dst_unused:UNUSED_PAD src0_sel:WORD_1 src1_sel:DWORD
	v_pk_fma_f16 v14, v13, v12, v14
	v_pk_fma_f16 v4, v13, v6, v4
	v_pk_fma_f16 v6, v13, v21, v15
	v_pk_fma_f16 v5, v13, v7, v5
	ds_read2_b32 v[12:13], v23 offset0:64 offset1:96
	s_waitcnt lgkmcnt(1)
	v_mul_u32_u24_sdwa v7, v8, s2 dst_sel:DWORD dst_unused:UNUSED_PAD src0_sel:WORD_0 src1_sel:DWORD
	v_mul_u32_u24_sdwa v8, v8, s2 dst_sel:DWORD dst_unused:UNUSED_PAD src0_sel:WORD_1 src1_sel:DWORD
	v_mul_u32_u24_sdwa v15, v9, s2 dst_sel:DWORD dst_unused:UNUSED_PAD src0_sel:WORD_0 src1_sel:DWORD
	v_mul_u32_u24_sdwa v9, v9, s2 dst_sel:DWORD dst_unused:UNUSED_PAD src0_sel:WORD_1 src1_sel:DWORD
	s_waitcnt lgkmcnt(0)
	v_pk_fma_f16 v7, v12, v7, v14
	v_pk_fma_f16 v4, v12, v8, v4
	;; [unrolled: 1-line block ×4, first 2 shown]
	v_mul_u32_u24_sdwa v5, v10, s2 dst_sel:DWORD dst_unused:UNUSED_PAD src0_sel:WORD_0 src1_sel:DWORD
	v_mul_u32_u24_sdwa v6, v10, s2 dst_sel:DWORD dst_unused:UNUSED_PAD src0_sel:WORD_1 src1_sel:DWORD
	v_pk_fma_f16 v14, v13, v5, v7
	v_pk_fma_f16 v15, v13, v6, v4
	ds_read_b128 v[4:7], v34 offset:9440
	v_mul_u32_u24_sdwa v10, v11, s2 dst_sel:DWORD dst_unused:UNUSED_PAD src0_sel:WORD_0 src1_sel:DWORD
	v_mul_u32_u24_sdwa v11, v11, s2 dst_sel:DWORD dst_unused:UNUSED_PAD src0_sel:WORD_1 src1_sel:DWORD
	v_pk_fma_f16 v21, v13, v10, v8
	v_pk_fma_f16 v22, v13, v11, v9
	ds_read2_b32 v[12:13], v23 offset0:128 offset1:160
	ds_read_b128 v[8:11], v34 offset:9456
	s_waitcnt lgkmcnt(2)
	v_mul_u32_u24_sdwa v24, v4, s2 dst_sel:DWORD dst_unused:UNUSED_PAD src0_sel:WORD_0 src1_sel:DWORD
	v_mul_u32_u24_sdwa v4, v4, s2 dst_sel:DWORD dst_unused:UNUSED_PAD src0_sel:WORD_1 src1_sel:DWORD
	v_mul_u32_u24_sdwa v25, v5, s2 dst_sel:DWORD dst_unused:UNUSED_PAD src0_sel:WORD_0 src1_sel:DWORD
	v_mul_u32_u24_sdwa v5, v5, s2 dst_sel:DWORD dst_unused:UNUSED_PAD src0_sel:WORD_1 src1_sel:DWORD
	s_waitcnt lgkmcnt(1)
	v_pk_fma_f16 v14, v12, v24, v14
	v_pk_fma_f16 v4, v12, v4, v15
	;; [unrolled: 1-line block ×4, first 2 shown]
	v_mul_u32_u24_sdwa v12, v6, s2 dst_sel:DWORD dst_unused:UNUSED_PAD src0_sel:WORD_0 src1_sel:DWORD
	v_mul_u32_u24_sdwa v6, v6, s2 dst_sel:DWORD dst_unused:UNUSED_PAD src0_sel:WORD_1 src1_sel:DWORD
	v_mul_u32_u24_sdwa v21, v7, s2 dst_sel:DWORD dst_unused:UNUSED_PAD src0_sel:WORD_0 src1_sel:DWORD
	v_mul_u32_u24_sdwa v7, v7, s2 dst_sel:DWORD dst_unused:UNUSED_PAD src0_sel:WORD_1 src1_sel:DWORD
	v_pk_fma_f16 v14, v13, v12, v14
	v_pk_fma_f16 v4, v13, v6, v4
	;; [unrolled: 1-line block ×4, first 2 shown]
	ds_read2_b32 v[12:13], v23 offset0:192 offset1:224
	s_waitcnt lgkmcnt(1)
	v_mul_u32_u24_sdwa v7, v8, s2 dst_sel:DWORD dst_unused:UNUSED_PAD src0_sel:WORD_0 src1_sel:DWORD
	v_mul_u32_u24_sdwa v8, v8, s2 dst_sel:DWORD dst_unused:UNUSED_PAD src0_sel:WORD_1 src1_sel:DWORD
	v_mul_u32_u24_sdwa v15, v9, s2 dst_sel:DWORD dst_unused:UNUSED_PAD src0_sel:WORD_0 src1_sel:DWORD
	v_mul_u32_u24_sdwa v9, v9, s2 dst_sel:DWORD dst_unused:UNUSED_PAD src0_sel:WORD_1 src1_sel:DWORD
	s_waitcnt lgkmcnt(0)
	v_pk_fma_f16 v7, v12, v7, v14
	v_pk_fma_f16 v4, v12, v8, v4
	;; [unrolled: 1-line block ×4, first 2 shown]
	v_mul_u32_u24_sdwa v5, v10, s2 dst_sel:DWORD dst_unused:UNUSED_PAD src0_sel:WORD_0 src1_sel:DWORD
	v_mul_u32_u24_sdwa v9, v10, s2 dst_sel:DWORD dst_unused:UNUSED_PAD src0_sel:WORD_1 src1_sel:DWORD
	v_mul_u32_u24_sdwa v10, v11, s2 dst_sel:DWORD dst_unused:UNUSED_PAD src0_sel:WORD_0 src1_sel:DWORD
	v_pk_fma_f16 v14, v13, v5, v7
	v_pk_fma_f16 v15, v13, v9, v4
	;; [unrolled: 1-line block ×3, first 2 shown]
	ds_read_b128 v[4:7], v34 offset:9472
	v_mul_u32_u24_sdwa v11, v11, s2 dst_sel:DWORD dst_unused:UNUSED_PAD src0_sel:WORD_1 src1_sel:DWORD
	v_add_u32_e32 v23, 0x1000, v35
	v_pk_fma_f16 v22, v13, v11, v8
	ds_read2_b32 v[12:13], v23 offset1:32
	ds_read_b128 v[8:11], v34 offset:9488
	s_waitcnt lgkmcnt(2)
	v_mul_u32_u24_sdwa v24, v4, s2 dst_sel:DWORD dst_unused:UNUSED_PAD src0_sel:WORD_0 src1_sel:DWORD
	v_mul_u32_u24_sdwa v4, v4, s2 dst_sel:DWORD dst_unused:UNUSED_PAD src0_sel:WORD_1 src1_sel:DWORD
	v_mul_u32_u24_sdwa v25, v5, s2 dst_sel:DWORD dst_unused:UNUSED_PAD src0_sel:WORD_0 src1_sel:DWORD
	v_mul_u32_u24_sdwa v5, v5, s2 dst_sel:DWORD dst_unused:UNUSED_PAD src0_sel:WORD_1 src1_sel:DWORD
	s_waitcnt lgkmcnt(1)
	v_pk_fma_f16 v14, v12, v24, v14
	v_pk_fma_f16 v4, v12, v4, v15
	;; [unrolled: 1-line block ×4, first 2 shown]
	v_mul_u32_u24_sdwa v12, v6, s2 dst_sel:DWORD dst_unused:UNUSED_PAD src0_sel:WORD_0 src1_sel:DWORD
	v_mul_u32_u24_sdwa v6, v6, s2 dst_sel:DWORD dst_unused:UNUSED_PAD src0_sel:WORD_1 src1_sel:DWORD
	v_mul_u32_u24_sdwa v21, v7, s2 dst_sel:DWORD dst_unused:UNUSED_PAD src0_sel:WORD_0 src1_sel:DWORD
	v_mul_u32_u24_sdwa v7, v7, s2 dst_sel:DWORD dst_unused:UNUSED_PAD src0_sel:WORD_1 src1_sel:DWORD
	v_pk_fma_f16 v14, v13, v12, v14
	v_pk_fma_f16 v4, v13, v6, v4
	;; [unrolled: 1-line block ×4, first 2 shown]
	ds_read2_b32 v[12:13], v23 offset0:64 offset1:96
	s_waitcnt lgkmcnt(1)
	v_mul_u32_u24_sdwa v7, v8, s2 dst_sel:DWORD dst_unused:UNUSED_PAD src0_sel:WORD_0 src1_sel:DWORD
	v_mul_u32_u24_sdwa v8, v8, s2 dst_sel:DWORD dst_unused:UNUSED_PAD src0_sel:WORD_1 src1_sel:DWORD
	v_mul_u32_u24_sdwa v15, v9, s2 dst_sel:DWORD dst_unused:UNUSED_PAD src0_sel:WORD_0 src1_sel:DWORD
	v_mul_u32_u24_sdwa v9, v9, s2 dst_sel:DWORD dst_unused:UNUSED_PAD src0_sel:WORD_1 src1_sel:DWORD
	s_waitcnt lgkmcnt(0)
	v_pk_fma_f16 v7, v12, v7, v14
	v_pk_fma_f16 v4, v12, v8, v4
	v_pk_fma_f16 v8, v12, v15, v6
	v_pk_fma_f16 v9, v12, v9, v5
	v_mul_u32_u24_sdwa v5, v10, s2 dst_sel:DWORD dst_unused:UNUSED_PAD src0_sel:WORD_0 src1_sel:DWORD
	v_mul_u32_u24_sdwa v6, v10, s2 dst_sel:DWORD dst_unused:UNUSED_PAD src0_sel:WORD_1 src1_sel:DWORD
	v_pk_fma_f16 v14, v13, v5, v7
	v_pk_fma_f16 v15, v13, v6, v4
	ds_read_b128 v[4:7], v34 offset:9504
	v_mul_u32_u24_sdwa v10, v11, s2 dst_sel:DWORD dst_unused:UNUSED_PAD src0_sel:WORD_0 src1_sel:DWORD
	v_mul_u32_u24_sdwa v11, v11, s2 dst_sel:DWORD dst_unused:UNUSED_PAD src0_sel:WORD_1 src1_sel:DWORD
	v_pk_fma_f16 v21, v13, v10, v8
	v_pk_fma_f16 v22, v13, v11, v9
	ds_read2_b32 v[12:13], v23 offset0:128 offset1:160
	ds_read_b128 v[8:11], v34 offset:9520
	s_waitcnt lgkmcnt(2)
	v_mul_u32_u24_sdwa v24, v4, s2 dst_sel:DWORD dst_unused:UNUSED_PAD src0_sel:WORD_0 src1_sel:DWORD
	v_mul_u32_u24_sdwa v4, v4, s2 dst_sel:DWORD dst_unused:UNUSED_PAD src0_sel:WORD_1 src1_sel:DWORD
	v_mul_u32_u24_sdwa v25, v5, s2 dst_sel:DWORD dst_unused:UNUSED_PAD src0_sel:WORD_0 src1_sel:DWORD
	v_mul_u32_u24_sdwa v5, v5, s2 dst_sel:DWORD dst_unused:UNUSED_PAD src0_sel:WORD_1 src1_sel:DWORD
	s_waitcnt lgkmcnt(1)
	v_pk_fma_f16 v14, v12, v24, v14
	v_pk_fma_f16 v4, v12, v4, v15
	;; [unrolled: 1-line block ×4, first 2 shown]
	v_mul_u32_u24_sdwa v12, v6, s2 dst_sel:DWORD dst_unused:UNUSED_PAD src0_sel:WORD_0 src1_sel:DWORD
	v_mul_u32_u24_sdwa v6, v6, s2 dst_sel:DWORD dst_unused:UNUSED_PAD src0_sel:WORD_1 src1_sel:DWORD
	v_mul_u32_u24_sdwa v21, v7, s2 dst_sel:DWORD dst_unused:UNUSED_PAD src0_sel:WORD_0 src1_sel:DWORD
	v_mul_u32_u24_sdwa v7, v7, s2 dst_sel:DWORD dst_unused:UNUSED_PAD src0_sel:WORD_1 src1_sel:DWORD
	v_pk_fma_f16 v14, v13, v12, v14
	v_pk_fma_f16 v4, v13, v6, v4
	;; [unrolled: 1-line block ×4, first 2 shown]
	ds_read2_b32 v[12:13], v23 offset0:192 offset1:224
	s_waitcnt lgkmcnt(1)
	v_mul_u32_u24_sdwa v7, v8, s2 dst_sel:DWORD dst_unused:UNUSED_PAD src0_sel:WORD_0 src1_sel:DWORD
	v_mul_u32_u24_sdwa v8, v8, s2 dst_sel:DWORD dst_unused:UNUSED_PAD src0_sel:WORD_1 src1_sel:DWORD
	v_mul_u32_u24_sdwa v15, v9, s2 dst_sel:DWORD dst_unused:UNUSED_PAD src0_sel:WORD_0 src1_sel:DWORD
	v_mul_u32_u24_sdwa v9, v9, s2 dst_sel:DWORD dst_unused:UNUSED_PAD src0_sel:WORD_1 src1_sel:DWORD
	s_waitcnt lgkmcnt(0)
	v_pk_fma_f16 v7, v12, v7, v14
	v_pk_fma_f16 v4, v12, v8, v4
	;; [unrolled: 1-line block ×4, first 2 shown]
	v_mul_u32_u24_sdwa v5, v10, s2 dst_sel:DWORD dst_unused:UNUSED_PAD src0_sel:WORD_0 src1_sel:DWORD
	v_mul_u32_u24_sdwa v9, v10, s2 dst_sel:DWORD dst_unused:UNUSED_PAD src0_sel:WORD_1 src1_sel:DWORD
	v_mul_u32_u24_sdwa v10, v11, s2 dst_sel:DWORD dst_unused:UNUSED_PAD src0_sel:WORD_0 src1_sel:DWORD
	v_pk_fma_f16 v14, v13, v5, v7
	v_pk_fma_f16 v15, v13, v9, v4
	v_pk_fma_f16 v21, v13, v10, v6
	ds_read_b128 v[4:7], v34 offset:9536
	v_mul_u32_u24_sdwa v11, v11, s2 dst_sel:DWORD dst_unused:UNUSED_PAD src0_sel:WORD_1 src1_sel:DWORD
	v_add_u32_e32 v23, 0x1400, v35
	v_pk_fma_f16 v22, v13, v11, v8
	ds_read2_b32 v[12:13], v23 offset1:32
	ds_read_b128 v[8:11], v34 offset:9552
	s_waitcnt lgkmcnt(2)
	v_mul_u32_u24_sdwa v24, v4, s2 dst_sel:DWORD dst_unused:UNUSED_PAD src0_sel:WORD_0 src1_sel:DWORD
	v_mul_u32_u24_sdwa v4, v4, s2 dst_sel:DWORD dst_unused:UNUSED_PAD src0_sel:WORD_1 src1_sel:DWORD
	v_mul_u32_u24_sdwa v25, v5, s2 dst_sel:DWORD dst_unused:UNUSED_PAD src0_sel:WORD_0 src1_sel:DWORD
	v_mul_u32_u24_sdwa v5, v5, s2 dst_sel:DWORD dst_unused:UNUSED_PAD src0_sel:WORD_1 src1_sel:DWORD
	s_waitcnt lgkmcnt(1)
	v_pk_fma_f16 v14, v12, v24, v14
	v_pk_fma_f16 v4, v12, v4, v15
	;; [unrolled: 1-line block ×4, first 2 shown]
	v_mul_u32_u24_sdwa v12, v6, s2 dst_sel:DWORD dst_unused:UNUSED_PAD src0_sel:WORD_0 src1_sel:DWORD
	v_mul_u32_u24_sdwa v6, v6, s2 dst_sel:DWORD dst_unused:UNUSED_PAD src0_sel:WORD_1 src1_sel:DWORD
	v_mul_u32_u24_sdwa v21, v7, s2 dst_sel:DWORD dst_unused:UNUSED_PAD src0_sel:WORD_0 src1_sel:DWORD
	v_mul_u32_u24_sdwa v7, v7, s2 dst_sel:DWORD dst_unused:UNUSED_PAD src0_sel:WORD_1 src1_sel:DWORD
	v_pk_fma_f16 v14, v13, v12, v14
	v_pk_fma_f16 v4, v13, v6, v4
	;; [unrolled: 1-line block ×4, first 2 shown]
	ds_read2_b32 v[12:13], v23 offset0:64 offset1:96
	s_waitcnt lgkmcnt(1)
	v_mul_u32_u24_sdwa v7, v8, s2 dst_sel:DWORD dst_unused:UNUSED_PAD src0_sel:WORD_0 src1_sel:DWORD
	v_mul_u32_u24_sdwa v8, v8, s2 dst_sel:DWORD dst_unused:UNUSED_PAD src0_sel:WORD_1 src1_sel:DWORD
	v_mul_u32_u24_sdwa v15, v9, s2 dst_sel:DWORD dst_unused:UNUSED_PAD src0_sel:WORD_0 src1_sel:DWORD
	v_mul_u32_u24_sdwa v9, v9, s2 dst_sel:DWORD dst_unused:UNUSED_PAD src0_sel:WORD_1 src1_sel:DWORD
	s_waitcnt lgkmcnt(0)
	v_pk_fma_f16 v7, v12, v7, v14
	v_pk_fma_f16 v4, v12, v8, v4
	;; [unrolled: 1-line block ×4, first 2 shown]
	v_mul_u32_u24_sdwa v5, v10, s2 dst_sel:DWORD dst_unused:UNUSED_PAD src0_sel:WORD_0 src1_sel:DWORD
	v_mul_u32_u24_sdwa v6, v10, s2 dst_sel:DWORD dst_unused:UNUSED_PAD src0_sel:WORD_1 src1_sel:DWORD
	v_pk_fma_f16 v14, v13, v5, v7
	v_pk_fma_f16 v15, v13, v6, v4
	ds_read_b128 v[4:7], v34 offset:9568
	v_mul_u32_u24_sdwa v10, v11, s2 dst_sel:DWORD dst_unused:UNUSED_PAD src0_sel:WORD_0 src1_sel:DWORD
	v_mul_u32_u24_sdwa v11, v11, s2 dst_sel:DWORD dst_unused:UNUSED_PAD src0_sel:WORD_1 src1_sel:DWORD
	v_pk_fma_f16 v21, v13, v10, v8
	v_pk_fma_f16 v22, v13, v11, v9
	ds_read2_b32 v[12:13], v23 offset0:128 offset1:160
	ds_read_b128 v[8:11], v34 offset:9584
	s_waitcnt lgkmcnt(2)
	v_mul_u32_u24_sdwa v24, v4, s2 dst_sel:DWORD dst_unused:UNUSED_PAD src0_sel:WORD_0 src1_sel:DWORD
	v_mul_u32_u24_sdwa v4, v4, s2 dst_sel:DWORD dst_unused:UNUSED_PAD src0_sel:WORD_1 src1_sel:DWORD
	v_mul_u32_u24_sdwa v25, v5, s2 dst_sel:DWORD dst_unused:UNUSED_PAD src0_sel:WORD_0 src1_sel:DWORD
	v_mul_u32_u24_sdwa v5, v5, s2 dst_sel:DWORD dst_unused:UNUSED_PAD src0_sel:WORD_1 src1_sel:DWORD
	s_waitcnt lgkmcnt(1)
	v_pk_fma_f16 v14, v12, v24, v14
	v_pk_fma_f16 v4, v12, v4, v15
	;; [unrolled: 1-line block ×4, first 2 shown]
	v_mul_u32_u24_sdwa v12, v6, s2 dst_sel:DWORD dst_unused:UNUSED_PAD src0_sel:WORD_0 src1_sel:DWORD
	v_mul_u32_u24_sdwa v6, v6, s2 dst_sel:DWORD dst_unused:UNUSED_PAD src0_sel:WORD_1 src1_sel:DWORD
	v_mul_u32_u24_sdwa v21, v7, s2 dst_sel:DWORD dst_unused:UNUSED_PAD src0_sel:WORD_0 src1_sel:DWORD
	v_mul_u32_u24_sdwa v7, v7, s2 dst_sel:DWORD dst_unused:UNUSED_PAD src0_sel:WORD_1 src1_sel:DWORD
	v_pk_fma_f16 v14, v13, v12, v14
	v_pk_fma_f16 v4, v13, v6, v4
	;; [unrolled: 1-line block ×4, first 2 shown]
	ds_read2_b32 v[12:13], v23 offset0:192 offset1:224
	s_waitcnt lgkmcnt(1)
	v_mul_u32_u24_sdwa v7, v8, s2 dst_sel:DWORD dst_unused:UNUSED_PAD src0_sel:WORD_0 src1_sel:DWORD
	v_mul_u32_u24_sdwa v8, v8, s2 dst_sel:DWORD dst_unused:UNUSED_PAD src0_sel:WORD_1 src1_sel:DWORD
	v_mul_u32_u24_sdwa v15, v9, s2 dst_sel:DWORD dst_unused:UNUSED_PAD src0_sel:WORD_0 src1_sel:DWORD
	v_mul_u32_u24_sdwa v9, v9, s2 dst_sel:DWORD dst_unused:UNUSED_PAD src0_sel:WORD_1 src1_sel:DWORD
	s_waitcnt lgkmcnt(0)
	v_pk_fma_f16 v7, v12, v7, v14
	v_pk_fma_f16 v4, v12, v8, v4
	;; [unrolled: 1-line block ×4, first 2 shown]
	v_mul_u32_u24_sdwa v5, v10, s2 dst_sel:DWORD dst_unused:UNUSED_PAD src0_sel:WORD_0 src1_sel:DWORD
	v_mul_u32_u24_sdwa v9, v10, s2 dst_sel:DWORD dst_unused:UNUSED_PAD src0_sel:WORD_1 src1_sel:DWORD
	v_mul_u32_u24_sdwa v10, v11, s2 dst_sel:DWORD dst_unused:UNUSED_PAD src0_sel:WORD_0 src1_sel:DWORD
	v_pk_fma_f16 v14, v13, v5, v7
	v_pk_fma_f16 v15, v13, v9, v4
	;; [unrolled: 1-line block ×3, first 2 shown]
	ds_read_b128 v[4:7], v34 offset:9600
	v_mul_u32_u24_sdwa v11, v11, s2 dst_sel:DWORD dst_unused:UNUSED_PAD src0_sel:WORD_1 src1_sel:DWORD
	v_add_u32_e32 v23, 0x1800, v35
	v_pk_fma_f16 v22, v13, v11, v8
	ds_read2_b32 v[12:13], v23 offset1:32
	ds_read_b128 v[8:11], v34 offset:9616
	s_waitcnt lgkmcnt(2)
	v_mul_u32_u24_sdwa v24, v4, s2 dst_sel:DWORD dst_unused:UNUSED_PAD src0_sel:WORD_0 src1_sel:DWORD
	v_mul_u32_u24_sdwa v4, v4, s2 dst_sel:DWORD dst_unused:UNUSED_PAD src0_sel:WORD_1 src1_sel:DWORD
	v_mul_u32_u24_sdwa v25, v5, s2 dst_sel:DWORD dst_unused:UNUSED_PAD src0_sel:WORD_0 src1_sel:DWORD
	v_mul_u32_u24_sdwa v5, v5, s2 dst_sel:DWORD dst_unused:UNUSED_PAD src0_sel:WORD_1 src1_sel:DWORD
	s_waitcnt lgkmcnt(1)
	v_pk_fma_f16 v14, v12, v24, v14
	v_pk_fma_f16 v4, v12, v4, v15
	;; [unrolled: 1-line block ×4, first 2 shown]
	v_mul_u32_u24_sdwa v12, v6, s2 dst_sel:DWORD dst_unused:UNUSED_PAD src0_sel:WORD_0 src1_sel:DWORD
	v_mul_u32_u24_sdwa v6, v6, s2 dst_sel:DWORD dst_unused:UNUSED_PAD src0_sel:WORD_1 src1_sel:DWORD
	v_mul_u32_u24_sdwa v21, v7, s2 dst_sel:DWORD dst_unused:UNUSED_PAD src0_sel:WORD_0 src1_sel:DWORD
	v_mul_u32_u24_sdwa v7, v7, s2 dst_sel:DWORD dst_unused:UNUSED_PAD src0_sel:WORD_1 src1_sel:DWORD
	v_pk_fma_f16 v14, v13, v12, v14
	v_pk_fma_f16 v4, v13, v6, v4
	v_pk_fma_f16 v6, v13, v21, v15
	v_pk_fma_f16 v5, v13, v7, v5
	ds_read2_b32 v[12:13], v23 offset0:64 offset1:96
	s_waitcnt lgkmcnt(1)
	v_mul_u32_u24_sdwa v7, v8, s2 dst_sel:DWORD dst_unused:UNUSED_PAD src0_sel:WORD_0 src1_sel:DWORD
	v_mul_u32_u24_sdwa v8, v8, s2 dst_sel:DWORD dst_unused:UNUSED_PAD src0_sel:WORD_1 src1_sel:DWORD
	v_mul_u32_u24_sdwa v15, v9, s2 dst_sel:DWORD dst_unused:UNUSED_PAD src0_sel:WORD_0 src1_sel:DWORD
	v_mul_u32_u24_sdwa v9, v9, s2 dst_sel:DWORD dst_unused:UNUSED_PAD src0_sel:WORD_1 src1_sel:DWORD
	s_waitcnt lgkmcnt(0)
	v_pk_fma_f16 v7, v12, v7, v14
	v_pk_fma_f16 v4, v12, v8, v4
	;; [unrolled: 1-line block ×4, first 2 shown]
	v_mul_u32_u24_sdwa v5, v10, s2 dst_sel:DWORD dst_unused:UNUSED_PAD src0_sel:WORD_0 src1_sel:DWORD
	v_mul_u32_u24_sdwa v6, v10, s2 dst_sel:DWORD dst_unused:UNUSED_PAD src0_sel:WORD_1 src1_sel:DWORD
	v_pk_fma_f16 v14, v13, v5, v7
	v_pk_fma_f16 v15, v13, v6, v4
	ds_read_b128 v[4:7], v34 offset:9632
	v_mul_u32_u24_sdwa v10, v11, s2 dst_sel:DWORD dst_unused:UNUSED_PAD src0_sel:WORD_0 src1_sel:DWORD
	v_mul_u32_u24_sdwa v11, v11, s2 dst_sel:DWORD dst_unused:UNUSED_PAD src0_sel:WORD_1 src1_sel:DWORD
	v_pk_fma_f16 v21, v13, v10, v8
	v_pk_fma_f16 v22, v13, v11, v9
	ds_read2_b32 v[12:13], v23 offset0:128 offset1:160
	ds_read_b128 v[8:11], v34 offset:9648
	s_waitcnt lgkmcnt(2)
	v_mul_u32_u24_sdwa v24, v4, s2 dst_sel:DWORD dst_unused:UNUSED_PAD src0_sel:WORD_0 src1_sel:DWORD
	v_mul_u32_u24_sdwa v4, v4, s2 dst_sel:DWORD dst_unused:UNUSED_PAD src0_sel:WORD_1 src1_sel:DWORD
	v_mul_u32_u24_sdwa v25, v5, s2 dst_sel:DWORD dst_unused:UNUSED_PAD src0_sel:WORD_0 src1_sel:DWORD
	v_mul_u32_u24_sdwa v5, v5, s2 dst_sel:DWORD dst_unused:UNUSED_PAD src0_sel:WORD_1 src1_sel:DWORD
	s_waitcnt lgkmcnt(1)
	v_pk_fma_f16 v14, v12, v24, v14
	v_pk_fma_f16 v4, v12, v4, v15
	;; [unrolled: 1-line block ×4, first 2 shown]
	v_mul_u32_u24_sdwa v12, v6, s2 dst_sel:DWORD dst_unused:UNUSED_PAD src0_sel:WORD_0 src1_sel:DWORD
	v_mul_u32_u24_sdwa v6, v6, s2 dst_sel:DWORD dst_unused:UNUSED_PAD src0_sel:WORD_1 src1_sel:DWORD
	v_mul_u32_u24_sdwa v21, v7, s2 dst_sel:DWORD dst_unused:UNUSED_PAD src0_sel:WORD_0 src1_sel:DWORD
	v_mul_u32_u24_sdwa v7, v7, s2 dst_sel:DWORD dst_unused:UNUSED_PAD src0_sel:WORD_1 src1_sel:DWORD
	v_pk_fma_f16 v14, v13, v12, v14
	v_pk_fma_f16 v4, v13, v6, v4
	;; [unrolled: 1-line block ×4, first 2 shown]
	ds_read2_b32 v[12:13], v23 offset0:192 offset1:224
	s_waitcnt lgkmcnt(1)
	v_mul_u32_u24_sdwa v7, v8, s2 dst_sel:DWORD dst_unused:UNUSED_PAD src0_sel:WORD_0 src1_sel:DWORD
	v_mul_u32_u24_sdwa v8, v8, s2 dst_sel:DWORD dst_unused:UNUSED_PAD src0_sel:WORD_1 src1_sel:DWORD
	v_mul_u32_u24_sdwa v15, v9, s2 dst_sel:DWORD dst_unused:UNUSED_PAD src0_sel:WORD_0 src1_sel:DWORD
	v_mul_u32_u24_sdwa v9, v9, s2 dst_sel:DWORD dst_unused:UNUSED_PAD src0_sel:WORD_1 src1_sel:DWORD
	s_waitcnt lgkmcnt(0)
	v_pk_fma_f16 v7, v12, v7, v14
	v_pk_fma_f16 v4, v12, v8, v4
	;; [unrolled: 1-line block ×4, first 2 shown]
	v_mul_u32_u24_sdwa v5, v10, s2 dst_sel:DWORD dst_unused:UNUSED_PAD src0_sel:WORD_0 src1_sel:DWORD
	v_mul_u32_u24_sdwa v9, v10, s2 dst_sel:DWORD dst_unused:UNUSED_PAD src0_sel:WORD_1 src1_sel:DWORD
	v_mul_u32_u24_sdwa v10, v11, s2 dst_sel:DWORD dst_unused:UNUSED_PAD src0_sel:WORD_0 src1_sel:DWORD
	v_pk_fma_f16 v14, v13, v5, v7
	v_pk_fma_f16 v15, v13, v9, v4
	;; [unrolled: 1-line block ×3, first 2 shown]
	ds_read_b128 v[4:7], v34 offset:9664
	v_mul_u32_u24_sdwa v11, v11, s2 dst_sel:DWORD dst_unused:UNUSED_PAD src0_sel:WORD_1 src1_sel:DWORD
	v_add_u32_e32 v23, 0x1c00, v35
	v_pk_fma_f16 v22, v13, v11, v8
	ds_read2_b32 v[12:13], v23 offset1:32
	ds_read_b128 v[8:11], v34 offset:9680
	s_waitcnt lgkmcnt(2)
	v_mul_u32_u24_sdwa v24, v4, s2 dst_sel:DWORD dst_unused:UNUSED_PAD src0_sel:WORD_0 src1_sel:DWORD
	v_mul_u32_u24_sdwa v4, v4, s2 dst_sel:DWORD dst_unused:UNUSED_PAD src0_sel:WORD_1 src1_sel:DWORD
	v_mul_u32_u24_sdwa v25, v5, s2 dst_sel:DWORD dst_unused:UNUSED_PAD src0_sel:WORD_0 src1_sel:DWORD
	v_mul_u32_u24_sdwa v5, v5, s2 dst_sel:DWORD dst_unused:UNUSED_PAD src0_sel:WORD_1 src1_sel:DWORD
	s_waitcnt lgkmcnt(1)
	v_pk_fma_f16 v14, v12, v24, v14
	v_pk_fma_f16 v4, v12, v4, v15
	;; [unrolled: 1-line block ×4, first 2 shown]
	v_mul_u32_u24_sdwa v12, v6, s2 dst_sel:DWORD dst_unused:UNUSED_PAD src0_sel:WORD_0 src1_sel:DWORD
	v_mul_u32_u24_sdwa v6, v6, s2 dst_sel:DWORD dst_unused:UNUSED_PAD src0_sel:WORD_1 src1_sel:DWORD
	v_mul_u32_u24_sdwa v21, v7, s2 dst_sel:DWORD dst_unused:UNUSED_PAD src0_sel:WORD_0 src1_sel:DWORD
	v_mul_u32_u24_sdwa v7, v7, s2 dst_sel:DWORD dst_unused:UNUSED_PAD src0_sel:WORD_1 src1_sel:DWORD
	v_pk_fma_f16 v14, v13, v12, v14
	v_pk_fma_f16 v4, v13, v6, v4
	;; [unrolled: 1-line block ×4, first 2 shown]
	ds_read2_b32 v[12:13], v23 offset0:64 offset1:96
	s_waitcnt lgkmcnt(1)
	v_mul_u32_u24_sdwa v7, v8, s2 dst_sel:DWORD dst_unused:UNUSED_PAD src0_sel:WORD_0 src1_sel:DWORD
	v_mul_u32_u24_sdwa v8, v8, s2 dst_sel:DWORD dst_unused:UNUSED_PAD src0_sel:WORD_1 src1_sel:DWORD
	v_mul_u32_u24_sdwa v15, v9, s2 dst_sel:DWORD dst_unused:UNUSED_PAD src0_sel:WORD_0 src1_sel:DWORD
	v_mul_u32_u24_sdwa v9, v9, s2 dst_sel:DWORD dst_unused:UNUSED_PAD src0_sel:WORD_1 src1_sel:DWORD
	s_waitcnt lgkmcnt(0)
	v_pk_fma_f16 v7, v12, v7, v14
	v_pk_fma_f16 v4, v12, v8, v4
	v_pk_fma_f16 v8, v12, v15, v6
	v_pk_fma_f16 v9, v12, v9, v5
	v_mul_u32_u24_sdwa v5, v10, s2 dst_sel:DWORD dst_unused:UNUSED_PAD src0_sel:WORD_0 src1_sel:DWORD
	v_mul_u32_u24_sdwa v6, v10, s2 dst_sel:DWORD dst_unused:UNUSED_PAD src0_sel:WORD_1 src1_sel:DWORD
	v_pk_fma_f16 v14, v13, v5, v7
	v_pk_fma_f16 v15, v13, v6, v4
	ds_read_b128 v[4:7], v34 offset:9696
	v_mul_u32_u24_sdwa v10, v11, s2 dst_sel:DWORD dst_unused:UNUSED_PAD src0_sel:WORD_0 src1_sel:DWORD
	v_mul_u32_u24_sdwa v11, v11, s2 dst_sel:DWORD dst_unused:UNUSED_PAD src0_sel:WORD_1 src1_sel:DWORD
	v_pk_fma_f16 v21, v13, v10, v8
	v_pk_fma_f16 v22, v13, v11, v9
	ds_read2_b32 v[12:13], v23 offset0:128 offset1:160
	ds_read_b128 v[8:11], v34 offset:9712
	s_waitcnt lgkmcnt(2)
	v_mul_u32_u24_sdwa v24, v4, s2 dst_sel:DWORD dst_unused:UNUSED_PAD src0_sel:WORD_0 src1_sel:DWORD
	v_mul_u32_u24_sdwa v4, v4, s2 dst_sel:DWORD dst_unused:UNUSED_PAD src0_sel:WORD_1 src1_sel:DWORD
	v_mul_u32_u24_sdwa v25, v5, s2 dst_sel:DWORD dst_unused:UNUSED_PAD src0_sel:WORD_0 src1_sel:DWORD
	v_mul_u32_u24_sdwa v5, v5, s2 dst_sel:DWORD dst_unused:UNUSED_PAD src0_sel:WORD_1 src1_sel:DWORD
	s_waitcnt lgkmcnt(1)
	v_pk_fma_f16 v14, v12, v24, v14
	v_pk_fma_f16 v4, v12, v4, v15
	;; [unrolled: 1-line block ×4, first 2 shown]
	v_mul_u32_u24_sdwa v12, v6, s2 dst_sel:DWORD dst_unused:UNUSED_PAD src0_sel:WORD_0 src1_sel:DWORD
	v_mul_u32_u24_sdwa v6, v6, s2 dst_sel:DWORD dst_unused:UNUSED_PAD src0_sel:WORD_1 src1_sel:DWORD
	v_mul_u32_u24_sdwa v21, v7, s2 dst_sel:DWORD dst_unused:UNUSED_PAD src0_sel:WORD_0 src1_sel:DWORD
	v_mul_u32_u24_sdwa v7, v7, s2 dst_sel:DWORD dst_unused:UNUSED_PAD src0_sel:WORD_1 src1_sel:DWORD
	v_pk_fma_f16 v6, v13, v6, v4
	v_pk_fma_f16 v7, v13, v7, v5
	ds_read2_b32 v[4:5], v23 offset0:192 offset1:224
	v_pk_fma_f16 v12, v13, v12, v14
	v_pk_fma_f16 v14, v13, v21, v15
	s_waitcnt lgkmcnt(1)
	v_mul_u32_u24_sdwa v13, v8, s2 dst_sel:DWORD dst_unused:UNUSED_PAD src0_sel:WORD_0 src1_sel:DWORD
	v_mul_u32_u24_sdwa v8, v8, s2 dst_sel:DWORD dst_unused:UNUSED_PAD src0_sel:WORD_1 src1_sel:DWORD
	v_mul_u32_u24_sdwa v15, v9, s2 dst_sel:DWORD dst_unused:UNUSED_PAD src0_sel:WORD_0 src1_sel:DWORD
	v_mul_u32_u24_sdwa v9, v9, s2 dst_sel:DWORD dst_unused:UNUSED_PAD src0_sel:WORD_1 src1_sel:DWORD
	s_waitcnt lgkmcnt(0)
	v_pk_fma_f16 v12, v4, v13, v12
	v_pk_fma_f16 v6, v4, v8, v6
	;; [unrolled: 1-line block ×4, first 2 shown]
	v_mul_u32_u24_sdwa v7, v10, s2 dst_sel:DWORD dst_unused:UNUSED_PAD src0_sel:WORD_0 src1_sel:DWORD
	v_mul_u32_u24_sdwa v9, v10, s2 dst_sel:DWORD dst_unused:UNUSED_PAD src0_sel:WORD_1 src1_sel:DWORD
	v_mul_u32_u24_sdwa v10, v11, s2 dst_sel:DWORD dst_unused:UNUSED_PAD src0_sel:WORD_0 src1_sel:DWORD
	v_mul_u32_u24_sdwa v11, v11, s2 dst_sel:DWORD dst_unused:UNUSED_PAD src0_sel:WORD_1 src1_sel:DWORD
	v_pk_fma_f16 v40, v5, v7, v12
	v_pk_fma_f16 v39, v5, v9, v6
	;; [unrolled: 1-line block ×4, first 2 shown]
	v_mov_b64_e32 v[12:13], v[16:17]
	v_mov_b64_e32 v[10:11], v[2:3]
	;; [unrolled: 1-line block ×4, first 2 shown]
	s_barrier
.LBB56_71:
	v_cmp_lt_i32_e32 vcc, v51, v49
	s_cmp_eq_u64 s[16:17], 0
	s_cselect_b64 s[4:5], -1, 0
	v_cndmask_b32_e32 v0, v48, v51, vcc
	v_cmp_lt_i32_e32 vcc, v53, v49
	v_lshlrev_b32_e32 v3, 2, v0
	ds_bpermute_b32 v1, v3, v9
	v_cndmask_b32_e32 v0, v48, v53, vcc
	v_cmp_lt_i32_e32 vcc, v54, v49
	v_lshlrev_b32_e32 v7, 2, v0
	ds_bpermute_b32 v2, v3, v10
	v_cndmask_b32_e32 v0, v48, v54, vcc
	v_lshlrev_b32_e32 v16, 2, v0
	ds_bpermute_b32 v0, v3, v8
	ds_bpermute_b32 v3, v3, v11
	v_cmp_lt_i32_e32 vcc, v52, v49
	s_cmp_lg_u32 s3, 0
	s_cselect_b64 s[6:7], -1, 0
	s_waitcnt lgkmcnt(1)
	v_pk_add_f32 v[0:1], v[8:9], v[0:1]
	s_waitcnt lgkmcnt(0)
	v_pk_add_f32 v[2:3], v[10:11], v[2:3]
	ds_bpermute_b32 v4, v7, v0
	ds_bpermute_b32 v5, v7, v1
	;; [unrolled: 1-line block ×4, first 2 shown]
	v_cndmask_b32_e32 v17, v48, v52, vcc
	v_lshlrev_b32_e32 v8, 2, v17
	s_waitcnt lgkmcnt(2)
	v_pk_add_f32 v[0:1], v[0:1], v[4:5]
	ds_bpermute_b32 v4, v16, v0
	s_waitcnt lgkmcnt(1)
	v_pk_add_f32 v[2:3], v[2:3], v[6:7]
	ds_bpermute_b32 v5, v16, v1
	ds_bpermute_b32 v6, v16, v2
	;; [unrolled: 1-line block ×3, first 2 shown]
	v_cmp_lt_i32_e32 vcc, v50, v49
	s_or_b64 s[4:5], s[6:7], s[4:5]
	s_waitcnt lgkmcnt(2)
	v_pk_add_f32 v[0:1], v[0:1], v[4:5]
	ds_bpermute_b32 v4, v8, v0
	s_waitcnt lgkmcnt(1)
	v_pk_add_f32 v[2:3], v[2:3], v[6:7]
	ds_bpermute_b32 v5, v8, v1
	ds_bpermute_b32 v6, v8, v2
	ds_bpermute_b32 v7, v8, v3
	v_cndmask_b32_e32 v9, v48, v50, vcc
	v_lshlrev_b32_e32 v9, 2, v9
	s_waitcnt lgkmcnt(2)
	v_pk_add_f32 v[0:1], v[0:1], v[4:5]
	ds_bpermute_b32 v4, v9, v0
	s_waitcnt lgkmcnt(1)
	v_pk_add_f32 v[6:7], v[2:3], v[6:7]
	ds_bpermute_b32 v5, v9, v1
	ds_bpermute_b32 v8, v9, v6
	;; [unrolled: 1-line block ×3, first 2 shown]
	s_and_b64 vcc, exec, s[4:5]
	s_waitcnt lgkmcnt(2)
	v_pk_add_f32 v[2:3], v[0:1], v[4:5]
	s_waitcnt lgkmcnt(0)
	v_pk_add_f32 v[0:1], v[6:7], v[8:9]
	s_cbranch_vccnz .LBB56_73
; %bb.72:
	s_lshl_b64 s[4:5], s[34:35], 2
	s_add_u32 s4, s16, s4
	s_addc_u32 s5, s17, s5
	v_mov_b32_e32 v4, 0
	global_load_dword v16, v4, s[4:5]
	v_max_f32_e32 v4, v12, v12
	v_max_f32_e32 v5, v13, v13
	s_mov_b32 s5, 0x3fb8aa3b
	v_max_f32_e32 v6, v14, v14
	s_mov_b32 s4, 0xc2ce8ed0
	s_mov_b32 s2, 0x42b17218
	v_mov_b32_e32 v17, 0x7f800000
	s_waitcnt vmcnt(0)
	v_max_f32_e32 v7, v16, v16
	v_max_f32_e32 v4, v4, v7
	v_sub_f32_e32 v8, v12, v4
	v_max_f32_e32 v5, v5, v7
	v_sub_f32_e32 v9, v16, v4
	v_mul_f32_e32 v10, 0x3fb8aa3b, v8
	v_sub_f32_e32 v11, v13, v5
	v_mul_f32_e32 v18, 0x3fb8aa3b, v9
	v_fma_f32 v24, v8, s5, -v10
	v_rndne_f32_e32 v25, v10
	v_max_f32_e32 v6, v6, v7
	v_sub_f32_e32 v12, v16, v5
	v_mul_f32_e32 v19, 0x3fb8aa3b, v11
	v_fma_f32 v34, v9, s5, -v18
	v_rndne_f32_e32 v35, v18
	v_fmac_f32_e32 v24, 0x32a5705f, v8
	v_sub_f32_e32 v10, v10, v25
	v_sub_f32_e32 v13, v14, v6
	v_mul_f32_e32 v21, 0x3fb8aa3b, v12
	v_fma_f32 v36, v11, s5, -v19
	v_rndne_f32_e32 v41, v19
	v_fmac_f32_e32 v34, 0x32a5705f, v9
	v_sub_f32_e32 v18, v18, v35
	v_add_f32_e32 v10, v10, v24
	v_mul_f32_e32 v22, 0x3fb8aa3b, v13
	v_fma_f32 v42, v12, s5, -v21
	v_rndne_f32_e32 v43, v21
	v_cvt_i32_f32_e32 v25, v25
	v_fmac_f32_e32 v36, 0x32a5705f, v11
	v_sub_f32_e32 v19, v19, v41
	v_add_f32_e32 v18, v18, v34
	v_exp_f32_e32 v10, v10
	v_fma_f32 v44, v13, s5, -v22
	v_rndne_f32_e32 v46, v22
	v_cvt_i32_f32_e32 v35, v35
	v_fmac_f32_e32 v42, 0x32a5705f, v12
	v_sub_f32_e32 v21, v21, v43
	v_add_f32_e32 v19, v19, v36
	v_exp_f32_e32 v18, v18
	v_cvt_i32_f32_e32 v41, v41
	v_fmac_f32_e32 v44, 0x32a5705f, v13
	v_sub_f32_e32 v22, v22, v46
	v_add_f32_e32 v21, v21, v42
	v_exp_f32_e32 v19, v19
	v_cvt_i32_f32_e32 v43, v43
	v_add_f32_e32 v22, v22, v44
	v_exp_f32_e32 v21, v21
	v_cvt_i32_f32_e32 v46, v46
	v_exp_f32_e32 v22, v22
	v_ldexp_f32 v10, v10, v25
	v_cmp_ngt_f32_e32 vcc, s4, v8
	v_ldexp_f32 v18, v18, v35
	v_ldexp_f32 v19, v19, v41
	v_cndmask_b32_e32 v10, 0, v10, vcc
	v_cmp_ngt_f32_e32 vcc, s4, v9
	v_ldexp_f32 v21, v21, v43
	v_ldexp_f32 v22, v22, v46
	v_cndmask_b32_e32 v18, 0, v18, vcc
	v_cmp_ngt_f32_e32 vcc, s4, v11
	v_sub_f32_e32 v14, v16, v6
	v_mul_f32_e32 v23, 0x3fb8aa3b, v14
	v_cndmask_b32_e32 v19, 0, v19, vcc
	v_cmp_ngt_f32_e32 vcc, s4, v12
	v_fma_f32 v47, v14, s5, -v23
	v_rndne_f32_e32 v48, v23
	v_cndmask_b32_e32 v21, 0, v21, vcc
	v_cmp_ngt_f32_e32 vcc, s4, v13
	v_fmac_f32_e32 v47, 0x32a5705f, v14
	v_sub_f32_e32 v23, v23, v48
	v_cndmask_b32_e32 v22, 0, v22, vcc
	v_cmp_nlt_f32_e32 vcc, s2, v8
	v_add_f32_e32 v23, v23, v47
	v_cvt_i32_f32_e32 v48, v48
	v_cndmask_b32_e32 v8, v17, v10, vcc
	v_cmp_nlt_f32_e32 vcc, s2, v9
	v_exp_f32_e32 v23, v23
	s_nop 0
	v_cndmask_b32_e32 v10, v17, v18, vcc
	v_cmp_nlt_f32_e32 vcc, s2, v11
	v_cvt_f16_f32_e32 v18, v8
	v_ldexp_f32 v23, v23, v48
	v_cndmask_b32_e32 v9, v17, v19, vcc
	v_cvt_f16_f32_e32 v19, v9
	v_cmp_nlt_f32_e32 vcc, s2, v12
	s_nop 1
	v_cndmask_b32_e32 v11, v17, v21, vcc
	v_cmp_nlt_f32_e32 vcc, s2, v13
	v_mul_u32_u24_e32 v13, 0x10001, v18
	v_mul_u32_u24_e32 v18, 0x10001, v19
	v_max_f32_e32 v19, v15, v15
	v_max_f32_e32 v7, v19, v7
	v_sub_f32_e32 v15, v15, v7
	v_mul_f32_e32 v19, 0x3fb8aa3b, v15
	v_cndmask_b32_e32 v12, v17, v22, vcc
	v_fma_f32 v21, v15, s5, -v19
	v_rndne_f32_e32 v22, v19
	v_fmac_f32_e32 v21, 0x32a5705f, v15
	v_sub_f32_e32 v19, v19, v22
	v_pk_mul_f16 v39, v39, v18
	v_cvt_f16_f32_e32 v18, v12
	v_add_f32_e32 v19, v19, v21
	v_exp_f32_e32 v19, v19
	v_cvt_i32_f32_e32 v21, v22
	v_cmp_ngt_f32_e32 vcc, s4, v14
	v_pk_mul_f16 v40, v40, v13
	v_sub_f32_e32 v16, v16, v7
	v_cndmask_b32_e32 v13, 0, v23, vcc
	v_cmp_nlt_f32_e32 vcc, s2, v14
	v_pk_fma_f32 v[2:3], v[2:3], v[8:9], v[10:11]
	s_nop 0
	v_cndmask_b32_e32 v14, v17, v13, vcc
	v_mul_u32_u24_e32 v13, 0x10001, v18
	v_mul_f32_e32 v18, 0x3fb8aa3b, v16
	v_pk_mul_f16 v38, v38, v13
	v_ldexp_f32 v13, v19, v21
	v_fma_f32 v19, v16, s5, -v18
	v_rndne_f32_e32 v21, v18
	v_fmac_f32_e32 v19, 0x32a5705f, v16
	v_sub_f32_e32 v18, v18, v21
	v_add_f32_e32 v18, v18, v19
	v_exp_f32_e32 v18, v18
	v_cvt_i32_f32_e32 v19, v21
	v_cmp_ngt_f32_e32 vcc, s4, v15
	s_nop 1
	v_cndmask_b32_e32 v13, 0, v13, vcc
	v_cmp_nlt_f32_e32 vcc, s2, v15
	v_ldexp_f32 v15, v18, v19
	s_nop 0
	v_cndmask_b32_e32 v13, v17, v13, vcc
	v_cvt_f16_f32_e32 v18, v13
	v_cmp_ngt_f32_e32 vcc, s4, v16
	v_mul_u32_u24_e32 v8, 0x10001, v18
	s_nop 0
	v_cndmask_b32_e32 v15, 0, v15, vcc
	v_cmp_nlt_f32_e32 vcc, s2, v16
	v_pk_mul_f16 v37, v37, v8
	s_nop 0
	v_cndmask_b32_e32 v15, v17, v15, vcc
	v_pk_fma_f32 v[0:1], v[0:1], v[12:13], v[14:15]
	v_mov_b64_e32 v[14:15], v[6:7]
	v_mov_b64_e32 v[12:13], v[4:5]
.LBB56_73:
	v_cmp_gt_i32_e32 vcc, s26, v33
	s_and_saveexec_b64 s[4:5], vcc
	s_cbranch_execz .LBB56_93
; %bb.74:
	s_load_dword s2, s[0:1], 0xd4
	v_mov_b32_e32 v4, 1.0
	s_waitcnt lgkmcnt(0)
	s_cmp_lg_u32 s2, 1
	s_cselect_b64 s[0:1], -1, 0
	s_cmp_eq_u32 s2, 1
	s_cselect_b64 s[6:7], -1, 0
	s_and_b64 vcc, exec, s[0:1]
	s_cbranch_vccnz .LBB56_76
; %bb.75:
	v_div_scale_f32 v4, s[4:5], v2, v2, 1.0
	v_rcp_f32_e32 v5, v4
	v_div_scale_f32 v6, vcc, 1.0, v2, 1.0
	v_fma_f32 v7, -v4, v5, 1.0
	v_fmac_f32_e32 v5, v7, v5
	v_mul_f32_e32 v7, v6, v5
	v_fma_f32 v8, -v4, v7, v6
	v_fmac_f32_e32 v7, v8, v5
	v_fma_f32 v4, -v4, v7, v6
	v_div_fmas_f32 v4, v4, v5, v7
	v_div_fixup_f32 v4, v4, v2, 1.0
.LBB56_76:
	s_mul_i32 s8, s33, s26
	s_add_i32 s8, s8, s29
	v_add_u32_e32 v5, s8, v31
	v_mul_lo_u32 v5, v5, s27
	v_add_u32_e32 v5, s34, v5
	v_cvt_f32_f16_sdwa v9, v40 dst_sel:DWORD dst_unused:UNUSED_PAD src0_sel:WORD_1
	v_cvt_f32_f16_e32 v8, v40
	v_mul_lo_u32 v5, s2, v5
	v_add_u32_e32 v6, s3, v5
	v_cmp_eq_u32_e32 vcc, 0, v20
	v_lshl_add_u32 v10, v6, 6, v45
	v_mov_b32_e32 v11, 0
	v_lshl_add_u64 v[10:11], v[10:11], 2, s[20:21]
	v_pk_mul_f32 v[4:5], v[4:5], v[8:9] op_sel_hi:[0,1]
	s_and_b64 s[4:5], vcc, s[0:1]
	global_store_dwordx2 v[10:11], v[4:5], off
	s_and_saveexec_b64 s[0:1], s[4:5]
	s_cbranch_execz .LBB56_78
; %bb.77:
	v_ashrrev_i32_e32 v7, 31, v6
	v_lshl_add_u64 v[4:5], v[6:7], 3, s[22:23]
	v_mov_b32_e32 v6, v12
	v_mov_b32_e32 v7, v2
	global_store_dwordx2 v[4:5], v[6:7], off
.LBB56_78:
	s_or_b64 exec, exec, s[0:1]
	v_cmp_gt_i32_e32 vcc, s26, v32
	s_and_b64 exec, exec, vcc
	s_cbranch_execz .LBB56_93
; %bb.79:
	v_cndmask_b32_e64 v2, 0, 1, s[6:7]
	v_cmp_ne_u32_e64 s[0:1], 1, v2
	s_andn2_b64 vcc, exec, s[6:7]
	v_mov_b32_e32 v2, 1.0
	s_cbranch_vccnz .LBB56_81
; %bb.80:
	v_div_scale_f32 v2, s[6:7], v3, v3, 1.0
	v_rcp_f32_e32 v4, v2
	v_div_scale_f32 v5, vcc, 1.0, v3, 1.0
	v_fma_f32 v6, -v2, v4, 1.0
	v_fmac_f32_e32 v4, v6, v4
	v_mul_f32_e32 v6, v5, v4
	v_fma_f32 v7, -v2, v6, v5
	v_fmac_f32_e32 v6, v7, v4
	v_fma_f32 v2, -v2, v6, v5
	v_div_fmas_f32 v2, v2, v4, v6
	v_div_fixup_f32 v2, v2, v3, 1.0
.LBB56_81:
	v_add_u32_e32 v4, s8, v30
	v_mul_lo_u32 v4, v4, s27
	v_add_u32_e32 v4, s34, v4
	v_cvt_f32_f16_sdwa v7, v39 dst_sel:DWORD dst_unused:UNUSED_PAD src0_sel:WORD_1
	v_cvt_f32_f16_e32 v6, v39
	v_mul_lo_u32 v4, s2, v4
	v_add_u32_e32 v4, s3, v4
	v_lshl_add_u32 v8, v4, 6, v45
	v_mov_b32_e32 v9, 0
	v_lshl_add_u64 v[8:9], v[8:9], 2, s[20:21]
	v_pk_mul_f32 v[6:7], v[2:3], v[6:7] op_sel_hi:[0,1]
	global_store_dwordx2 v[8:9], v[6:7], off
	s_and_saveexec_b64 s[6:7], s[4:5]
	s_cbranch_execz .LBB56_83
; %bb.82:
	v_ashrrev_i32_e32 v5, 31, v4
	v_lshl_add_u64 v[4:5], v[4:5], 3, s[22:23]
	v_mov_b32_e32 v2, v13
	global_store_dwordx2 v[4:5], v[2:3], off
.LBB56_83:
	s_or_b64 exec, exec, s[6:7]
	v_cmp_gt_i32_e32 vcc, s26, v29
	s_and_b64 exec, exec, vcc
	s_cbranch_execz .LBB56_93
; %bb.84:
	s_and_b64 vcc, exec, s[0:1]
	v_mov_b32_e32 v2, 1.0
	s_cbranch_vccnz .LBB56_86
; %bb.85:
	v_div_scale_f32 v2, s[6:7], v0, v0, 1.0
	v_rcp_f32_e32 v3, v2
	v_div_scale_f32 v4, vcc, 1.0, v0, 1.0
	v_fma_f32 v5, -v2, v3, 1.0
	v_fmac_f32_e32 v3, v5, v3
	v_mul_f32_e32 v5, v4, v3
	v_fma_f32 v6, -v2, v5, v4
	v_fmac_f32_e32 v5, v6, v3
	v_fma_f32 v2, -v2, v5, v4
	v_div_fmas_f32 v2, v2, v3, v5
	v_div_fixup_f32 v2, v2, v0, 1.0
.LBB56_86:
	v_add_u32_e32 v3, s8, v28
	v_mul_lo_u32 v3, v3, s27
	v_add_u32_e32 v3, s34, v3
	v_cvt_f32_f16_sdwa v7, v38 dst_sel:DWORD dst_unused:UNUSED_PAD src0_sel:WORD_1
	v_cvt_f32_f16_e32 v6, v38
	v_mul_lo_u32 v3, s2, v3
	v_add_u32_e32 v4, s3, v3
	v_lshl_add_u32 v8, v4, 6, v45
	v_mov_b32_e32 v9, 0
	v_lshl_add_u64 v[8:9], v[8:9], 2, s[20:21]
	v_pk_mul_f32 v[2:3], v[2:3], v[6:7] op_sel_hi:[0,1]
	global_store_dwordx2 v[8:9], v[2:3], off
	s_and_saveexec_b64 s[6:7], s[4:5]
	s_cbranch_execz .LBB56_88
; %bb.87:
	v_ashrrev_i32_e32 v5, 31, v4
	v_lshl_add_u64 v[2:3], v[4:5], 3, s[22:23]
	v_mov_b32_e32 v4, v14
	v_mov_b32_e32 v5, v0
	global_store_dwordx2 v[2:3], v[4:5], off
.LBB56_88:
	s_or_b64 exec, exec, s[6:7]
	v_cmp_gt_i32_e32 vcc, s26, v27
	s_and_b64 exec, exec, vcc
	s_cbranch_execz .LBB56_93
; %bb.89:
	s_and_b64 vcc, exec, s[0:1]
	v_mov_b32_e32 v0, 1.0
	s_cbranch_vccnz .LBB56_91
; %bb.90:
	v_div_scale_f32 v0, s[0:1], v1, v1, 1.0
	v_rcp_f32_e32 v2, v0
	v_div_scale_f32 v3, vcc, 1.0, v1, 1.0
	v_fma_f32 v4, -v0, v2, 1.0
	v_fmac_f32_e32 v2, v4, v2
	v_mul_f32_e32 v4, v3, v2
	v_fma_f32 v5, -v0, v4, v3
	v_fmac_f32_e32 v4, v5, v2
	v_fma_f32 v0, -v0, v4, v3
	v_div_fmas_f32 v0, v0, v2, v4
	v_div_fixup_f32 v0, v0, v1, 1.0
.LBB56_91:
	v_add_u32_e32 v2, s8, v26
	v_mul_lo_u32 v2, v2, s27
	v_add_u32_e32 v2, s34, v2
	v_cvt_f32_f16_sdwa v5, v37 dst_sel:DWORD dst_unused:UNUSED_PAD src0_sel:WORD_1
	v_cvt_f32_f16_e32 v4, v37
	v_mul_lo_u32 v2, s2, v2
	v_add_u32_e32 v2, s3, v2
	v_lshl_add_u32 v6, v2, 6, v45
	v_mov_b32_e32 v7, 0
	v_lshl_add_u64 v[6:7], v[6:7], 2, s[20:21]
	v_pk_mul_f32 v[4:5], v[0:1], v[4:5] op_sel_hi:[0,1]
	global_store_dwordx2 v[6:7], v[4:5], off
	s_and_b64 exec, exec, s[4:5]
	s_cbranch_execz .LBB56_93
; %bb.92:
	v_ashrrev_i32_e32 v3, 31, v2
	v_lshl_add_u64 v[2:3], v[2:3], 3, s[22:23]
	v_mov_b32_e32 v0, v15
	global_store_dwordx2 v[2:3], v[0:1], off
.LBB56_93:
	s_endpgm
	.section	.rodata,"a",@progbits
	.p2align	6, 0x0
	.amdhsa_kernel _ZL15flash_attn_tileILi64ELi64ELi32ELi1ELb0EEvPKcS1_S1_S1_S1_PKiPfP15HIP_vector_typeIfLj2EEffffjfiS5_IjLj3EEiiiiiiiiiiiliiliiiiil
		.amdhsa_group_segment_fixed_size 17408
		.amdhsa_private_segment_fixed_size 32
		.amdhsa_kernarg_size 464
		.amdhsa_user_sgpr_count 2
		.amdhsa_user_sgpr_dispatch_ptr 0
		.amdhsa_user_sgpr_queue_ptr 0
		.amdhsa_user_sgpr_kernarg_segment_ptr 1
		.amdhsa_user_sgpr_dispatch_id 0
		.amdhsa_user_sgpr_kernarg_preload_length 0
		.amdhsa_user_sgpr_kernarg_preload_offset 0
		.amdhsa_user_sgpr_private_segment_size 0
		.amdhsa_uses_dynamic_stack 0
		.amdhsa_enable_private_segment 1
		.amdhsa_system_sgpr_workgroup_id_x 1
		.amdhsa_system_sgpr_workgroup_id_y 1
		.amdhsa_system_sgpr_workgroup_id_z 1
		.amdhsa_system_sgpr_workgroup_info 0
		.amdhsa_system_vgpr_workitem_id 1
		.amdhsa_next_free_vgpr 88
		.amdhsa_next_free_sgpr 48
		.amdhsa_accum_offset 88
		.amdhsa_reserve_vcc 1
		.amdhsa_float_round_mode_32 0
		.amdhsa_float_round_mode_16_64 0
		.amdhsa_float_denorm_mode_32 3
		.amdhsa_float_denorm_mode_16_64 3
		.amdhsa_dx10_clamp 1
		.amdhsa_ieee_mode 1
		.amdhsa_fp16_overflow 0
		.amdhsa_tg_split 0
		.amdhsa_exception_fp_ieee_invalid_op 0
		.amdhsa_exception_fp_denorm_src 0
		.amdhsa_exception_fp_ieee_div_zero 0
		.amdhsa_exception_fp_ieee_overflow 0
		.amdhsa_exception_fp_ieee_underflow 0
		.amdhsa_exception_fp_ieee_inexact 0
		.amdhsa_exception_int_div_zero 0
	.end_amdhsa_kernel
	.section	.text._ZL15flash_attn_tileILi64ELi64ELi32ELi1ELb0EEvPKcS1_S1_S1_S1_PKiPfP15HIP_vector_typeIfLj2EEffffjfiS5_IjLj3EEiiiiiiiiiiiliiliiiiil,"axG",@progbits,_ZL15flash_attn_tileILi64ELi64ELi32ELi1ELb0EEvPKcS1_S1_S1_S1_PKiPfP15HIP_vector_typeIfLj2EEffffjfiS5_IjLj3EEiiiiiiiiiiiliiliiiiil,comdat
.Lfunc_end56:
	.size	_ZL15flash_attn_tileILi64ELi64ELi32ELi1ELb0EEvPKcS1_S1_S1_S1_PKiPfP15HIP_vector_typeIfLj2EEffffjfiS5_IjLj3EEiiiiiiiiiiiliiliiiiil, .Lfunc_end56-_ZL15flash_attn_tileILi64ELi64ELi32ELi1ELb0EEvPKcS1_S1_S1_S1_PKiPfP15HIP_vector_typeIfLj2EEffffjfiS5_IjLj3EEiiiiiiiiiiiliiliiiiil
                                        ; -- End function
	.set _ZL15flash_attn_tileILi64ELi64ELi32ELi1ELb0EEvPKcS1_S1_S1_S1_PKiPfP15HIP_vector_typeIfLj2EEffffjfiS5_IjLj3EEiiiiiiiiiiiliiliiiiil.num_vgpr, 88
	.set _ZL15flash_attn_tileILi64ELi64ELi32ELi1ELb0EEvPKcS1_S1_S1_S1_PKiPfP15HIP_vector_typeIfLj2EEffffjfiS5_IjLj3EEiiiiiiiiiiiliiliiiiil.num_agpr, 0
	.set _ZL15flash_attn_tileILi64ELi64ELi32ELi1ELb0EEvPKcS1_S1_S1_S1_PKiPfP15HIP_vector_typeIfLj2EEffffjfiS5_IjLj3EEiiiiiiiiiiiliiliiiiil.numbered_sgpr, 48
	.set _ZL15flash_attn_tileILi64ELi64ELi32ELi1ELb0EEvPKcS1_S1_S1_S1_PKiPfP15HIP_vector_typeIfLj2EEffffjfiS5_IjLj3EEiiiiiiiiiiiliiliiiiil.num_named_barrier, 0
	.set _ZL15flash_attn_tileILi64ELi64ELi32ELi1ELb0EEvPKcS1_S1_S1_S1_PKiPfP15HIP_vector_typeIfLj2EEffffjfiS5_IjLj3EEiiiiiiiiiiiliiliiiiil.private_seg_size, 32
	.set _ZL15flash_attn_tileILi64ELi64ELi32ELi1ELb0EEvPKcS1_S1_S1_S1_PKiPfP15HIP_vector_typeIfLj2EEffffjfiS5_IjLj3EEiiiiiiiiiiiliiliiiiil.uses_vcc, 1
	.set _ZL15flash_attn_tileILi64ELi64ELi32ELi1ELb0EEvPKcS1_S1_S1_S1_PKiPfP15HIP_vector_typeIfLj2EEffffjfiS5_IjLj3EEiiiiiiiiiiiliiliiiiil.uses_flat_scratch, 0
	.set _ZL15flash_attn_tileILi64ELi64ELi32ELi1ELb0EEvPKcS1_S1_S1_S1_PKiPfP15HIP_vector_typeIfLj2EEffffjfiS5_IjLj3EEiiiiiiiiiiiliiliiiiil.has_dyn_sized_stack, 0
	.set _ZL15flash_attn_tileILi64ELi64ELi32ELi1ELb0EEvPKcS1_S1_S1_S1_PKiPfP15HIP_vector_typeIfLj2EEffffjfiS5_IjLj3EEiiiiiiiiiiiliiliiiiil.has_recursion, 0
	.set _ZL15flash_attn_tileILi64ELi64ELi32ELi1ELb0EEvPKcS1_S1_S1_S1_PKiPfP15HIP_vector_typeIfLj2EEffffjfiS5_IjLj3EEiiiiiiiiiiiliiliiiiil.has_indirect_call, 0
	.section	.AMDGPU.csdata,"",@progbits
; Kernel info:
; codeLenInByte = 31180
; TotalNumSgprs: 54
; NumVgprs: 88
; NumAgprs: 0
; TotalNumVgprs: 88
; ScratchSize: 32
; MemoryBound: 0
; FloatMode: 240
; IeeeMode: 1
; LDSByteSize: 17408 bytes/workgroup (compile time only)
; SGPRBlocks: 6
; VGPRBlocks: 10
; NumSGPRsForWavesPerEU: 54
; NumVGPRsForWavesPerEU: 88
; AccumOffset: 88
; Occupancy: 5
; WaveLimiterHint : 1
; COMPUTE_PGM_RSRC2:SCRATCH_EN: 1
; COMPUTE_PGM_RSRC2:USER_SGPR: 2
; COMPUTE_PGM_RSRC2:TRAP_HANDLER: 0
; COMPUTE_PGM_RSRC2:TGID_X_EN: 1
; COMPUTE_PGM_RSRC2:TGID_Y_EN: 1
; COMPUTE_PGM_RSRC2:TGID_Z_EN: 1
; COMPUTE_PGM_RSRC2:TIDIG_COMP_CNT: 1
; COMPUTE_PGM_RSRC3_GFX90A:ACCUM_OFFSET: 21
; COMPUTE_PGM_RSRC3_GFX90A:TG_SPLIT: 0
	.section	.text._ZL33flash_attn_stream_k_fixup_uniformILi64ELi32ELi1EEvPfPK15HIP_vector_typeIfLj2EEiiiiiiS1_IjLj3EES5_S5_,"axG",@progbits,_ZL33flash_attn_stream_k_fixup_uniformILi64ELi32ELi1EEvPfPK15HIP_vector_typeIfLj2EEiiiiiiS1_IjLj3EES5_S5_,comdat
	.globl	_ZL33flash_attn_stream_k_fixup_uniformILi64ELi32ELi1EEvPfPK15HIP_vector_typeIfLj2EEiiiiiiS1_IjLj3EES5_S5_ ; -- Begin function _ZL33flash_attn_stream_k_fixup_uniformILi64ELi32ELi1EEvPfPK15HIP_vector_typeIfLj2EEiiiiiiS1_IjLj3EES5_S5_
	.p2align	8
	.type	_ZL33flash_attn_stream_k_fixup_uniformILi64ELi32ELi1EEvPfPK15HIP_vector_typeIfLj2EEiiiiiiS1_IjLj3EES5_S5_,@function
_ZL33flash_attn_stream_k_fixup_uniformILi64ELi32ELi1EEvPfPK15HIP_vector_typeIfLj2EEiiiiiiS1_IjLj3EES5_S5_: ; @_ZL33flash_attn_stream_k_fixup_uniformILi64ELi32ELi1EEvPfPK15HIP_vector_typeIfLj2EEiiiiiiS1_IjLj3EES5_S5_
; %bb.0:
	s_load_dwordx8 s[8:15], s[0:1], 0x1c
	s_load_dwordx2 s[6:7], s[0:1], 0x10
	s_load_dwordx4 s[20:23], s[0:1], 0x3c
	s_waitcnt lgkmcnt(0)
	s_mul_hi_u32 s5, s11, s2
	s_add_i32 s5, s2, s5
	s_lshr_b32 s5, s5, s12
	s_mul_i32 s11, s5, s13
	s_sub_i32 s11, s2, s11
	s_mul_hi_u32 s12, s11, s14
	s_add_i32 s12, s11, s12
	s_lshr_b32 s16, s12, s15
	s_mul_i32 s12, s16, s20
	s_sub_i32 s12, s11, s12
	;; [unrolled: 5-line block ×3, first 2 shown]
	s_lshl_b32 s12, s17, 5
	s_add_i32 s12, s12, s3
	s_cmp_lt_i32 s12, s6
	s_cselect_b64 s[12:13], -1, 0
	s_add_i32 s14, s11, s4
	s_cmp_lt_i32 s14, s9
	s_cselect_b64 s[14:15], -1, 0
	s_and_b64 s[12:13], s[12:13], s[14:15]
	s_andn2_b64 vcc, exec, s[12:13]
	s_cbranch_vccnz .LBB57_6
; %bb.1:
	s_load_dwordx4 s[12:15], s[0:1], 0x0
	s_mul_i32 s0, s5, s6
	s_add_i32 s0, s0, s3
	s_mul_i32 s0, s0, s7
	s_mul_i32 s16, s16, s9
	s_add_i32 s0, s0, s4
	s_add_i32 s0, s0, s16
	s_mul_i32 s1, s7, s17
	s_add_i32 s0, s0, s11
	s_lshl_b32 s1, s1, 11
	s_lshl_b32 s0, s0, 6
	s_add_i32 s1, s1, s0
	v_or_b32_e32 v4, s1, v0
	s_waitcnt lgkmcnt(0)
	v_mov_b32_e32 v2, s12
	v_mov_b32_e32 v3, s13
	v_ashrrev_i32_e32 v5, 31, v4
	v_lshl_add_u64 v[2:3], v[4:5], 2, v[2:3]
	global_load_dword v5, v[2:3], off
	s_mul_i32 s6, s10, s2
	s_add_i32 s7, s6, s10
	s_add_i32 s3, s3, s4
	s_lshl_b32 s0, s7, 5
	s_add_i32 s0, s3, s0
	s_sub_i32 s0, s0, 32
	s_ashr_i32 s1, s0, 31
	s_lshl_b64 s[0:1], s[0:1], 3
	s_add_u32 s0, s14, s0
	s_addc_u32 s1, s15, s1
	s_load_dword s9, s[0:1], 0x4
	s_add_i32 s4, s7, -2
	s_cmp_lt_i32 s4, s6
	s_cbranch_scc1 .LBB57_4
; %bb.2:
	s_lshl_b32 s4, s8, 7
	s_ashr_i32 s5, s4, 31
	s_lshl_b64 s[4:5], s[4:5], 2
	s_add_u32 s4, s14, s4
	s_addc_u32 s5, s15, s5
	s_add_i32 s2, s2, 1
	s_mul_i32 s2, s10, s2
	s_load_dword s0, s[0:1], 0x0
	s_lshl_b32 s1, s3, 6
	s_lshl_b32 s10, s2, 11
	s_add_i32 s1, s1, s10
	v_or_b32_e32 v0, s1, v0
	s_lshl_b32 s1, s2, 5
	s_add_i32 s1, s3, s1
	s_lshl_b32 s2, s8, 5
	s_add_i32 s1, s1, s2
	s_add_i32 s7, s7, -1
	v_add_u32_e32 v0, 0xfffff000, v0
	s_sub_i32 s2, s1, 64
	s_waitcnt lgkmcnt(0)
	v_mov_b32_e32 v7, s0
	v_mov_b32_e32 v4, s9
	s_mov_b32 s8, 0x3fb8aa3b
	s_mov_b32 s9, 0xc2ce8ed0
	;; [unrolled: 1-line block ×3, first 2 shown]
	v_mov_b32_e32 v6, 0x7f800000
	s_mov_b32 s11, 0xc1a00000
.LBB57_3:                               ; =>This Inner Loop Header: Depth=1
	v_ashrrev_i32_e32 v1, 31, v0
	v_lshl_add_u64 v[8:9], v[0:1], 2, s[4:5]
	global_load_dword v9, v[8:9], off
	s_ashr_i32 s3, s2, 31
	s_lshl_b64 s[0:1], s[2:3], 3
	s_add_u32 s0, s14, s0
	s_addc_u32 s1, s15, s1
	s_load_dwordx2 s[0:1], s[0:1], 0x0
	v_max_f32_e32 v1, v7, v7
	s_add_i32 s7, s7, -1
	s_sub_i32 s2, s2, 32
	v_add_u32_e32 v0, 0xfffff800, v0
	s_waitcnt lgkmcnt(0)
	v_max_f32_e64 v10, s0, s0
	v_max_f32_e32 v1, v1, v10
	v_sub_f32_e32 v11, s0, v1
	v_sub_f32_e32 v10, v7, v1
	v_mul_f32_e32 v12, 0x3fb8aa3b, v11
	v_mov_b32_e32 v7, v1
	v_mul_f32_e32 v1, 0x3fb8aa3b, v10
	v_fma_f32 v15, v11, s8, -v12
	v_rndne_f32_e32 v16, v12
	v_fma_f32 v13, v10, s8, -v1
	v_rndne_f32_e32 v14, v1
	v_fmac_f32_e32 v15, 0x32a5705f, v11
	v_sub_f32_e32 v12, v12, v16
	v_fmac_f32_e32 v13, 0x32a5705f, v10
	v_sub_f32_e32 v1, v1, v14
	v_add_f32_e32 v12, v12, v15
	v_cvt_i32_f32_e32 v16, v16
	v_add_f32_e32 v1, v1, v13
	v_exp_f32_e32 v12, v12
	v_cvt_i32_f32_e32 v14, v14
	v_exp_f32_e32 v1, v1
	v_cmp_ngt_f32_e32 vcc, s9, v11
	v_ldexp_f32 v12, v12, v16
	v_mov_b32_e32 v8, s1
	v_ldexp_f32 v1, v1, v14
	v_cmp_ngt_f32_e64 s[0:1], s9, v10
	v_cndmask_b32_e32 v12, 0, v12, vcc
	v_cmp_nlt_f32_e32 vcc, s10, v11
	v_cndmask_b32_e64 v1, 0, v1, s[0:1]
	v_cmp_nlt_f32_e64 s[0:1], s10, v10
	v_cndmask_b32_e32 v12, v6, v12, vcc
	v_cmp_le_f32_e32 vcc, s11, v11
	v_cndmask_b32_e64 v1, v6, v1, s[0:1]
	v_cmp_le_f32_e64 s[0:1], s11, v10
	v_cndmask_b32_e32 v12, 0, v12, vcc
	s_cmp_le_i32 s7, s6
	v_cndmask_b32_e64 v10, 0, v1, s[0:1]
	s_waitcnt vmcnt(0)
	v_pk_mul_f32 v[8:9], v[8:9], v[12:13] op_sel_hi:[1,0]
	s_nop 0
	v_pk_fma_f32 v[4:5], v[4:5], v[10:11], v[8:9] op_sel_hi:[1,0,1]
	s_cbranch_scc0 .LBB57_3
	s_branch .LBB57_5
.LBB57_4:
	s_waitcnt lgkmcnt(0)
	v_mov_b32_e32 v4, s9
.LBB57_5:
	s_waitcnt vmcnt(0)
	v_div_scale_f32 v0, s[0:1], v4, v4, v5
	v_rcp_f32_e32 v1, v0
	v_div_scale_f32 v6, vcc, v5, v4, v5
	v_fma_f32 v7, -v0, v1, 1.0
	v_fmac_f32_e32 v1, v7, v1
	v_mul_f32_e32 v7, v6, v1
	v_fma_f32 v8, -v0, v7, v6
	v_fmac_f32_e32 v7, v8, v1
	v_fma_f32 v0, -v0, v7, v6
	v_div_fmas_f32 v0, v0, v1, v7
	v_div_fixup_f32 v0, v0, v4, v5
	global_store_dword v[2:3], v0, off
.LBB57_6:
	s_endpgm
	.section	.rodata,"a",@progbits
	.p2align	6, 0x0
	.amdhsa_kernel _ZL33flash_attn_stream_k_fixup_uniformILi64ELi32ELi1EEvPfPK15HIP_vector_typeIfLj2EEiiiiiiS1_IjLj3EES5_S5_
		.amdhsa_group_segment_fixed_size 0
		.amdhsa_private_segment_fixed_size 0
		.amdhsa_kernarg_size 76
		.amdhsa_user_sgpr_count 2
		.amdhsa_user_sgpr_dispatch_ptr 0
		.amdhsa_user_sgpr_queue_ptr 0
		.amdhsa_user_sgpr_kernarg_segment_ptr 1
		.amdhsa_user_sgpr_dispatch_id 0
		.amdhsa_user_sgpr_kernarg_preload_length 0
		.amdhsa_user_sgpr_kernarg_preload_offset 0
		.amdhsa_user_sgpr_private_segment_size 0
		.amdhsa_uses_dynamic_stack 0
		.amdhsa_enable_private_segment 0
		.amdhsa_system_sgpr_workgroup_id_x 1
		.amdhsa_system_sgpr_workgroup_id_y 1
		.amdhsa_system_sgpr_workgroup_id_z 1
		.amdhsa_system_sgpr_workgroup_info 0
		.amdhsa_system_vgpr_workitem_id 0
		.amdhsa_next_free_vgpr 17
		.amdhsa_next_free_sgpr 24
		.amdhsa_accum_offset 20
		.amdhsa_reserve_vcc 1
		.amdhsa_float_round_mode_32 0
		.amdhsa_float_round_mode_16_64 0
		.amdhsa_float_denorm_mode_32 3
		.amdhsa_float_denorm_mode_16_64 3
		.amdhsa_dx10_clamp 1
		.amdhsa_ieee_mode 1
		.amdhsa_fp16_overflow 0
		.amdhsa_tg_split 0
		.amdhsa_exception_fp_ieee_invalid_op 0
		.amdhsa_exception_fp_denorm_src 0
		.amdhsa_exception_fp_ieee_div_zero 0
		.amdhsa_exception_fp_ieee_overflow 0
		.amdhsa_exception_fp_ieee_underflow 0
		.amdhsa_exception_fp_ieee_inexact 0
		.amdhsa_exception_int_div_zero 0
	.end_amdhsa_kernel
	.section	.text._ZL33flash_attn_stream_k_fixup_uniformILi64ELi32ELi1EEvPfPK15HIP_vector_typeIfLj2EEiiiiiiS1_IjLj3EES5_S5_,"axG",@progbits,_ZL33flash_attn_stream_k_fixup_uniformILi64ELi32ELi1EEvPfPK15HIP_vector_typeIfLj2EEiiiiiiS1_IjLj3EES5_S5_,comdat
.Lfunc_end57:
	.size	_ZL33flash_attn_stream_k_fixup_uniformILi64ELi32ELi1EEvPfPK15HIP_vector_typeIfLj2EEiiiiiiS1_IjLj3EES5_S5_, .Lfunc_end57-_ZL33flash_attn_stream_k_fixup_uniformILi64ELi32ELi1EEvPfPK15HIP_vector_typeIfLj2EEiiiiiiS1_IjLj3EES5_S5_
                                        ; -- End function
	.set _ZL33flash_attn_stream_k_fixup_uniformILi64ELi32ELi1EEvPfPK15HIP_vector_typeIfLj2EEiiiiiiS1_IjLj3EES5_S5_.num_vgpr, 17
	.set _ZL33flash_attn_stream_k_fixup_uniformILi64ELi32ELi1EEvPfPK15HIP_vector_typeIfLj2EEiiiiiiS1_IjLj3EES5_S5_.num_agpr, 0
	.set _ZL33flash_attn_stream_k_fixup_uniformILi64ELi32ELi1EEvPfPK15HIP_vector_typeIfLj2EEiiiiiiS1_IjLj3EES5_S5_.numbered_sgpr, 24
	.set _ZL33flash_attn_stream_k_fixup_uniformILi64ELi32ELi1EEvPfPK15HIP_vector_typeIfLj2EEiiiiiiS1_IjLj3EES5_S5_.num_named_barrier, 0
	.set _ZL33flash_attn_stream_k_fixup_uniformILi64ELi32ELi1EEvPfPK15HIP_vector_typeIfLj2EEiiiiiiS1_IjLj3EES5_S5_.private_seg_size, 0
	.set _ZL33flash_attn_stream_k_fixup_uniformILi64ELi32ELi1EEvPfPK15HIP_vector_typeIfLj2EEiiiiiiS1_IjLj3EES5_S5_.uses_vcc, 1
	.set _ZL33flash_attn_stream_k_fixup_uniformILi64ELi32ELi1EEvPfPK15HIP_vector_typeIfLj2EEiiiiiiS1_IjLj3EES5_S5_.uses_flat_scratch, 0
	.set _ZL33flash_attn_stream_k_fixup_uniformILi64ELi32ELi1EEvPfPK15HIP_vector_typeIfLj2EEiiiiiiS1_IjLj3EES5_S5_.has_dyn_sized_stack, 0
	.set _ZL33flash_attn_stream_k_fixup_uniformILi64ELi32ELi1EEvPfPK15HIP_vector_typeIfLj2EEiiiiiiS1_IjLj3EES5_S5_.has_recursion, 0
	.set _ZL33flash_attn_stream_k_fixup_uniformILi64ELi32ELi1EEvPfPK15HIP_vector_typeIfLj2EEiiiiiiS1_IjLj3EES5_S5_.has_indirect_call, 0
	.section	.AMDGPU.csdata,"",@progbits
; Kernel info:
; codeLenInByte = 816
; TotalNumSgprs: 30
; NumVgprs: 17
; NumAgprs: 0
; TotalNumVgprs: 17
; ScratchSize: 0
; MemoryBound: 0
; FloatMode: 240
; IeeeMode: 1
; LDSByteSize: 0 bytes/workgroup (compile time only)
; SGPRBlocks: 3
; VGPRBlocks: 2
; NumSGPRsForWavesPerEU: 30
; NumVGPRsForWavesPerEU: 17
; AccumOffset: 20
; Occupancy: 8
; WaveLimiterHint : 0
; COMPUTE_PGM_RSRC2:SCRATCH_EN: 0
; COMPUTE_PGM_RSRC2:USER_SGPR: 2
; COMPUTE_PGM_RSRC2:TRAP_HANDLER: 0
; COMPUTE_PGM_RSRC2:TGID_X_EN: 1
; COMPUTE_PGM_RSRC2:TGID_Y_EN: 1
; COMPUTE_PGM_RSRC2:TGID_Z_EN: 1
; COMPUTE_PGM_RSRC2:TIDIG_COMP_CNT: 0
; COMPUTE_PGM_RSRC3_GFX90A:ACCUM_OFFSET: 4
; COMPUTE_PGM_RSRC3_GFX90A:TG_SPLIT: 0
	.section	.text._ZL33flash_attn_stream_k_fixup_generalILi64ELi32ELi1EEvPfPK15HIP_vector_typeIfLj2EEiiiiS1_IjLj3EES5_S5_S5_,"axG",@progbits,_ZL33flash_attn_stream_k_fixup_generalILi64ELi32ELi1EEvPfPK15HIP_vector_typeIfLj2EEiiiiS1_IjLj3EES5_S5_S5_,comdat
	.globl	_ZL33flash_attn_stream_k_fixup_generalILi64ELi32ELi1EEvPfPK15HIP_vector_typeIfLj2EEiiiiS1_IjLj3EES5_S5_S5_ ; -- Begin function _ZL33flash_attn_stream_k_fixup_generalILi64ELi32ELi1EEvPfPK15HIP_vector_typeIfLj2EEiiiiS1_IjLj3EES5_S5_S5_
	.p2align	8
	.type	_ZL33flash_attn_stream_k_fixup_generalILi64ELi32ELi1EEvPfPK15HIP_vector_typeIfLj2EEiiiiS1_IjLj3EES5_S5_S5_,@function
_ZL33flash_attn_stream_k_fixup_generalILi64ELi32ELi1EEvPfPK15HIP_vector_typeIfLj2EEiiiiS1_IjLj3EES5_S5_S5_: ; @_ZL33flash_attn_stream_k_fixup_generalILi64ELi32ELi1EEvPfPK15HIP_vector_typeIfLj2EEiiiiS1_IjLj3EES5_S5_S5_
; %bb.0:
	s_load_dwordx4 s[8:11], s[0:1], 0x10
	s_load_dword s22, s[0:1], 0x50
	s_mov_b32 s12, 0
	s_waitcnt lgkmcnt(0)
	s_mul_hi_i32 s13, s11, s2
	s_cmp_lg_u64 s[12:13], 0
	s_mul_i32 s5, s11, s2
	s_cbranch_scc0 .LBB58_20
; %bb.1:
	s_add_u32 s6, s22, 0
	s_addc_u32 s7, 0, 0
	s_xor_b64 s[6:7], s[6:7], 0
	v_cvt_f32_u32_e32 v1, s6
	v_cvt_f32_u32_e32 v2, s7
	s_sub_u32 s12, 0, s6
	s_subb_u32 s18, 0, s7
	v_fmamk_f32 v1, v2, 0x4f800000, v1
	v_rcp_f32_e32 v1, v1
	s_nop 0
	v_mul_f32_e32 v1, 0x5f7ffffc, v1
	v_mul_f32_e32 v2, 0x2f800000, v1
	v_trunc_f32_e32 v2, v2
	v_fmamk_f32 v1, v2, 0xcf800000, v1
	v_cvt_u32_f32_e32 v2, v2
	v_cvt_u32_f32_e32 v1, v1
	v_readfirstlane_b32 s19, v2
	v_readfirstlane_b32 s14, v1
	s_mul_i32 s15, s12, s19
	s_mul_hi_u32 s21, s12, s14
	s_mul_i32 s20, s18, s14
	s_add_i32 s15, s21, s15
	s_add_i32 s15, s15, s20
	s_mul_i32 s23, s12, s14
	s_mul_i32 s21, s14, s15
	s_mul_hi_u32 s24, s14, s23
	s_mul_hi_u32 s20, s14, s15
	s_add_u32 s21, s24, s21
	s_addc_u32 s20, 0, s20
	s_mul_hi_u32 s25, s19, s23
	s_mul_i32 s23, s19, s23
	s_add_u32 s21, s21, s23
	s_mul_hi_u32 s24, s19, s15
	s_addc_u32 s20, s20, s25
	s_addc_u32 s21, s24, 0
	s_mul_i32 s15, s19, s15
	s_add_u32 s15, s20, s15
	s_addc_u32 s20, 0, s21
	s_add_u32 s21, s14, s15
	s_cselect_b64 s[14:15], -1, 0
	s_cmp_lg_u64 s[14:15], 0
	s_addc_u32 s19, s19, s20
	s_mul_i32 s14, s12, s19
	s_mul_hi_u32 s15, s12, s21
	s_add_i32 s14, s15, s14
	s_mul_i32 s18, s18, s21
	s_add_i32 s14, s14, s18
	s_mul_i32 s12, s12, s21
	s_mul_hi_u32 s18, s19, s12
	s_mul_i32 s20, s19, s12
	s_mul_i32 s24, s21, s14
	s_mul_hi_u32 s12, s21, s12
	s_mul_hi_u32 s23, s21, s14
	s_add_u32 s12, s12, s24
	s_addc_u32 s23, 0, s23
	s_add_u32 s12, s12, s20
	s_mul_hi_u32 s15, s19, s14
	s_addc_u32 s12, s23, s18
	s_addc_u32 s15, s15, 0
	s_mul_i32 s14, s19, s14
	s_add_u32 s12, s12, s14
	s_addc_u32 s18, 0, s15
	s_add_u32 s20, s21, s12
	s_cselect_b64 s[14:15], -1, 0
	s_cmp_lg_u64 s[14:15], 0
	s_addc_u32 s18, s19, s18
	s_ashr_i32 s14, s13, 31
	s_add_u32 s12, s5, s14
	s_mov_b32 s15, s14
	s_addc_u32 s13, s13, s14
	s_xor_b64 s[12:13], s[12:13], s[14:15]
	s_mul_i32 s21, s12, s18
	s_mul_hi_u32 s23, s12, s20
	s_mul_hi_u32 s19, s12, s18
	s_add_u32 s21, s23, s21
	s_addc_u32 s19, 0, s19
	s_mul_hi_u32 s24, s13, s20
	s_mul_i32 s20, s13, s20
	s_add_u32 s20, s21, s20
	s_mul_hi_u32 s23, s13, s18
	s_addc_u32 s19, s19, s24
	s_addc_u32 s20, s23, 0
	s_mul_i32 s18, s13, s18
	s_add_u32 s23, s19, s18
	s_addc_u32 s24, 0, s20
	s_mul_i32 s18, s6, s24
	s_mul_hi_u32 s19, s6, s23
	s_add_i32 s18, s19, s18
	s_mul_i32 s19, s7, s23
	s_add_i32 s25, s18, s19
	s_sub_i32 s20, s13, s25
	s_mul_i32 s18, s6, s23
	s_sub_u32 s12, s12, s18
	s_cselect_b64 s[18:19], -1, 0
	s_cmp_lg_u64 s[18:19], 0
	s_subb_u32 s26, s20, s7
	s_sub_u32 s27, s12, s6
	s_cselect_b64 s[20:21], -1, 0
	s_cmp_lg_u64 s[20:21], 0
	s_subb_u32 s20, s26, 0
	s_cmp_ge_u32 s20, s7
	s_cselect_b32 s21, -1, 0
	s_cmp_ge_u32 s27, s6
	s_cselect_b32 s26, -1, 0
	s_cmp_eq_u32 s20, s7
	s_cselect_b32 s20, s26, s21
	s_add_u32 s21, s23, 1
	s_addc_u32 s26, s24, 0
	s_add_u32 s27, s23, 2
	s_addc_u32 s28, s24, 0
	s_cmp_lg_u32 s20, 0
	s_cselect_b32 s20, s27, s21
	s_cselect_b32 s21, s28, s26
	s_cmp_lg_u64 s[18:19], 0
	s_subb_u32 s13, s13, s25
	s_cmp_ge_u32 s13, s7
	s_cselect_b32 s18, -1, 0
	s_cmp_ge_u32 s12, s6
	s_cselect_b32 s6, -1, 0
	s_cmp_eq_u32 s13, s7
	s_cselect_b32 s6, s6, s18
	s_cmp_lg_u32 s6, 0
	s_cselect_b32 s7, s21, s24
	s_cselect_b32 s6, s20, s23
	s_xor_b64 s[12:13], s[14:15], 0
	s_xor_b64 s[6:7], s[6:7], s[12:13]
	s_sub_u32 s6, s6, s12
	s_load_dwordx4 s[12:15], s[0:1], 0x44
	s_cbranch_execnz .LBB58_3
.LBB58_2:
	v_cvt_f32_u32_e32 v1, s22
	s_sub_i32 s6, 0, s22
	v_rcp_iflag_f32_e32 v1, v1
	s_nop 0
	v_mul_f32_e32 v1, 0x4f7ffffe, v1
	v_cvt_u32_f32_e32 v1, v1
	s_nop 0
	v_readfirstlane_b32 s7, v1
	s_mul_i32 s6, s6, s7
	s_mul_hi_u32 s6, s7, s6
	s_add_i32 s7, s7, s6
	s_mul_hi_u32 s6, s5, s7
	s_waitcnt lgkmcnt(0)
	s_mul_i32 s15, s6, s22
	s_sub_i32 s5, s5, s15
	s_add_i32 s7, s6, 1
	s_sub_i32 s15, s5, s22
	s_cmp_ge_u32 s5, s22
	s_cselect_b32 s6, s7, s6
	s_cselect_b32 s5, s15, s5
	s_add_i32 s7, s6, 1
	s_cmp_ge_u32 s5, s22
	s_cselect_b32 s6, s7, s6
.LBB58_3:
	s_add_i32 s5, s2, 1
	s_mul_hi_i32 s21, s11, s5
	s_mov_b32 s20, 0
	s_cmp_lg_u64 s[20:21], 0
	s_mul_i32 s5, s11, s5
	s_cbranch_scc0 .LBB58_21
; %bb.4:
	s_add_u32 s16, s22, 0
	s_addc_u32 s17, 0, 0
	s_xor_b64 s[18:19], s[16:17], 0
	v_cvt_f32_u32_e32 v1, s18
	v_cvt_f32_u32_e32 v2, s19
	s_sub_u32 s7, 0, s18
	s_waitcnt lgkmcnt(0)
	s_subb_u32 s15, 0, s19
	v_fmamk_f32 v1, v2, 0x4f800000, v1
	v_rcp_f32_e32 v1, v1
	s_nop 0
	v_mul_f32_e32 v1, 0x5f7ffffc, v1
	v_mul_f32_e32 v2, 0x2f800000, v1
	v_trunc_f32_e32 v2, v2
	v_fmamk_f32 v1, v2, 0xcf800000, v1
	v_cvt_u32_f32_e32 v2, v2
	v_cvt_u32_f32_e32 v1, v1
	v_readfirstlane_b32 s20, v2
	v_readfirstlane_b32 s23, v1
	s_mul_i32 s24, s7, s20
	s_mul_hi_u32 s26, s7, s23
	s_mul_i32 s25, s15, s23
	s_add_i32 s24, s26, s24
	s_add_i32 s24, s24, s25
	s_mul_i32 s27, s7, s23
	s_mul_i32 s26, s23, s24
	s_mul_hi_u32 s28, s23, s27
	s_mul_hi_u32 s25, s23, s24
	s_add_u32 s26, s28, s26
	s_addc_u32 s25, 0, s25
	s_mul_hi_u32 s29, s20, s27
	s_mul_i32 s27, s20, s27
	s_add_u32 s26, s26, s27
	s_mul_hi_u32 s28, s20, s24
	s_addc_u32 s25, s25, s29
	s_addc_u32 s26, s28, 0
	s_mul_i32 s24, s20, s24
	s_add_u32 s24, s25, s24
	s_addc_u32 s26, 0, s26
	s_add_u32 s23, s23, s24
	s_cselect_b64 s[24:25], -1, 0
	s_cmp_lg_u64 s[24:25], 0
	s_addc_u32 s20, s20, s26
	s_mul_i32 s24, s7, s20
	s_mul_hi_u32 s25, s7, s23
	s_add_i32 s24, s25, s24
	s_mul_i32 s15, s15, s23
	s_add_i32 s24, s24, s15
	s_mul_i32 s7, s7, s23
	s_mul_hi_u32 s25, s20, s7
	s_mul_i32 s26, s20, s7
	s_mul_i32 s28, s23, s24
	s_mul_hi_u32 s7, s23, s7
	s_mul_hi_u32 s27, s23, s24
	s_add_u32 s7, s7, s28
	s_addc_u32 s27, 0, s27
	s_add_u32 s7, s7, s26
	s_mul_hi_u32 s15, s20, s24
	s_addc_u32 s7, s27, s25
	s_addc_u32 s15, s15, 0
	s_mul_i32 s24, s20, s24
	s_add_u32 s7, s7, s24
	s_addc_u32 s15, 0, s15
	s_add_u32 s7, s23, s7
	s_cselect_b64 s[24:25], -1, 0
	s_cmp_lg_u64 s[24:25], 0
	s_addc_u32 s15, s20, s15
	s_ashr_i32 s24, s21, 31
	s_add_u32 s20, s5, s24
	s_mov_b32 s25, s24
	s_addc_u32 s21, s21, s24
	s_xor_b64 s[20:21], s[20:21], s[24:25]
	s_mul_i32 s26, s20, s15
	s_mul_hi_u32 s27, s20, s7
	s_mul_hi_u32 s23, s20, s15
	s_add_u32 s26, s27, s26
	s_addc_u32 s23, 0, s23
	s_mul_hi_u32 s28, s21, s7
	s_mul_i32 s7, s21, s7
	s_add_u32 s7, s26, s7
	s_mul_hi_u32 s27, s21, s15
	s_addc_u32 s7, s23, s28
	s_addc_u32 s23, s27, 0
	s_mul_i32 s15, s21, s15
	s_add_u32 s7, s7, s15
	s_addc_u32 s15, 0, s23
	s_mul_i32 s23, s18, s15
	s_mul_hi_u32 s26, s18, s7
	s_add_i32 s23, s26, s23
	s_mul_i32 s26, s19, s7
	s_add_i32 s23, s23, s26
	s_sub_i32 s28, s21, s23
	s_mul_i32 s26, s18, s7
	s_sub_u32 s20, s20, s26
	s_cselect_b64 s[26:27], -1, 0
	s_cmp_lg_u64 s[26:27], 0
	s_subb_u32 s30, s28, s19
	s_sub_u32 s31, s20, s18
	s_cselect_b64 s[28:29], -1, 0
	s_cmp_lg_u64 s[28:29], 0
	s_subb_u32 s28, s30, 0
	s_cmp_ge_u32 s28, s19
	s_cselect_b32 s29, -1, 0
	s_cmp_ge_u32 s31, s18
	s_cselect_b32 s30, -1, 0
	s_cmp_eq_u32 s28, s19
	s_cselect_b32 s28, s30, s29
	s_add_u32 s29, s7, 1
	s_addc_u32 s30, s15, 0
	s_add_u32 s31, s7, 2
	s_addc_u32 s33, s15, 0
	s_cmp_lg_u32 s28, 0
	s_cselect_b32 s28, s31, s29
	s_cselect_b32 s29, s33, s30
	s_cmp_lg_u64 s[26:27], 0
	s_subb_u32 s21, s21, s23
	s_cmp_ge_u32 s21, s19
	s_cselect_b32 s23, -1, 0
	s_cmp_ge_u32 s20, s18
	s_cselect_b32 s18, -1, 0
	s_cmp_eq_u32 s21, s19
	s_cselect_b32 s18, s18, s23
	s_cmp_lg_u32 s18, 0
	s_cselect_b32 s19, s29, s15
	s_cselect_b32 s18, s28, s7
	s_xor_b64 s[20:21], s[24:25], 0
	s_xor_b64 s[18:19], s[18:19], s[20:21]
	s_sub_u32 s18, s18, s20
	s_cbranch_execnz .LBB58_6
.LBB58_5:
	v_cvt_f32_u32_e32 v1, s22
	s_sub_i32 s7, 0, s22
	v_rcp_iflag_f32_e32 v1, v1
	s_nop 0
	v_mul_f32_e32 v1, 0x4f7ffffe, v1
	v_cvt_u32_f32_e32 v1, v1
	s_waitcnt lgkmcnt(0)
	v_readfirstlane_b32 s15, v1
	s_mul_i32 s7, s7, s15
	s_mul_hi_u32 s7, s15, s7
	s_add_i32 s15, s15, s7
	s_mul_hi_u32 s7, s5, s15
	s_mul_i32 s16, s7, s22
	s_sub_i32 s5, s5, s16
	s_add_i32 s15, s7, 1
	s_sub_i32 s16, s5, s22
	s_cmp_ge_u32 s5, s22
	s_cselect_b32 s7, s15, s7
	s_cselect_b32 s5, s16, s5
	s_add_i32 s15, s7, 1
	s_cmp_ge_u32 s5, s22
	s_cselect_b32 s18, s15, s7
.LBB58_6:
	s_cmp_eq_u32 s6, s18
	s_waitcnt lgkmcnt(0)
	s_mul_hi_u32 s5, s6, s12
	s_cselect_b64 s[16:17], -1, 0
	s_add_i32 s5, s5, s6
	s_lshr_b32 s7, s5, s13
	s_mul_i32 s5, s7, s14
	s_cmp_eq_u32 s5, s6
	s_mul_hi_u32 s5, s18, s12
	s_cselect_b64 s[20:21], -1, 0
	s_add_i32 s5, s5, s18
	s_lshr_b32 s5, s5, s13
	s_cmp_eq_u32 s7, s5
	s_mul_i32 s5, s5, s14
	s_cselect_b64 s[24:25], -1, 0
	s_cmp_lg_u32 s5, s18
	s_cselect_b64 s[18:19], -1, 0
	s_and_b64 s[18:19], s[24:25], s[18:19]
	s_or_b64 s[16:17], s[16:17], s[20:21]
	s_or_b64 s[16:17], s[16:17], s[18:19]
	s_and_b64 vcc, exec, s[16:17]
	s_cbranch_vccnz .LBB58_23
; %bb.7:
	s_load_dwordx8 s[24:31], s[0:1], 0x20
	s_load_dword s15, s[0:1], 0x40
	s_waitcnt lgkmcnt(0)
	s_mul_hi_u32 s5, s6, s24
	s_add_i32 s5, s5, s6
	s_lshr_b32 s5, s5, s25
	s_mul_i32 s16, s5, s26
	s_sub_i32 s16, s6, s16
	s_mul_hi_u32 s17, s16, s27
	s_add_i32 s17, s16, s17
	s_lshr_b32 s21, s17, s28
	s_mul_i32 s17, s21, s29
	s_sub_i32 s16, s16, s17
	;; [unrolled: 5-line block ×3, first 2 shown]
	s_mul_hi_u32 s16, s15, s12
	s_add_i32 s15, s15, s16
	s_lshr_b32 s23, s15, s13
	s_lshl_b32 s15, s23, 5
	s_add_i32 s15, s15, s3
	s_cmp_lt_i32 s15, s8
	s_cselect_b64 s[16:17], -1, 0
	s_add_i32 s15, s20, s4
	s_cmp_lt_i32 s15, s10
	s_cselect_b64 s[18:19], -1, 0
	s_and_b64 s[16:17], s[16:17], s[18:19]
	s_andn2_b64 vcc, exec, s[16:17]
	s_cbranch_vccnz .LBB58_23
; %bb.8:
	s_load_dwordx4 s[16:19], s[0:1], 0x0
	s_mov_b32 s0, 0
	s_lshl_b32 s24, s22, 7
	s_mov_b32 s25, s0
	s_add_i32 s15, s3, s4
	s_waitcnt lgkmcnt(0)
	v_mov_b32_e32 v2, s16
	v_mov_b32_e32 v3, s17
	s_lshl_b64 s[16:17], s[24:25], 2
	s_add_u32 s16, s18, s16
	s_mul_i32 s1, s5, s8
	s_addc_u32 s17, s19, s17
	s_add_i32 s1, s1, s3
	s_mul_i32 s1, s1, s9
	s_mul_i32 s21, s21, s10
	s_add_i32 s1, s1, s4
	s_add_i32 s1, s1, s21
	s_mul_i32 s5, s9, s23
	s_add_i32 s1, s1, s20
	s_lshl_b32 s5, s5, 11
	s_lshl_b32 s1, s1, 6
	s_add_i32 s5, s5, s1
	v_or_b32_e32 v4, s5, v0
	v_ashrrev_i32_e32 v5, 31, v4
	v_lshl_add_u64 v[2:3], v[4:5], 2, v[2:3]
	global_load_dword v1, v[2:3], off
	v_cvt_f32_u32_e32 v4, s22
	s_lshl_b32 s1, s2, 5
	s_add_i32 s4, s1, s15
	s_ashr_i32 s5, s4, 31
	s_lshl_b64 s[4:5], s[4:5], 3
	v_rcp_iflag_f32_e32 v4, v4
	s_add_u32 s4, s18, s4
	s_addc_u32 s5, s19, s5
	s_load_dwordx2 s[4:5], s[4:5], 0x0
	v_mul_f32_e32 v4, 0x4f7ffffe, v4
	v_cvt_u32_f32_e32 v7, v4
	s_add_i32 s24, s2, -1
	v_lshl_or_b32 v6, s15, 6, v0
	s_waitcnt lgkmcnt(0)
	v_mov_b32_e32 v0, s5
	v_mov_b32_e32 v9, s4
	s_mov_b32 s10, 0x3fb8aa3b
	s_mov_b32 s20, 0xc2ce8ed0
	;; [unrolled: 1-line block ×4, first 2 shown]
	v_mov_b32_e32 v8, 0x7f800000
	s_mul_hi_i32 s1, s24, s11
	s_cmp_lg_u64 s[0:1], 0
	s_mul_i32 s8, s24, s11
	s_cbranch_scc0 .LBB58_19
.LBB58_9:
	s_add_u32 s2, s22, 0
	s_addc_u32 s3, 0, 0
	s_xor_b64 s[2:3], s[2:3], 0
	v_cvt_f32_u32_e32 v4, s2
	v_cvt_f32_u32_e32 v5, s3
	s_sub_u32 s9, 0, s2
	s_subb_u32 s25, 0, s3
	v_fmac_f32_e32 v4, 0x4f800000, v5
	v_rcp_f32_e32 v4, v4
	s_nop 0
	v_mul_f32_e32 v4, 0x5f7ffffc, v4
	v_mul_f32_e32 v5, 0x2f800000, v4
	v_trunc_f32_e32 v5, v5
	v_fmac_f32_e32 v4, 0xcf800000, v5
	v_cvt_u32_f32_e32 v5, v5
	v_cvt_u32_f32_e32 v4, v4
	v_readfirstlane_b32 s26, v5
	v_readfirstlane_b32 s4, v4
	s_mul_i32 s5, s9, s26
	s_mul_hi_u32 s28, s9, s4
	s_mul_i32 s27, s25, s4
	s_add_i32 s5, s28, s5
	s_mul_i32 s29, s9, s4
	s_add_i32 s5, s5, s27
	s_mul_i32 s28, s4, s5
	s_mul_hi_u32 s30, s4, s29
	s_mul_hi_u32 s27, s4, s5
	s_add_u32 s28, s30, s28
	s_addc_u32 s27, 0, s27
	s_mul_hi_u32 s31, s26, s29
	s_mul_i32 s29, s26, s29
	s_add_u32 s28, s28, s29
	s_mul_hi_u32 s30, s26, s5
	s_addc_u32 s27, s27, s31
	s_addc_u32 s28, s30, 0
	s_mul_i32 s5, s26, s5
	s_add_u32 s5, s27, s5
	s_addc_u32 s27, 0, s28
	s_add_u32 s28, s4, s5
	s_cselect_b64 s[4:5], -1, 0
	s_cmp_lg_u64 s[4:5], 0
	s_addc_u32 s26, s26, s27
	s_mul_i32 s4, s9, s26
	s_mul_hi_u32 s5, s9, s28
	s_add_i32 s4, s5, s4
	s_mul_i32 s25, s25, s28
	s_add_i32 s4, s4, s25
	s_mul_i32 s9, s9, s28
	s_mul_hi_u32 s25, s26, s9
	s_mul_i32 s27, s26, s9
	s_mul_i32 s30, s28, s4
	s_mul_hi_u32 s9, s28, s9
	s_mul_hi_u32 s29, s28, s4
	s_add_u32 s9, s9, s30
	s_addc_u32 s29, 0, s29
	s_add_u32 s9, s9, s27
	s_mul_hi_u32 s5, s26, s4
	s_addc_u32 s9, s29, s25
	s_addc_u32 s5, s5, 0
	s_mul_i32 s4, s26, s4
	s_add_u32 s4, s9, s4
	s_addc_u32 s9, 0, s5
	s_add_u32 s25, s28, s4
	s_cselect_b64 s[4:5], -1, 0
	s_cmp_lg_u64 s[4:5], 0
	s_addc_u32 s9, s26, s9
	s_ashr_i32 s4, s1, 31
	s_add_u32 s26, s8, s4
	s_mov_b32 s5, s4
	s_addc_u32 s27, s1, s4
	s_xor_b64 s[26:27], s[26:27], s[4:5]
	s_mul_i32 s28, s26, s9
	s_mul_hi_u32 s29, s26, s25
	s_mul_hi_u32 s1, s26, s9
	s_add_u32 s28, s29, s28
	s_addc_u32 s1, 0, s1
	s_mul_hi_u32 s30, s27, s25
	s_mul_i32 s25, s27, s25
	s_add_u32 s25, s28, s25
	s_mul_hi_u32 s29, s27, s9
	s_addc_u32 s1, s1, s30
	s_addc_u32 s25, s29, 0
	s_mul_i32 s9, s27, s9
	s_add_u32 s1, s1, s9
	s_addc_u32 s9, 0, s25
	s_mul_i32 s25, s2, s9
	s_mul_hi_u32 s28, s2, s1
	s_add_i32 s25, s28, s25
	s_mul_i32 s28, s3, s1
	s_add_i32 s25, s25, s28
	s_sub_i32 s30, s27, s25
	s_mul_i32 s28, s2, s1
	s_sub_u32 s26, s26, s28
	s_cselect_b64 s[28:29], -1, 0
	s_cmp_lg_u64 s[28:29], 0
	s_subb_u32 s33, s30, s3
	s_sub_u32 s34, s26, s2
	s_cselect_b64 s[30:31], -1, 0
	s_cmp_lg_u64 s[30:31], 0
	s_subb_u32 s30, s33, 0
	s_cmp_ge_u32 s30, s3
	s_cselect_b32 s31, -1, 0
	s_cmp_ge_u32 s34, s2
	s_cselect_b32 s33, -1, 0
	s_cmp_eq_u32 s30, s3
	s_cselect_b32 s30, s33, s31
	s_add_u32 s31, s1, 1
	s_addc_u32 s33, s9, 0
	s_add_u32 s34, s1, 2
	s_addc_u32 s35, s9, 0
	s_cmp_lg_u32 s30, 0
	s_cselect_b32 s30, s34, s31
	s_cselect_b32 s31, s35, s33
	s_cmp_lg_u64 s[28:29], 0
	s_subb_u32 s25, s27, s25
	s_cmp_ge_u32 s25, s3
	s_cselect_b32 s27, -1, 0
	s_cmp_ge_u32 s26, s2
	s_cselect_b32 s2, -1, 0
	s_cmp_eq_u32 s25, s3
	s_cselect_b32 s2, s2, s27
	s_cmp_lg_u32 s2, 0
	s_cselect_b32 s3, s31, s9
	s_cselect_b32 s2, s30, s1
	s_xor_b64 s[4:5], s[4:5], 0
	s_xor_b64 s[2:3], s[2:3], s[4:5]
	s_sub_u32 s4, s2, s4
	s_cbranch_execnz .LBB58_11
.LBB58_10:
	s_sub_i32 s1, 0, s22
	v_readfirstlane_b32 s2, v7
	s_mul_i32 s1, s1, s2
	s_mul_hi_u32 s1, s2, s1
	s_add_i32 s2, s2, s1
	s_mul_hi_u32 s1, s8, s2
	s_mul_i32 s3, s1, s22
	s_sub_i32 s3, s8, s3
	s_add_i32 s2, s1, 1
	s_sub_i32 s4, s3, s22
	s_cmp_ge_u32 s3, s22
	s_cselect_b32 s1, s2, s1
	s_cselect_b32 s3, s4, s3
	s_add_i32 s2, s1, 1
	s_cmp_ge_u32 s3, s22
	s_cselect_b32 s4, s2, s1
.LBB58_11:
	s_cmp_lg_u32 s6, s4
	s_cbranch_scc0 .LBB58_15
; %bb.12:
	s_add_i32 s1, s24, s22
	s_lshl_b32 s1, s1, 5
	s_add_i32 s2, s1, s15
	s_mov_b32 s3, s0
	s_lshl_b64 s[2:3], s[2:3], 3
	s_add_u32 s8, s18, s2
	s_mul_hi_u32 s1, s4, s12
	s_addc_u32 s9, s19, s3
	s_add_i32 s1, s1, s4
	s_lshr_b32 s1, s1, s13
	s_mul_i32 s2, s1, s14
	s_cmp_eq_u32 s2, s4
	s_cselect_b64 s[2:3], -1, 0
	s_cmp_lt_u32 s1, s7
	s_cselect_b64 s[26:27], -1, 0
	s_or_b64 s[26:27], s[26:27], s[2:3]
	s_mov_b64 s[2:3], -1
	s_and_b64 vcc, exec, s[26:27]
	s_mov_b32 s1, s24
	s_mov_b32 s25, s6
	s_cbranch_vccnz .LBB58_14
; %bb.13:
	s_add_i32 s1, s24, -1
	s_mov_b64 s[2:3], 0
	s_mov_b32 s25, s4
.LBB58_14:
	v_lshl_add_u32 v4, s24, 11, v6
	v_ashrrev_i32_e32 v5, 31, v4
	v_lshl_add_u64 v[4:5], v[4:5], 2, s[16:17]
	global_load_dword v5, v[4:5], off
	s_load_dwordx2 s[4:5], s[8:9], 0x0
	v_max_f32_e32 v4, v9, v9
	s_waitcnt lgkmcnt(0)
	v_max_f32_e64 v10, s4, s4
	v_max_f32_e32 v10, v4, v10
	v_sub_f32_e32 v11, v9, v10
	v_sub_f32_e32 v13, s4, v10
	v_mul_f32_e32 v4, 0x3fb8aa3b, v11
	v_mul_f32_e32 v12, 0x3fb8aa3b, v13
	v_fma_f32 v14, v11, s10, -v4
	v_rndne_f32_e32 v15, v4
	v_fma_f32 v16, v13, s10, -v12
	v_rndne_f32_e32 v17, v12
	v_fmac_f32_e32 v14, 0x32a5705f, v11
	v_sub_f32_e32 v4, v4, v15
	v_fmac_f32_e32 v16, 0x32a5705f, v13
	v_sub_f32_e32 v12, v12, v17
	v_add_f32_e32 v4, v4, v14
	v_cvt_i32_f32_e32 v15, v15
	v_add_f32_e32 v12, v12, v16
	v_exp_f32_e32 v14, v4
	v_cvt_i32_f32_e32 v17, v17
	v_exp_f32_e32 v12, v12
	v_cmp_ngt_f32_e32 vcc, s20, v11
	v_ldexp_f32 v14, v14, v15
	v_mov_b32_e32 v4, s5
	v_ldexp_f32 v12, v12, v17
	v_cndmask_b32_e32 v14, 0, v14, vcc
	v_cmp_ngt_f32_e32 vcc, s20, v13
	s_nop 1
	v_cndmask_b32_e32 v12, 0, v12, vcc
	v_cmp_nlt_f32_e32 vcc, s21, v11
	s_nop 1
	v_cndmask_b32_e32 v14, v8, v14, vcc
	v_cmp_nlt_f32_e32 vcc, s21, v13
	s_nop 1
	v_cndmask_b32_e32 v15, v8, v12, vcc
	v_cmp_le_f32_e32 vcc, s23, v11
	s_nop 1
	v_cndmask_b32_e32 v12, 0, v14, vcc
	v_cmp_le_f32_e32 vcc, s23, v13
	s_nop 1
	v_cndmask_b32_e32 v14, 0, v15, vcc
	s_waitcnt vmcnt(0)
	v_pk_mul_f32 v[4:5], v[4:5], v[14:15] op_sel_hi:[1,0]
	s_nop 0
	v_pk_fma_f32 v[4:5], v[0:1], v[12:13], v[4:5] op_sel_hi:[1,0,1]
	s_cbranch_execz .LBB58_16
	s_branch .LBB58_17
.LBB58_15:
                                        ; implicit-def: $vgpr4_vgpr5
                                        ; implicit-def: $sgpr2_sgpr3
                                        ; implicit-def: $vgpr10
                                        ; implicit-def: $sgpr1
                                        ; implicit-def: $sgpr25
.LBB58_16:
	s_add_i32 s1, s24, -1
	s_mov_b64 s[2:3], 0
	s_mov_b32 s25, s6
	v_mov_b32_e32 v10, v9
	s_waitcnt vmcnt(0)
	v_mov_b64_e32 v[4:5], v[0:1]
.LBB58_17:
	s_andn2_b64 vcc, exec, s[2:3]
	s_cbranch_vccz .LBB58_22
; %bb.18:
	s_mov_b32 s6, s25
	s_mov_b32 s24, s1
	v_mov_b32_e32 v9, v10
	s_waitcnt vmcnt(0)
	v_mov_b64_e32 v[0:1], v[4:5]
	s_mul_hi_i32 s1, s24, s11
	s_cmp_lg_u64 s[0:1], 0
	s_mul_i32 s8, s24, s11
	s_cbranch_scc1 .LBB58_9
.LBB58_19:
                                        ; implicit-def: $sgpr4_sgpr5
	s_branch .LBB58_10
.LBB58_20:
                                        ; implicit-def: $sgpr6_sgpr7
	s_load_dwordx4 s[12:15], s[0:1], 0x44
	s_branch .LBB58_2
.LBB58_21:
                                        ; implicit-def: $sgpr18_sgpr19
	s_branch .LBB58_5
.LBB58_22:
	v_div_scale_f32 v0, s[0:1], v4, v4, v5
	s_waitcnt vmcnt(0)
	v_rcp_f32_e32 v1, v0
	v_div_scale_f32 v6, vcc, v5, v4, v5
	v_fma_f32 v7, -v0, v1, 1.0
	v_fmac_f32_e32 v1, v7, v1
	v_mul_f32_e32 v7, v6, v1
	v_fma_f32 v8, -v0, v7, v6
	v_fmac_f32_e32 v7, v8, v1
	v_fma_f32 v0, -v0, v7, v6
	v_div_fmas_f32 v0, v0, v1, v7
	v_div_fixup_f32 v0, v0, v4, v5
	global_store_dword v[2:3], v0, off
.LBB58_23:
	s_endpgm
	.section	.rodata,"a",@progbits
	.p2align	6, 0x0
	.amdhsa_kernel _ZL33flash_attn_stream_k_fixup_generalILi64ELi32ELi1EEvPfPK15HIP_vector_typeIfLj2EEiiiiS1_IjLj3EES5_S5_S5_
		.amdhsa_group_segment_fixed_size 0
		.amdhsa_private_segment_fixed_size 0
		.amdhsa_kernarg_size 336
		.amdhsa_user_sgpr_count 2
		.amdhsa_user_sgpr_dispatch_ptr 0
		.amdhsa_user_sgpr_queue_ptr 0
		.amdhsa_user_sgpr_kernarg_segment_ptr 1
		.amdhsa_user_sgpr_dispatch_id 0
		.amdhsa_user_sgpr_kernarg_preload_length 0
		.amdhsa_user_sgpr_kernarg_preload_offset 0
		.amdhsa_user_sgpr_private_segment_size 0
		.amdhsa_uses_dynamic_stack 0
		.amdhsa_enable_private_segment 0
		.amdhsa_system_sgpr_workgroup_id_x 1
		.amdhsa_system_sgpr_workgroup_id_y 1
		.amdhsa_system_sgpr_workgroup_id_z 1
		.amdhsa_system_sgpr_workgroup_info 0
		.amdhsa_system_vgpr_workitem_id 0
		.amdhsa_next_free_vgpr 18
		.amdhsa_next_free_sgpr 36
		.amdhsa_accum_offset 20
		.amdhsa_reserve_vcc 1
		.amdhsa_float_round_mode_32 0
		.amdhsa_float_round_mode_16_64 0
		.amdhsa_float_denorm_mode_32 3
		.amdhsa_float_denorm_mode_16_64 3
		.amdhsa_dx10_clamp 1
		.amdhsa_ieee_mode 1
		.amdhsa_fp16_overflow 0
		.amdhsa_tg_split 0
		.amdhsa_exception_fp_ieee_invalid_op 0
		.amdhsa_exception_fp_denorm_src 0
		.amdhsa_exception_fp_ieee_div_zero 0
		.amdhsa_exception_fp_ieee_overflow 0
		.amdhsa_exception_fp_ieee_underflow 0
		.amdhsa_exception_fp_ieee_inexact 0
		.amdhsa_exception_int_div_zero 0
	.end_amdhsa_kernel
	.section	.text._ZL33flash_attn_stream_k_fixup_generalILi64ELi32ELi1EEvPfPK15HIP_vector_typeIfLj2EEiiiiS1_IjLj3EES5_S5_S5_,"axG",@progbits,_ZL33flash_attn_stream_k_fixup_generalILi64ELi32ELi1EEvPfPK15HIP_vector_typeIfLj2EEiiiiS1_IjLj3EES5_S5_S5_,comdat
.Lfunc_end58:
	.size	_ZL33flash_attn_stream_k_fixup_generalILi64ELi32ELi1EEvPfPK15HIP_vector_typeIfLj2EEiiiiS1_IjLj3EES5_S5_S5_, .Lfunc_end58-_ZL33flash_attn_stream_k_fixup_generalILi64ELi32ELi1EEvPfPK15HIP_vector_typeIfLj2EEiiiiS1_IjLj3EES5_S5_S5_
                                        ; -- End function
	.set _ZL33flash_attn_stream_k_fixup_generalILi64ELi32ELi1EEvPfPK15HIP_vector_typeIfLj2EEiiiiS1_IjLj3EES5_S5_S5_.num_vgpr, 18
	.set _ZL33flash_attn_stream_k_fixup_generalILi64ELi32ELi1EEvPfPK15HIP_vector_typeIfLj2EEiiiiS1_IjLj3EES5_S5_S5_.num_agpr, 0
	.set _ZL33flash_attn_stream_k_fixup_generalILi64ELi32ELi1EEvPfPK15HIP_vector_typeIfLj2EEiiiiS1_IjLj3EES5_S5_S5_.numbered_sgpr, 36
	.set _ZL33flash_attn_stream_k_fixup_generalILi64ELi32ELi1EEvPfPK15HIP_vector_typeIfLj2EEiiiiS1_IjLj3EES5_S5_S5_.num_named_barrier, 0
	.set _ZL33flash_attn_stream_k_fixup_generalILi64ELi32ELi1EEvPfPK15HIP_vector_typeIfLj2EEiiiiS1_IjLj3EES5_S5_S5_.private_seg_size, 0
	.set _ZL33flash_attn_stream_k_fixup_generalILi64ELi32ELi1EEvPfPK15HIP_vector_typeIfLj2EEiiiiS1_IjLj3EES5_S5_S5_.uses_vcc, 1
	.set _ZL33flash_attn_stream_k_fixup_generalILi64ELi32ELi1EEvPfPK15HIP_vector_typeIfLj2EEiiiiS1_IjLj3EES5_S5_S5_.uses_flat_scratch, 0
	.set _ZL33flash_attn_stream_k_fixup_generalILi64ELi32ELi1EEvPfPK15HIP_vector_typeIfLj2EEiiiiS1_IjLj3EES5_S5_S5_.has_dyn_sized_stack, 0
	.set _ZL33flash_attn_stream_k_fixup_generalILi64ELi32ELi1EEvPfPK15HIP_vector_typeIfLj2EEiiiiS1_IjLj3EES5_S5_S5_.has_recursion, 0
	.set _ZL33flash_attn_stream_k_fixup_generalILi64ELi32ELi1EEvPfPK15HIP_vector_typeIfLj2EEiiiiS1_IjLj3EES5_S5_S5_.has_indirect_call, 0
	.section	.AMDGPU.csdata,"",@progbits
; Kernel info:
; codeLenInByte = 2932
; TotalNumSgprs: 42
; NumVgprs: 18
; NumAgprs: 0
; TotalNumVgprs: 18
; ScratchSize: 0
; MemoryBound: 0
; FloatMode: 240
; IeeeMode: 1
; LDSByteSize: 0 bytes/workgroup (compile time only)
; SGPRBlocks: 5
; VGPRBlocks: 2
; NumSGPRsForWavesPerEU: 42
; NumVGPRsForWavesPerEU: 18
; AccumOffset: 20
; Occupancy: 8
; WaveLimiterHint : 0
; COMPUTE_PGM_RSRC2:SCRATCH_EN: 0
; COMPUTE_PGM_RSRC2:USER_SGPR: 2
; COMPUTE_PGM_RSRC2:TRAP_HANDLER: 0
; COMPUTE_PGM_RSRC2:TGID_X_EN: 1
; COMPUTE_PGM_RSRC2:TGID_Y_EN: 1
; COMPUTE_PGM_RSRC2:TGID_Z_EN: 1
; COMPUTE_PGM_RSRC2:TIDIG_COMP_CNT: 0
; COMPUTE_PGM_RSRC3_GFX90A:ACCUM_OFFSET: 4
; COMPUTE_PGM_RSRC3_GFX90A:TG_SPLIT: 0
	.section	.text._ZL15flash_attn_tileILi64ELi64ELi16ELi1ELb0EEvPKcS1_S1_S1_S1_PKiPfP15HIP_vector_typeIfLj2EEffffjfiS5_IjLj3EEiiiiiiiiiiiliiliiiiil,"axG",@progbits,_ZL15flash_attn_tileILi64ELi64ELi16ELi1ELb0EEvPKcS1_S1_S1_S1_PKiPfP15HIP_vector_typeIfLj2EEffffjfiS5_IjLj3EEiiiiiiiiiiiliiliiiiil,comdat
	.globl	_ZL15flash_attn_tileILi64ELi64ELi16ELi1ELb0EEvPKcS1_S1_S1_S1_PKiPfP15HIP_vector_typeIfLj2EEffffjfiS5_IjLj3EEiiiiiiiiiiiliiliiiiil ; -- Begin function _ZL15flash_attn_tileILi64ELi64ELi16ELi1ELb0EEvPKcS1_S1_S1_S1_PKiPfP15HIP_vector_typeIfLj2EEffffjfiS5_IjLj3EEiiiiiiiiiiiliiliiiiil
	.p2align	8
	.type	_ZL15flash_attn_tileILi64ELi64ELi16ELi1ELb0EEvPKcS1_S1_S1_S1_PKiPfP15HIP_vector_typeIfLj2EEffffjfiS5_IjLj3EEiiiiiiiiiiiliiliiiiil,@function
_ZL15flash_attn_tileILi64ELi64ELi16ELi1ELb0EEvPKcS1_S1_S1_S1_PKiPfP15HIP_vector_typeIfLj2EEffffjfiS5_IjLj3EEiiiiiiiiiiiliiliiiiil: ; @_ZL15flash_attn_tileILi64ELi64ELi16ELi1ELb0EEvPKcS1_S1_S1_S1_PKiPfP15HIP_vector_typeIfLj2EEffffjfiS5_IjLj3EEiiiiiiiiiiiliiliiiiil
; %bb.0:
	s_load_dwordx4 s[36:39], s[0:1], 0x5c
	s_load_dwordx2 s[12:13], s[0:1], 0x80
	s_load_dwordx16 s[16:31], s[0:1], 0x0
	s_load_dwordx2 s[14:15], s[0:1], 0xb8
	s_mov_b64 s[40:41], 0
	s_waitcnt lgkmcnt(0)
	v_cvt_f32_u32_e32 v1, s39
	s_sub_i32 s5, 0, s39
	v_rcp_iflag_f32_e32 v1, v1
	s_nop 0
	v_mul_f32_e32 v1, 0x4f7ffffe, v1
	v_cvt_u32_f32_e32 v1, v1
	s_nop 0
	v_readfirstlane_b32 s6, v1
	s_mul_i32 s5, s5, s6
	s_mul_hi_u32 s5, s6, s5
	s_add_i32 s6, s6, s5
	s_mul_hi_u32 s5, s4, s6
	s_mul_i32 s6, s5, s39
	s_sub_i32 s6, s4, s6
	s_add_i32 s7, s5, 1
	s_sub_i32 s8, s6, s39
	s_cmp_ge_u32 s6, s39
	s_cselect_b32 s5, s7, s5
	s_cselect_b32 s6, s8, s6
	s_add_i32 s7, s5, 1
	s_cmp_ge_u32 s6, s39
	s_cselect_b32 s33, s7, s5
	s_abs_i32 s5, s13
	v_cvt_f32_u32_e32 v1, s5
	s_mul_i32 s8, s33, s39
	s_sub_i32 s9, 0, s5
	s_sub_i32 s34, s4, s8
	v_rcp_iflag_f32_e32 v1, v1
	s_abs_i32 s7, s39
	s_xor_b32 s6, s39, s13
	s_ashr_i32 s6, s6, 31
	v_mul_f32_e32 v1, 0x4f7ffffe, v1
	v_cvt_u32_f32_e32 v1, v1
	s_nop 0
	v_readfirstlane_b32 s4, v1
	s_mul_i32 s9, s9, s4
	s_mul_hi_u32 s8, s4, s9
	s_add_i32 s4, s4, s8
	s_mul_hi_u32 s4, s7, s4
	s_mul_i32 s8, s4, s5
	s_sub_i32 s7, s7, s8
	s_add_i32 s9, s4, 1
	s_sub_i32 s8, s7, s5
	s_cmp_ge_u32 s7, s5
	s_cselect_b32 s4, s9, s4
	s_cselect_b32 s7, s8, s7
	s_add_i32 s8, s4, 1
	s_cmp_ge_u32 s7, s5
	s_cselect_b32 s4, s8, s4
	s_xor_b32 s4, s4, s6
	s_sub_i32 s42, s4, s6
	s_abs_i32 s13, s42
	v_cvt_f32_u32_e32 v1, s13
	s_sub_i32 s4, 0, s13
	s_abs_i32 s43, s34
	v_rcp_iflag_f32_e32 v1, v1
	s_nop 0
	v_mul_f32_e32 v1, 0x4f7ffffe, v1
	v_cvt_u32_f32_e32 v1, v1
	s_nop 0
	v_readfirstlane_b32 s5, v1
	s_mul_i32 s4, s4, s5
	s_mul_hi_u32 s4, s5, s4
	s_add_i32 s4, s5, s4
	s_cmp_eq_u64 s[22:23], 0
	s_cbranch_scc1 .LBB59_2
; %bb.1:
	s_abs_i32 s5, s14
	v_cvt_f32_u32_e32 v1, s5
	s_sub_i32 s10, 0, s5
	s_abs_i32 s9, s33
	s_ashr_i32 s8, s33, 31
	v_rcp_iflag_f32_e32 v1, v1
	s_load_dwordx2 s[6:7], s[0:1], 0xc8
	v_mul_f32_e32 v1, 0x4f7ffffe, v1
	v_cvt_u32_f32_e32 v1, v1
	s_nop 0
	v_readfirstlane_b32 s11, v1
	s_mul_i32 s10, s10, s11
	s_mul_hi_u32 s10, s11, s10
	s_add_i32 s11, s11, s10
	s_mul_hi_u32 s10, s9, s11
	s_mul_i32 s10, s10, s5
	s_sub_i32 s9, s9, s10
	s_sub_i32 s10, s9, s5
	s_cmp_ge_u32 s9, s5
	s_cselect_b32 s9, s10, s9
	s_sub_i32 s10, s9, s5
	s_cmp_ge_u32 s9, s5
	s_cselect_b32 s5, s10, s9
	s_xor_b32 s5, s5, s8
	s_sub_i32 s5, s5, s8
	s_ashr_i32 s8, s5, 31
	s_waitcnt lgkmcnt(0)
	s_mul_hi_u32 s9, s6, s5
	s_mul_i32 s8, s6, s8
	s_mul_i32 s7, s7, s5
	s_add_i32 s8, s9, s8
	s_add_i32 s8, s8, s7
	s_mul_i32 s5, s6, s5
	s_add_u32 s40, s22, s5
	s_addc_u32 s41, s23, s8
.LBB59_2:
	s_load_dwordx4 s[8:11], s[0:1], 0x40
	s_mul_hi_u32 s14, s43, s4
	s_load_dword s4, s[0:1], 0x50
	v_mov_b32_e32 v30, 1.0
	s_waitcnt lgkmcnt(0)
	v_cmp_le_f32_e64 s[6:7], s9, 0
	s_and_b64 vcc, exec, s[6:7]
	s_cbranch_vccnz .LBB59_4
; %bb.3:
	v_mov_b32_e32 v1, s4
	v_sub_co_u32_e32 v1, vcc, s34, v1
	v_mov_b32_e32 v2, s11
	v_mov_b32_e32 v3, s10
	s_add_i32 s4, s34, 1
	v_lshlrev_b32_e32 v1, 1, v1
	v_cndmask_b32_e32 v2, v2, v3, vcc
	v_or_b32_e32 v1, 1, v1
	v_mov_b32_e32 v3, s4
	v_cndmask_b32_e32 v1, v1, v3, vcc
	v_cvt_f32_i32_e32 v1, v1
	v_cmp_neq_f32_e32 vcc, 1.0, v2
	s_mov_b32 s4, 0x3f2aaaab
	s_movk_i32 s6, 0x204
	v_cndmask_b32_e32 v1, 1.0, v1, vcc
	v_cmp_neq_f32_e32 vcc, 0, v1
	s_mov_b32 s5, 0x42b17218
	s_mov_b32 s7, 0x3fb8aa3b
	v_cndmask_b32_e32 v18, 1.0, v2, vcc
	v_frexp_mant_f32_e64 v2, |v18|
	v_cmp_gt_f32_e32 vcc, s4, v2
	s_mov_b32 s4, 0x3f317218
	s_brev_b32 s9, -2
	v_cndmask_b32_e64 v3, 1.0, 2.0, vcc
	v_mul_f32_e32 v2, v2, v3
	v_add_f32_e32 v5, 1.0, v2
	v_rcp_f32_e32 v10, v5
	v_add_f32_e32 v3, -1.0, v5
	v_sub_f32_e32 v7, v2, v3
	v_add_f32_e32 v3, -1.0, v2
	v_mul_f32_e32 v11, v3, v10
	v_mul_f32_e32 v4, v5, v11
	v_fma_f32 v6, v11, v5, -v4
	v_fmac_f32_e32 v6, v11, v7
	v_add_f32_e32 v2, v4, v6
	v_sub_f32_e32 v5, v3, v2
	v_pk_add_f32 v[8:9], v[2:3], v[4:5] neg_lo:[0,1] neg_hi:[0,1]
	v_mov_b32_e32 v7, v2
	v_pk_add_f32 v[2:3], v[8:9], v[6:7] neg_lo:[0,1] neg_hi:[0,1]
	v_mov_b32_e32 v6, 0x3e91f4c4
	v_add_f32_e32 v2, v2, v3
	v_add_f32_e32 v2, v5, v2
	v_mul_f32_e32 v3, v10, v2
	v_add_f32_e32 v2, v11, v3
	v_sub_f32_e32 v4, v2, v11
	v_sub_f32_e32 v12, v3, v4
	v_mul_f32_e32 v3, v2, v2
	v_fma_f32 v5, v2, v2, -v3
	v_add_f32_e32 v4, v12, v12
	v_fmac_f32_e32 v5, v2, v4
	v_add_f32_e32 v4, v3, v5
	v_fmac_f32_e32 v6, 0x3e76c4e1, v4
	v_fmaak_f32 v6, v4, v6, 0x3ecccdef
	v_sub_f32_e32 v3, v4, v3
	v_sub_f32_e32 v13, v5, v3
	v_mul_f32_e32 v3, v4, v6
	v_fma_f32 v5, v4, v6, -v3
	v_fmac_f32_e32 v5, v13, v6
	v_add_f32_e32 v6, v3, v5
	v_add_f32_e32 v7, 0x3f2aaaaa, v6
	v_sub_f32_e32 v3, v6, v3
	v_sub_f32_e32 v3, v5, v3
	v_add_f32_e32 v5, 0xbf2aaaaa, v7
	v_add_f32_e32 v3, 0x31739010, v3
	v_sub_f32_e32 v5, v6, v5
	v_pk_mul_f32 v[8:9], v[2:3], v[4:5]
	v_pk_add_f32 v[10:11], v[2:3], v[4:5]
	v_fma_f32 v6, v4, v2, -v8
	v_fmac_f32_e32 v6, v4, v12
	v_mov_b32_e32 v9, v11
	v_fmac_f32_e32 v6, v13, v2
	v_pk_add_f32 v[4:5], v[8:9], v[6:7]
	v_ldexp_f32 v14, v12, 1
	v_sub_f32_e32 v3, v4, v8
	v_sub_f32_e32 v3, v6, v3
	v_sub_f32_e32 v6, v7, v5
	v_add_f32_e32 v9, v11, v6
	v_pk_mul_f32 v[6:7], v[4:5], v[4:5] op_sel:[0,1] op_sel_hi:[1,0]
	v_cvt_f64_f32_e64 v[10:11], |v18|
	v_frexp_exp_i32_f64_e32 v7, v[10:11]
	v_subbrev_co_u32_e32 v7, vcc, 0, v7, vcc
	v_cvt_f32_i32_e32 v7, v7
	v_fma_f32 v8, v4, v5, -v6
	v_fmac_f32_e32 v8, v4, v9
	v_fmac_f32_e32 v8, v3, v5
	v_mul_f32_e32 v4, 0x3f317218, v7
	v_fma_f32 v3, v7, s4, -v4
	v_fmamk_f32 v10, v7, 0xb102e308, v3
	v_ldexp_f32 v11, v2, 1
	v_add_f32_e32 v5, v6, v8
	v_pk_add_f32 v[2:3], v[4:5], v[10:11]
	v_mov_b32_e32 v12, v5
	v_mov_b32_e32 v13, v3
	;; [unrolled: 1-line block ×3, first 2 shown]
	v_pk_add_f32 v[6:7], v[12:13], v[6:7] neg_lo:[0,1] neg_hi:[0,1]
	v_mov_b32_e32 v9, v5
	v_pk_add_f32 v[6:7], v[8:9], v[6:7] neg_lo:[0,1] neg_hi:[0,1]
	v_mov_b32_e32 v11, v2
	v_add_f32_e32 v5, v14, v6
	v_add_f32_e32 v5, v5, v7
	v_pk_add_f32 v[6:7], v[2:3], v[4:5] neg_lo:[0,1] neg_hi:[0,1]
	v_pk_add_f32 v[8:9], v[2:3], v[4:5]
	v_mov_b32_e32 v16, v3
	v_mov_b32_e32 v7, v9
	v_pk_add_f32 v[12:13], v[10:11], v[6:7] neg_lo:[0,1] neg_hi:[0,1]
	v_pk_add_f32 v[6:7], v[10:11], v[6:7]
	v_mov_b32_e32 v4, v5
	v_pk_add_f32 v[10:11], v[6:7], v[2:3] op_sel:[1,0] op_sel_hi:[0,1] neg_lo:[0,1] neg_hi:[0,1]
	v_pk_add_f32 v[14:15], v[8:9], v[10:11] op_sel_hi:[1,0] neg_lo:[0,1] neg_hi:[0,1]
	v_mov_b32_e32 v8, v9
	v_mov_b32_e32 v9, v7
	v_mov_b32_e32 v17, v10
	v_pk_add_f32 v[8:9], v[8:9], v[16:17] neg_lo:[0,1] neg_hi:[0,1]
	v_mov_b32_e32 v5, v2
	v_pk_add_f32 v[2:3], v[4:5], v[8:9] neg_lo:[0,1] neg_hi:[0,1]
	v_mov_b32_e32 v14, v12
	v_pk_add_f32 v[4:5], v[14:15], v[2:3]
	v_mov_b32_e32 v13, v7
	v_pk_add_f32 v[8:9], v[4:5], v[4:5] op_sel:[0,1] op_sel_hi:[1,0]
	s_mov_b32 s4, 0x7f800000
	v_pk_add_f32 v[6:7], v[6:7], v[8:9] op_sel:[1,0] op_sel_hi:[0,1]
	v_mov_b32_e32 v5, v6
	v_pk_add_f32 v[10:11], v[4:5], v[12:13] neg_lo:[0,1] neg_hi:[0,1]
	v_mov_b32_e32 v3, v8
	v_sub_f32_e32 v4, v4, v10
	v_pk_add_f32 v[2:3], v[2:3], v[10:11] neg_lo:[0,1] neg_hi:[0,1]
	v_sub_f32_e32 v4, v12, v4
	v_add_f32_e32 v2, v2, v4
	v_add_f32_e32 v2, v2, v3
	;; [unrolled: 1-line block ×3, first 2 shown]
	v_sub_f32_e32 v4, v3, v6
	v_sub_f32_e32 v2, v2, v4
	v_mul_f32_e32 v4, v1, v3
	v_fma_f32 v3, v1, v3, -v4
	v_fmac_f32_e32 v3, v1, v2
	v_add_f32_e32 v2, v4, v3
	v_cmp_class_f32_e64 vcc, v4, s6
	v_sub_f32_e32 v5, v2, v4
	v_sub_f32_e32 v3, v3, v5
	v_cndmask_b32_e32 v2, v2, v4, vcc
	v_mov_b32_e32 v4, 0x37000000
	v_cmp_eq_f32_e32 vcc, s5, v2
	v_cmp_class_f32_e64 s[10:11], v18, s6
	s_nop 0
	v_cndmask_b32_e32 v4, 0, v4, vcc
	v_sub_f32_e32 v5, v2, v4
	v_mul_f32_e32 v6, 0x3fb8aa3b, v5
	v_fma_f32 v7, v5, s7, -v6
	v_rndne_f32_e32 v8, v6
	v_fmamk_f32 v7, v5, 0x32a5705f, v7
	v_sub_f32_e32 v6, v6, v8
	v_add_f32_e32 v6, v6, v7
	v_exp_f32_e32 v6, v6
	v_cvt_i32_f32_e32 v7, v8
	v_cmp_neq_f32_e64 vcc, |v2|, s4
	s_mov_b32 s4, 0xc2ce8ed0
	s_nop 0
	v_cndmask_b32_e32 v2, 0, v3, vcc
	v_ldexp_f32 v3, v6, v7
	v_cmp_ngt_f32_e32 vcc, s4, v5
	v_add_f32_e32 v2, v4, v2
	v_mov_b32_e32 v4, 0x7f800000
	v_cndmask_b32_e32 v3, 0, v3, vcc
	v_cmp_nlt_f32_e32 vcc, s5, v5
	v_mov_b32_e32 v5, 0x7fc00000
	s_nop 0
	v_cndmask_b32_e32 v3, v4, v3, vcc
	v_fma_f32 v2, v3, v2, v3
	v_cmp_class_f32_e64 vcc, v3, s6
	v_cmp_gt_f32_e64 s[6:7], 0, v1
	s_nop 0
	v_cndmask_b32_e32 v2, v2, v3, vcc
	v_trunc_f32_e32 v3, v1
	v_cmp_eq_f32_e32 vcc, v3, v1
	v_mul_f32_e32 v3, 0.5, v1
	v_trunc_f32_e32 v6, v3
	v_cmp_neq_f32_e64 s[4:5], v6, v3
	s_and_b64 s[4:5], vcc, s[4:5]
	s_nop 0
	v_cndmask_b32_e64 v3, 1.0, v18, s[4:5]
	v_bfi_b32 v2, s9, v2, v3
	v_cndmask_b32_e32 v3, v5, v2, vcc
	v_cmp_gt_f32_e32 vcc, 0, v18
	s_nop 1
	v_cndmask_b32_e32 v2, v2, v3, vcc
	v_cmp_eq_f32_e32 vcc, 0, v18
	s_xor_b64 s[6:7], s[6:7], vcc
	v_cndmask_b32_e64 v1, v4, 0, s[6:7]
	v_cndmask_b32_e64 v3, 0, v18, s[4:5]
	v_bfi_b32 v1, s9, v1, v3
	s_or_b64 vcc, vcc, s[10:11]
	v_cndmask_b32_e32 v1, v2, v1, vcc
	v_cmp_o_f32_e32 vcc, v18, v18
	s_nop 1
	v_cndmask_b32_e32 v30, v5, v1, vcc
.LBB59_4:
	s_load_dwordx4 s[44:47], s[0:1], 0x70
	v_bfe_u32 v29, v0, 10, 10
	s_ashr_i32 s4, s42, 31
	s_lshl_b32 s42, s2, 4
	v_lshlrev_b32_e32 v26, 1, v29
	s_waitcnt lgkmcnt(0)
	s_mul_i32 s5, s33, s46
	s_ashr_i32 s35, s34, 31
	s_ashr_i32 s7, s5, 31
	v_add_u32_e32 v27, s42, v26
	s_mul_i32 s6, s34, s45
	s_add_u32 s5, s16, s5
	v_and_b32_e32 v12, 0x3ff, v0
	v_mul_hi_u32 v0, v27, s36
	s_addc_u32 s7, s17, s7
	s_ashr_i32 s9, s6, 31
	v_add_u32_e32 v0, v27, v0
	v_or_b32_e32 v24, 1, v26
	s_add_u32 s6, s5, s6
	v_lshrrev_b32_e32 v0, s37, v0
	v_add_u32_e32 v25, s42, v24
	s_addc_u32 s7, s7, s9
	s_ashr_i32 s45, s44, 31
	v_mul_lo_u32 v0, v0, s38
	v_mul_hi_u32 v1, v25, s36
	s_lshr_b64 s[10:11], s[44:45], 2
	v_lshlrev_b32_e32 v14, 3, v12
	v_mov_b32_e32 v15, 0
	v_sub_u32_e32 v0, v27, v0
	v_add_u32_e32 v1, v25, v1
	v_lshl_add_u64 v[2:3], s[6:7], 0, v[14:15]
	v_mad_u64_u32 v[4:5], s[6:7], s10, v0, 0
	v_lshrrev_b32_e32 v1, s37, v1
	v_mov_b32_e32 v6, v5
	s_lshr_b32 s5, s45, 2
	v_mul_lo_u32 v1, v1, s38
	v_mad_u64_u32 v[6:7], s[6:7], s5, v0, v[6:7]
	v_sub_u32_e32 v1, v25, v1
	v_mov_b32_e32 v5, v6
	v_mad_u64_u32 v[6:7], s[6:7], s10, v1, 0
	v_mov_b32_e32 v8, v7
	v_mad_u64_u32 v[8:9], s[6:7], s5, v1, v[8:9]
	v_lshl_add_u64 v[4:5], v[4:5], 2, v[2:3]
	v_mov_b32_e32 v7, v8
	global_load_dwordx2 v[4:5], v[4:5], off
	v_lshl_add_u64 v[2:3], v[6:7], 2, v[2:3]
	global_load_dwordx2 v[2:3], v[2:3], off
	v_mov_b32_e32 v1, 0x5800
	v_lshl_add_u32 v1, v12, 2, v1
	v_lshlrev_b32_e32 v13, 8, v29
	v_add_u32_e32 v6, v1, v13
	s_cmp_eq_u64 s[26:27], 0
	v_lshl_add_u32 v1, v24, 7, v1
	s_waitcnt vmcnt(1)
	v_fma_mixlo_f16 v5, s8, v5, 0
	v_fma_mixlo_f16 v4, s8, v4, 0
	s_waitcnt vmcnt(0)
	v_fma_mixlo_f16 v3, s8, v3, 0
	v_lshlrev_b32_e32 v5, 16, v5
	v_fma_mixlo_f16 v2, s8, v2, 0
	v_lshlrev_b32_e32 v3, 16, v3
	v_or_b32_sdwa v4, v5, v4 dst_sel:DWORD dst_unused:UNUSED_PAD src0_sel:DWORD src1_sel:WORD_0
	v_or_b32_sdwa v2, v3, v2 dst_sel:DWORD dst_unused:UNUSED_PAD src0_sel:DWORD src1_sel:WORD_0
	ds_write_b32 v6, v4
	ds_write_b32 v1, v2
	s_waitcnt lgkmcnt(0)
	s_barrier
	s_cbranch_scc1 .LBB59_6
; %bb.5:
	s_load_dword s5, s[0:1], 0xd0
	s_mov_b32 s7, 0
	s_waitcnt lgkmcnt(0)
	s_mul_i32 s5, s5, s33
	s_add_i32 s6, s5, s2
	s_lshl_b64 s[6:7], s[6:7], 2
	s_add_u32 s6, s26, s6
	s_addc_u32 s7, s27, s7
	s_load_dword s12, s[6:7], 0x0
.LBB59_6:
	s_nop 0
	s_load_dwordx2 s[6:7], s[0:1], 0x8c
	s_load_dwordx4 s[48:51], s[0:1], 0x98
	s_load_dwordx2 s[16:17], s[0:1], 0xa8
	s_ashr_i32 s5, s33, 31
	s_ashr_i32 s44, s15, 1
	s_waitcnt lgkmcnt(0)
	s_ashr_i32 s8, s6, 2
	s_mul_hi_u32 s6, s48, s33
	s_mul_i32 s9, s48, s5
	s_add_i32 s6, s6, s9
	s_mul_i32 s9, s49, s33
	s_ashr_i32 s2, s50, 2
	s_add_i32 s6, s6, s9
	s_mul_i32 s9, s48, s33
	s_add_u32 s9, s18, s9
	s_mul_i32 s10, s14, s13
	s_addc_u32 s6, s19, s6
	s_sub_i32 s10, s43, s10
	s_xor_b32 s4, s35, s4
	s_add_i32 s11, s14, 1
	s_sub_i32 s15, s10, s13
	s_cmp_ge_u32 s10, s13
	s_cselect_b32 s11, s11, s14
	s_cselect_b32 s10, s15, s10
	s_add_i32 s14, s11, 1
	s_cmp_ge_u32 s10, s13
	s_cselect_b32 s10, s14, s11
	s_xor_b32 s10, s10, s4
	s_sub_i32 s4, s10, s4
	s_mul_i32 s7, s4, s7
	s_ashr_i32 s10, s7, 31
	s_add_u32 s9, s9, s7
	s_addc_u32 s10, s6, s10
	s_mul_hi_u32 s6, s16, s33
	s_mul_i32 s5, s16, s5
	s_add_i32 s5, s6, s5
	s_mul_i32 s6, s17, s33
	s_add_i32 s5, s5, s6
	s_mul_i32 s6, s16, s33
	s_add_u32 s6, s20, s6
	s_mul_i32 s4, s4, s51
	s_addc_u32 s5, s21, s5
	s_ashr_i32 s7, s4, 31
	s_add_u32 s26, s6, s4
	s_addc_u32 s27, s5, s7
	s_lshl_b32 s43, s3, 7
	s_add_i32 s11, s12, 0xffffff80
	s_cmp_ge_i32 s43, s11
	v_mul_lo_u32 v35, v0, s44
	v_lshrrev_b32_e32 v36, 3, v12
	v_lshlrev_b32_e32 v28, 2, v12
	v_or_b32_e32 v33, 1, v27
	v_mbcnt_lo_u32_b32 v34, -1, 0
	s_cbranch_scc1 .LBB59_27
; %bb.7:
	v_and_b32_e32 v0, 28, v28
	v_lshl_add_u32 v10, v29, 2, v36
	v_lshlrev_b32_e32 v11, 2, v0
	s_movk_i32 s4, 0x90
	v_mad_u32_u24 v37, v10, s4, v11
	v_mul_lo_u32 v2, s8, v10
	s_lshl_b32 s4, s8, 5
	v_mul_hi_u32 v14, s36, v33
	v_add_u32_e32 v4, s4, v2
	v_add_u32_e32 v14, v33, v14
	;; [unrolled: 1-line block ×3, first 2 shown]
	s_cmp_lg_u64 s[40:41], 0
	v_lshrrev_b32_e32 v14, s37, v14
	v_add_u32_e32 v8, s4, v6
	s_cselect_b64 s[4:5], -1, 0
	v_mul_lo_u32 v14, v14, s38
	v_lshl_or_b32 v45, v10, 7, v11
	v_mul_lo_u32 v10, s2, v10
	s_lshl_b32 s6, s2, 5
	v_sub_u32_e32 v14, v33, v14
	v_add_u32_e32 v18, s6, v10
	v_mul_lo_u32 v43, v14, s44
	v_mov_b32_e32 v14, 0x4800
	v_add_u32_e32 v20, s6, v18
	v_mov_b32_e32 v1, 0
	v_lshl_add_u32 v44, v29, 9, v14
	v_add_u32_e32 v22, s6, v20
	s_add_u32 s6, s0, 0xd0
	v_cndmask_b32_e64 v14, 0, 1, s[4:5]
	v_ashrrev_i32_e32 v3, 31, v2
	v_add_u32_e32 v38, 0x1200, v37
	v_ashrrev_i32_e32 v5, 31, v4
	v_add_u32_e32 v39, 0x2400, v37
	;; [unrolled: 2-line block ×4, first 2 shown]
	v_mul_u32_u24_e32 v42, 0x90, v12
	v_ashrrev_i32_e32 v11, 31, v10
	v_add_u32_e32 v46, 0x1000, v45
	v_ashrrev_i32_e32 v19, 31, v18
	v_add_u32_e32 v47, 0x2000, v45
	;; [unrolled: 2-line block ×3, first 2 shown]
	v_ashrrev_i32_e32 v23, 31, v22
	s_addc_u32 s7, s1, 0
	v_mov_b32_e32 v53, 0xfeffffff
	v_lshlrev_b32_e32 v0, 2, v0
	s_mov_b32 s13, 0x3fb8aa3b
	s_mov_b32 s14, 0xc2ce8ed0
	;; [unrolled: 1-line block ×4, first 2 shown]
	v_add_u32_e32 v49, v44, v28
	v_cmp_ne_u32_e64 s[4:5], 1, v14
	v_mbcnt_hi_u32_b32 v50, -1, v34
	v_mov_b32_e32 v51, 0x7f800000
	v_mov_b32_e32 v31, v1
	;; [unrolled: 1-line block ×6, first 2 shown]
.LBB59_8:                               ; =>This Inner Loop Header: Depth=1
	s_mul_hi_i32 s19, s43, s8
	s_mul_i32 s18, s43, s8
	s_lshl_b64 s[18:19], s[18:19], 2
	s_add_u32 s18, s9, s18
	s_addc_u32 s19, s10, s19
	v_lshl_add_u64 v[16:17], v[2:3], 2, s[18:19]
	v_lshl_add_u64 v[16:17], v[16:17], 0, v[0:1]
	;; [unrolled: 1-line block ×4, first 2 shown]
	global_load_dwordx4 v[62:65], v[16:17], off
	global_load_dwordx4 v[66:69], v[54:55], off
	v_lshl_add_u64 v[16:17], v[6:7], 2, s[18:19]
	v_lshl_add_u64 v[16:17], v[16:17], 0, v[0:1]
	;; [unrolled: 1-line block ×4, first 2 shown]
	global_load_dwordx4 v[70:73], v[16:17], off
	global_load_dwordx4 v[74:77], v[54:55], off
	v_mov_b32_e32 v58, 0
	v_mov_b32_e32 v54, 0
	;; [unrolled: 1-line block ×8, first 2 shown]
	s_and_b64 vcc, exec, s[4:5]
	s_waitcnt vmcnt(3)
	ds_write_b128 v37, v[62:65]
	s_waitcnt vmcnt(2)
	ds_write_b128 v38, v[66:69]
	;; [unrolled: 2-line block ×4, first 2 shown]
	s_waitcnt lgkmcnt(0)
	s_barrier
	ds_read_b128 v[62:65], v41
	ds_read_b128 v[66:69], v42
	ds_read_b128 v[70:73], v42 offset:4608
	ds_read_b128 v[74:77], v42 offset:9216
	ds_read_b128 v[78:81], v42 offset:13824
	ds_read_b128 v[82:85], v41 offset:128
	s_waitcnt lgkmcnt(4)
	;;#ASMSTART
	v_dot2_f32_f16 v58, v66, v62, v58
	;;#ASMEND
	s_nop 0
	;;#ASMSTART
	v_dot2_f32_f16 v58, v67, v63, v58
	;;#ASMEND
	s_nop 0
	;; [unrolled: 4-line block ×3, first 2 shown]
	;;#ASMSTART
	v_dot2_f32_f16 v58, v69, v65, v58
	;;#ASMEND
	s_waitcnt lgkmcnt(0)
	;;#ASMSTART
	v_dot2_f32_f16 v54, v66, v82, v54
	;;#ASMEND
	s_nop 0
	;;#ASMSTART
	v_dot2_f32_f16 v54, v67, v83, v54
	;;#ASMEND
	s_nop 0
	;;#ASMSTART
	v_dot2_f32_f16 v54, v68, v84, v54
	;;#ASMEND
	s_nop 0
	;;#ASMSTART
	v_dot2_f32_f16 v54, v69, v85, v54
	;;#ASMEND
	;;#ASMSTART
	v_dot2_f32_f16 v59, v70, v62, v59
	;;#ASMEND
	s_nop 0
	;;#ASMSTART
	v_dot2_f32_f16 v59, v71, v63, v59
	;;#ASMEND
	s_nop 0
	;;#ASMSTART
	v_dot2_f32_f16 v59, v72, v64, v59
	;;#ASMEND
	s_nop 0
	;;#ASMSTART
	v_dot2_f32_f16 v59, v73, v65, v59
	;;#ASMEND
	;; [unrolled: 15-line block ×7, first 2 shown]
	ds_read_b128 v[62:65], v41 offset:16
	ds_read_b128 v[66:69], v42 offset:16
	ds_read_b128 v[70:73], v42 offset:4624
	ds_read_b128 v[74:77], v42 offset:9232
	ds_read_b128 v[78:81], v42 offset:13840
	ds_read_b128 v[82:85], v41 offset:144
	s_waitcnt lgkmcnt(4)
	;;#ASMSTART
	v_dot2_f32_f16 v58, v66, v62, v58
	;;#ASMEND
	s_nop 0
	;;#ASMSTART
	v_dot2_f32_f16 v58, v67, v63, v58
	;;#ASMEND
	s_nop 0
	;; [unrolled: 4-line block ×3, first 2 shown]
	;;#ASMSTART
	v_dot2_f32_f16 v58, v69, v65, v58
	;;#ASMEND
	s_waitcnt lgkmcnt(0)
	;;#ASMSTART
	v_dot2_f32_f16 v54, v66, v82, v54
	;;#ASMEND
	s_nop 0
	;;#ASMSTART
	v_dot2_f32_f16 v54, v67, v83, v54
	;;#ASMEND
	s_nop 0
	;;#ASMSTART
	v_dot2_f32_f16 v54, v68, v84, v54
	;;#ASMEND
	s_nop 0
	;;#ASMSTART
	v_dot2_f32_f16 v54, v69, v85, v54
	;;#ASMEND
	;;#ASMSTART
	v_dot2_f32_f16 v59, v70, v62, v59
	;;#ASMEND
	s_nop 0
	;;#ASMSTART
	v_dot2_f32_f16 v59, v71, v63, v59
	;;#ASMEND
	s_nop 0
	;;#ASMSTART
	v_dot2_f32_f16 v59, v72, v64, v59
	;;#ASMEND
	s_nop 0
	;;#ASMSTART
	v_dot2_f32_f16 v59, v73, v65, v59
	;;#ASMEND
	;; [unrolled: 15-line block ×7, first 2 shown]
	ds_read_b128 v[62:65], v41 offset:32
	ds_read_b128 v[66:69], v42 offset:32
	;; [unrolled: 1-line block ×6, first 2 shown]
	s_waitcnt lgkmcnt(4)
	;;#ASMSTART
	v_dot2_f32_f16 v58, v66, v62, v58
	;;#ASMEND
	s_nop 0
	;;#ASMSTART
	v_dot2_f32_f16 v58, v67, v63, v58
	;;#ASMEND
	s_nop 0
	;; [unrolled: 4-line block ×3, first 2 shown]
	;;#ASMSTART
	v_dot2_f32_f16 v58, v69, v65, v58
	;;#ASMEND
	s_waitcnt lgkmcnt(0)
	;;#ASMSTART
	v_dot2_f32_f16 v54, v66, v82, v54
	;;#ASMEND
	s_nop 0
	;;#ASMSTART
	v_dot2_f32_f16 v54, v67, v83, v54
	;;#ASMEND
	s_nop 0
	;;#ASMSTART
	v_dot2_f32_f16 v54, v68, v84, v54
	;;#ASMEND
	s_nop 0
	;;#ASMSTART
	v_dot2_f32_f16 v54, v69, v85, v54
	;;#ASMEND
	;;#ASMSTART
	v_dot2_f32_f16 v59, v70, v62, v59
	;;#ASMEND
	s_nop 0
	;;#ASMSTART
	v_dot2_f32_f16 v59, v71, v63, v59
	;;#ASMEND
	s_nop 0
	;;#ASMSTART
	v_dot2_f32_f16 v59, v72, v64, v59
	;;#ASMEND
	s_nop 0
	;;#ASMSTART
	v_dot2_f32_f16 v59, v73, v65, v59
	;;#ASMEND
	;; [unrolled: 15-line block ×7, first 2 shown]
	ds_read_b128 v[62:65], v41 offset:48
	ds_read_b128 v[66:69], v42 offset:48
	;; [unrolled: 1-line block ×6, first 2 shown]
	s_waitcnt lgkmcnt(4)
	;;#ASMSTART
	v_dot2_f32_f16 v58, v66, v62, v58
	;;#ASMEND
	s_nop 0
	;;#ASMSTART
	v_dot2_f32_f16 v58, v67, v63, v58
	;;#ASMEND
	s_nop 0
	;; [unrolled: 4-line block ×3, first 2 shown]
	;;#ASMSTART
	v_dot2_f32_f16 v58, v69, v65, v58
	;;#ASMEND
	s_waitcnt lgkmcnt(0)
	;;#ASMSTART
	v_dot2_f32_f16 v54, v66, v82, v54
	;;#ASMEND
	s_nop 0
	;;#ASMSTART
	v_dot2_f32_f16 v54, v67, v83, v54
	;;#ASMEND
	s_nop 0
	;;#ASMSTART
	v_dot2_f32_f16 v54, v68, v84, v54
	;;#ASMEND
	s_nop 0
	;;#ASMSTART
	v_dot2_f32_f16 v54, v69, v85, v54
	;;#ASMEND
	;;#ASMSTART
	v_dot2_f32_f16 v59, v70, v62, v59
	;;#ASMEND
	s_nop 0
	;;#ASMSTART
	v_dot2_f32_f16 v59, v71, v63, v59
	;;#ASMEND
	s_nop 0
	;;#ASMSTART
	v_dot2_f32_f16 v59, v72, v64, v59
	;;#ASMEND
	s_nop 0
	;;#ASMSTART
	v_dot2_f32_f16 v59, v73, v65, v59
	;;#ASMEND
	;; [unrolled: 15-line block ×7, first 2 shown]
	ds_read_b128 v[62:65], v41 offset:64
	ds_read_b128 v[66:69], v42 offset:64
	;; [unrolled: 1-line block ×6, first 2 shown]
	s_waitcnt lgkmcnt(4)
	;;#ASMSTART
	v_dot2_f32_f16 v58, v66, v62, v58
	;;#ASMEND
	s_nop 0
	;;#ASMSTART
	v_dot2_f32_f16 v58, v67, v63, v58
	;;#ASMEND
	s_nop 0
	;; [unrolled: 4-line block ×3, first 2 shown]
	;;#ASMSTART
	v_dot2_f32_f16 v58, v69, v65, v58
	;;#ASMEND
	s_waitcnt lgkmcnt(0)
	;;#ASMSTART
	v_dot2_f32_f16 v54, v66, v82, v54
	;;#ASMEND
	s_nop 0
	;;#ASMSTART
	v_dot2_f32_f16 v54, v67, v83, v54
	;;#ASMEND
	s_nop 0
	;;#ASMSTART
	v_dot2_f32_f16 v54, v68, v84, v54
	;;#ASMEND
	s_nop 0
	;;#ASMSTART
	v_dot2_f32_f16 v54, v69, v85, v54
	;;#ASMEND
	;;#ASMSTART
	v_dot2_f32_f16 v59, v70, v62, v59
	;;#ASMEND
	s_nop 0
	;;#ASMSTART
	v_dot2_f32_f16 v59, v71, v63, v59
	;;#ASMEND
	s_nop 0
	;;#ASMSTART
	v_dot2_f32_f16 v59, v72, v64, v59
	;;#ASMEND
	s_nop 0
	;;#ASMSTART
	v_dot2_f32_f16 v59, v73, v65, v59
	;;#ASMEND
	;; [unrolled: 15-line block ×7, first 2 shown]
	ds_read_b128 v[62:65], v41 offset:80
	ds_read_b128 v[66:69], v42 offset:80
	;; [unrolled: 1-line block ×6, first 2 shown]
	s_waitcnt lgkmcnt(4)
	;;#ASMSTART
	v_dot2_f32_f16 v58, v66, v62, v58
	;;#ASMEND
	s_nop 0
	;;#ASMSTART
	v_dot2_f32_f16 v58, v67, v63, v58
	;;#ASMEND
	s_nop 0
	;; [unrolled: 4-line block ×3, first 2 shown]
	;;#ASMSTART
	v_dot2_f32_f16 v58, v69, v65, v58
	;;#ASMEND
	s_waitcnt lgkmcnt(0)
	;;#ASMSTART
	v_dot2_f32_f16 v54, v66, v82, v54
	;;#ASMEND
	s_nop 0
	;;#ASMSTART
	v_dot2_f32_f16 v54, v67, v83, v54
	;;#ASMEND
	s_nop 0
	;;#ASMSTART
	v_dot2_f32_f16 v54, v68, v84, v54
	;;#ASMEND
	s_nop 0
	;;#ASMSTART
	v_dot2_f32_f16 v54, v69, v85, v54
	;;#ASMEND
	;;#ASMSTART
	v_dot2_f32_f16 v59, v70, v62, v59
	;;#ASMEND
	s_nop 0
	;;#ASMSTART
	v_dot2_f32_f16 v59, v71, v63, v59
	;;#ASMEND
	s_nop 0
	;;#ASMSTART
	v_dot2_f32_f16 v59, v72, v64, v59
	;;#ASMEND
	s_nop 0
	;;#ASMSTART
	v_dot2_f32_f16 v59, v73, v65, v59
	;;#ASMEND
	;; [unrolled: 15-line block ×7, first 2 shown]
	ds_read_b128 v[62:65], v41 offset:96
	ds_read_b128 v[66:69], v42 offset:96
	;; [unrolled: 1-line block ×6, first 2 shown]
	s_waitcnt lgkmcnt(4)
	;;#ASMSTART
	v_dot2_f32_f16 v58, v66, v62, v58
	;;#ASMEND
	s_nop 0
	;;#ASMSTART
	v_dot2_f32_f16 v58, v67, v63, v58
	;;#ASMEND
	s_nop 0
	;; [unrolled: 4-line block ×3, first 2 shown]
	;;#ASMSTART
	v_dot2_f32_f16 v58, v69, v65, v58
	;;#ASMEND
	s_waitcnt lgkmcnt(0)
	;;#ASMSTART
	v_dot2_f32_f16 v54, v66, v82, v54
	;;#ASMEND
	s_nop 0
	;;#ASMSTART
	v_dot2_f32_f16 v54, v67, v83, v54
	;;#ASMEND
	s_nop 0
	;;#ASMSTART
	v_dot2_f32_f16 v54, v68, v84, v54
	;;#ASMEND
	s_nop 0
	;;#ASMSTART
	v_dot2_f32_f16 v54, v69, v85, v54
	;;#ASMEND
	;;#ASMSTART
	v_dot2_f32_f16 v59, v70, v62, v59
	;;#ASMEND
	s_nop 0
	;;#ASMSTART
	v_dot2_f32_f16 v59, v71, v63, v59
	;;#ASMEND
	s_nop 0
	;;#ASMSTART
	v_dot2_f32_f16 v59, v72, v64, v59
	;;#ASMEND
	s_nop 0
	;;#ASMSTART
	v_dot2_f32_f16 v59, v73, v65, v59
	;;#ASMEND
	;; [unrolled: 15-line block ×7, first 2 shown]
	ds_read_b128 v[62:65], v41 offset:112
	ds_read_b128 v[66:69], v42 offset:112
	;; [unrolled: 1-line block ×6, first 2 shown]
	s_waitcnt lgkmcnt(4)
	;;#ASMSTART
	v_dot2_f32_f16 v58, v66, v62, v58
	;;#ASMEND
	s_nop 0
	;;#ASMSTART
	v_dot2_f32_f16 v58, v67, v63, v58
	;;#ASMEND
	s_nop 0
	;; [unrolled: 4-line block ×3, first 2 shown]
	;;#ASMSTART
	v_dot2_f32_f16 v58, v69, v65, v58
	;;#ASMEND
	s_waitcnt lgkmcnt(0)
	;;#ASMSTART
	v_dot2_f32_f16 v54, v66, v82, v54
	;;#ASMEND
	s_nop 0
	;;#ASMSTART
	v_dot2_f32_f16 v54, v67, v83, v54
	;;#ASMEND
	s_nop 0
	;;#ASMSTART
	v_dot2_f32_f16 v54, v68, v84, v54
	;;#ASMEND
	s_nop 0
	;;#ASMSTART
	v_dot2_f32_f16 v54, v69, v85, v54
	;;#ASMEND
	;;#ASMSTART
	v_dot2_f32_f16 v59, v70, v62, v59
	;;#ASMEND
	s_nop 0
	;;#ASMSTART
	v_dot2_f32_f16 v59, v71, v63, v59
	;;#ASMEND
	s_nop 0
	;;#ASMSTART
	v_dot2_f32_f16 v59, v72, v64, v59
	;;#ASMEND
	s_nop 0
	;;#ASMSTART
	v_dot2_f32_f16 v59, v73, v65, v59
	;;#ASMEND
	;; [unrolled: 15-line block ×5, first 2 shown]
	;;#ASMSTART
	v_dot2_f32_f16 v61, v78, v62, v61
	;;#ASMEND
	v_mov_b32_e32 v62, 0
	;;#ASMSTART
	v_dot2_f32_f16 v61, v79, v63, v61
	;;#ASMEND
	s_nop 0
	;;#ASMSTART
	v_dot2_f32_f16 v61, v80, v64, v61
	;;#ASMEND
	s_nop 0
	;;#ASMSTART
	v_dot2_f32_f16 v61, v81, v65, v61
	;;#ASMEND
	;;#ASMSTART
	v_dot2_f32_f16 v57, v78, v82, v57
	;;#ASMEND
	v_add_u32_e32 v65, s43, v12
	;;#ASMSTART
	v_dot2_f32_f16 v57, v79, v83, v57
	;;#ASMEND
	v_add_u32_e32 v16, v65, v35
	;;#ASMSTART
	v_dot2_f32_f16 v57, v80, v84, v57
	;;#ASMEND
	v_ashrrev_i32_e32 v17, 31, v16
	;;#ASMSTART
	v_dot2_f32_f16 v57, v81, v85, v57
	;;#ASMEND
	s_cbranch_vccnz .LBB59_10
; %bb.9:                                ;   in Loop: Header=BB59_8 Depth=1
	v_lshl_add_u64 v[62:63], v[16:17], 1, s[40:41]
	global_load_ushort v62, v[62:63], off
	s_waitcnt vmcnt(0)
	v_cvt_f32_f16_e32 v62, v62
	v_mul_f32_e32 v62, v30, v62
.LBB59_10:                              ;   in Loop: Header=BB59_8 Depth=1
	v_mov_b32_e32 v66, 0
	s_and_b64 vcc, exec, s[4:5]
	v_mov_b32_e32 v67, 0
	s_cbranch_vccnz .LBB59_12
; %bb.11:                               ;   in Loop: Header=BB59_8 Depth=1
	v_lshl_add_u64 v[68:69], v[16:17], 1, s[40:41]
	global_load_ushort v63, v[68:69], off offset:64
	s_waitcnt vmcnt(0)
	v_cvt_f32_f16_e32 v63, v63
	v_mul_f32_e32 v67, v30, v63
.LBB59_12:                              ;   in Loop: Header=BB59_8 Depth=1
	s_and_b64 vcc, exec, s[4:5]
	s_cbranch_vccnz .LBB59_14
; %bb.13:                               ;   in Loop: Header=BB59_8 Depth=1
	v_lshl_add_u64 v[68:69], v[16:17], 1, s[40:41]
	global_load_ushort v63, v[68:69], off offset:128
	s_waitcnt vmcnt(0)
	v_cvt_f32_f16_e32 v63, v63
	v_mul_f32_e32 v66, v30, v63
.LBB59_14:                              ;   in Loop: Header=BB59_8 Depth=1
	v_mov_b32_e32 v64, 0
	s_and_b64 vcc, exec, s[4:5]
	v_mov_b32_e32 v68, 0
	s_cbranch_vccnz .LBB59_16
; %bb.15:                               ;   in Loop: Header=BB59_8 Depth=1
	v_lshl_add_u64 v[16:17], v[16:17], 1, s[40:41]
	global_load_ushort v16, v[16:17], off offset:192
	s_waitcnt vmcnt(0)
	v_cvt_f32_f16_e32 v16, v16
	v_mul_f32_e32 v68, v30, v16
.LBB59_16:                              ;   in Loop: Header=BB59_8 Depth=1
	v_add_f32_e32 v63, v58, v62
	v_add_f32_e32 v62, v59, v67
	v_and_b32_e32 v59, 0x60, v50
	v_add_u32_e32 v69, 32, v59
	v_xor_b32_e32 v59, 16, v50
	v_cmp_lt_i32_e32 vcc, v59, v69
	v_add_f32_e32 v16, 0x40051340, v63
	v_add_f32_e32 v17, 0x40051340, v62
	v_cndmask_b32_e32 v59, v50, v59, vcc
	v_add_f32_e32 v58, v60, v66
	v_lshlrev_b32_e32 v60, 2, v59
	v_add_f32_e32 v59, v61, v68
	v_max3_f32 v16, v53, v16, v17
	v_add_f32_e32 v17, 0x40051340, v58
	v_add_f32_e32 v61, 0x40051340, v59
	v_max3_f32 v16, v16, v17, v61
	ds_bpermute_b32 v17, v60, v16
	v_xor_b32_e32 v61, 8, v50
	v_cmp_lt_i32_e32 vcc, v61, v69
	s_waitcnt lgkmcnt(0)
	v_max_f32_e32 v17, v17, v17
	v_cndmask_b32_e32 v61, v50, v61, vcc
	v_lshlrev_b32_e32 v67, 2, v61
	v_max_f32_e32 v16, v16, v17
	ds_bpermute_b32 v17, v67, v16
	v_xor_b32_e32 v61, 4, v50
	v_cmp_lt_i32_e32 vcc, v61, v69
	s_waitcnt lgkmcnt(0)
	v_max_f32_e32 v17, v17, v17
	v_cndmask_b32_e32 v61, v50, v61, vcc
	v_lshlrev_b32_e32 v68, 2, v61
	v_max_f32_e32 v16, v16, v17
	;; [unrolled: 8-line block ×4, first 2 shown]
	ds_bpermute_b32 v70, v61, v69
	v_add_u32_e32 v16, v65, v43
	s_and_b64 vcc, exec, s[4:5]
	v_ashrrev_i32_e32 v17, 31, v16
	s_cbranch_vccnz .LBB59_18
; %bb.17:                               ;   in Loop: Header=BB59_8 Depth=1
	v_lshl_add_u64 v[64:65], v[16:17], 1, s[40:41]
	global_load_ushort v64, v[64:65], off
	s_waitcnt vmcnt(0)
	v_cvt_f32_f16_e32 v64, v64
	v_mul_f32_e32 v64, v30, v64
.LBB59_18:                              ;   in Loop: Header=BB59_8 Depth=1
	v_mov_b32_e32 v65, 0
	s_and_b64 vcc, exec, s[4:5]
	v_mov_b32_e32 v71, 0
	s_cbranch_vccnz .LBB59_20
; %bb.19:                               ;   in Loop: Header=BB59_8 Depth=1
	v_lshl_add_u64 v[72:73], v[16:17], 1, s[40:41]
	global_load_ushort v71, v[72:73], off offset:64
	s_waitcnt vmcnt(0)
	v_cvt_f32_f16_e32 v71, v71
	v_mul_f32_e32 v71, v30, v71
.LBB59_20:                              ;   in Loop: Header=BB59_8 Depth=1
	s_and_b64 vcc, exec, s[4:5]
	s_cbranch_vccnz .LBB59_22
; %bb.21:                               ;   in Loop: Header=BB59_8 Depth=1
	v_lshl_add_u64 v[72:73], v[16:17], 1, s[40:41]
	global_load_ushort v65, v[72:73], off offset:128
	s_waitcnt vmcnt(0)
	v_cvt_f32_f16_e32 v65, v65
	v_mul_f32_e32 v65, v30, v65
.LBB59_22:                              ;   in Loop: Header=BB59_8 Depth=1
	s_and_b64 vcc, exec, s[4:5]
	s_cbranch_vccnz .LBB59_24
; %bb.23:                               ;   in Loop: Header=BB59_8 Depth=1
	v_lshl_add_u64 v[16:17], v[16:17], 1, s[40:41]
	global_load_ushort v16, v[16:17], off offset:192
	s_waitcnt vmcnt(0)
	v_cvt_f32_f16_e32 v16, v16
	v_mul_f32_e32 v16, v30, v16
	s_branch .LBB59_25
.LBB59_24:                              ;   in Loop: Header=BB59_8 Depth=1
	v_mov_b32_e32 v16, 0
.LBB59_25:                              ;   in Loop: Header=BB59_8 Depth=1
	v_add_f32_e32 v54, v54, v64
	v_add_f32_e32 v71, v55, v71
	;; [unrolled: 1-line block ×6, first 2 shown]
	v_max3_f32 v17, v52, v17, v55
	v_add_f32_e32 v55, 0x40051340, v73
	v_add_f32_e32 v16, 0x40051340, v75
	v_max3_f32 v16, v17, v55, v16
	ds_bpermute_b32 v17, v60, v16
	s_waitcnt lgkmcnt(1)
	v_max_f32_e32 v55, v70, v70
	v_max_f32_e32 v56, v69, v69
	s_mul_hi_i32 s19, s43, s2
	s_mul_i32 s18, s43, s2
	s_waitcnt lgkmcnt(0)
	v_max_f32_e32 v17, v17, v17
	v_max_f32_e32 v16, v16, v17
	ds_bpermute_b32 v17, v67, v16
	s_lshl_b64 s[18:19], s[18:19], 2
	s_add_u32 s18, s26, s18
	s_addc_u32 s19, s27, s19
	s_waitcnt lgkmcnt(0)
	v_max_f32_e32 v17, v17, v17
	v_max_f32_e32 v17, v16, v17
	ds_bpermute_b32 v57, v68, v17
	v_max_f32_e32 v16, v56, v55
	v_sub_f32_e32 v55, v63, v16
	v_cmp_ngt_f32_e32 vcc, s14, v55
	v_sub_f32_e32 v77, v59, v16
	s_waitcnt lgkmcnt(0)
	v_max_f32_e32 v56, v57, v57
	v_max_f32_e32 v17, v17, v56
	ds_bpermute_b32 v56, v66, v17
	v_mul_f32_e32 v57, 0x3fb8aa3b, v55
	v_fma_f32 v60, v55, s13, -v57
	v_rndne_f32_e32 v63, v57
	v_fmac_f32_e32 v60, 0x32a5705f, v55
	s_waitcnt lgkmcnt(0)
	v_max_f32_e32 v56, v56, v56
	v_max_f32_e32 v17, v17, v56
	ds_bpermute_b32 v56, v61, v17
	v_sub_f32_e32 v57, v57, v63
	v_add_f32_e32 v57, v57, v60
	v_cvt_i32_f32_e32 v61, v63
	v_exp_f32_e32 v57, v57
	s_waitcnt lgkmcnt(0)
	v_max_f32_e32 v56, v56, v56
	v_max_f32_e32 v17, v17, v56
	v_sub_f32_e32 v53, v53, v16
	v_ldexp_f32 v56, v57, v61
	v_sub_f32_e32 v57, v62, v16
	v_mul_f32_e32 v60, 0x3fb8aa3b, v57
	v_fma_f32 v61, v57, s13, -v60
	v_rndne_f32_e32 v62, v60
	v_fmac_f32_e32 v61, 0x32a5705f, v57
	v_sub_f32_e32 v60, v60, v62
	v_add_f32_e32 v60, v60, v61
	v_exp_f32_e32 v60, v60
	v_cvt_i32_f32_e32 v61, v62
	v_cndmask_b32_e32 v56, 0, v56, vcc
	v_cmp_nlt_f32_e32 vcc, s15, v55
	v_sub_f32_e32 v87, v54, v17
	v_ldexp_f32 v55, v60, v61
	v_cndmask_b32_e32 v70, v51, v56, vcc
	v_sub_f32_e32 v56, v58, v16
	v_mul_f32_e32 v58, 0x3fb8aa3b, v56
	v_fma_f32 v60, v56, s13, -v58
	v_rndne_f32_e32 v61, v58
	v_fmac_f32_e32 v60, 0x32a5705f, v56
	v_sub_f32_e32 v58, v58, v61
	v_add_f32_e32 v58, v58, v60
	v_exp_f32_e32 v58, v58
	v_cvt_i32_f32_e32 v60, v61
	v_cmp_ngt_f32_e32 vcc, s14, v57
	v_mul_f32_e32 v54, 0x3fb8aa3b, v87
	v_rndne_f32_e32 v88, v54
	v_cndmask_b32_e32 v55, 0, v55, vcc
	v_cmp_nlt_f32_e32 vcc, s15, v57
	s_barrier
	s_nop 0
	v_cndmask_b32_e32 v72, v51, v55, vcc
	v_ldexp_f32 v55, v58, v60
	v_cmp_ngt_f32_e32 vcc, s14, v56
	v_sub_f32_e32 v52, v52, v17
	s_nop 0
	v_cndmask_b32_e32 v55, 0, v55, vcc
	v_cmp_nlt_f32_e32 vcc, s15, v56
	s_nop 1
	v_cndmask_b32_e32 v74, v51, v55, vcc
	v_mul_f32_e32 v55, 0x3fb8aa3b, v77
	v_fma_f32 v56, v77, s13, -v55
	v_rndne_f32_e32 v57, v55
	v_fmac_f32_e32 v56, 0x32a5705f, v77
	v_sub_f32_e32 v55, v55, v57
	v_add_f32_e32 v55, v55, v56
	v_cvt_i32_f32_e32 v56, v57
	v_mul_f32_e32 v57, 0x3fb8aa3b, v53
	v_fma_f32 v58, v53, s13, -v57
	v_rndne_f32_e32 v59, v57
	v_fmac_f32_e32 v58, 0x32a5705f, v53
	v_sub_f32_e32 v57, v57, v59
	v_exp_f32_e32 v55, v55
	v_add_f32_e32 v57, v57, v58
	v_exp_f32_e32 v57, v57
	v_cvt_i32_f32_e32 v58, v59
	v_ldexp_f32 v55, v55, v56
	v_cmp_ngt_f32_e32 vcc, s14, v77
	s_nop 1
	v_cndmask_b32_e32 v86, 0, v55, vcc
	v_ldexp_f32 v55, v57, v58
	v_cmp_ngt_f32_e32 vcc, s14, v53
	s_nop 1
	v_cndmask_b32_e32 v55, 0, v55, vcc
	v_cmp_nlt_f32_e32 vcc, s15, v53
	s_nop 1
	v_cndmask_b32_e32 v76, v51, v55, vcc
	v_fma_f32 v55, v87, s13, -v54
	v_fmac_f32_e32 v55, 0x32a5705f, v87
	v_sub_f32_e32 v54, v54, v88
	v_add_f32_e32 v89, v54, v55
	v_lshl_add_u64 v[54:55], v[10:11], 2, s[18:19]
	v_lshl_add_u64 v[78:79], v[54:55], 0, v[0:1]
	;; [unrolled: 1-line block ×8, first 2 shown]
	global_load_dwordx4 v[54:57], v[78:79], off
	global_load_dwordx4 v[58:61], v[80:81], off
	;; [unrolled: 1-line block ×4, first 2 shown]
	v_cvt_f16_f32_e32 v53, v76
	v_exp_f32_e32 v79, v89
	v_cvt_i32_f32_e32 v80, v88
	v_cmp_nlt_f32_e32 vcc, s15, v77
	v_sub_f32_e32 v77, v71, v17
	v_mul_f32_e32 v71, 0x3fb8aa3b, v77
	v_mul_u32_u24_e32 v82, 0x10001, v53
	v_ldexp_f32 v53, v79, v80
	v_fma_f32 v79, v77, s13, -v71
	v_rndne_f32_e32 v80, v71
	v_fmac_f32_e32 v79, 0x32a5705f, v77
	v_sub_f32_e32 v71, v71, v80
	v_add_f32_e32 v71, v71, v79
	v_exp_f32_e32 v79, v71
	v_cvt_i32_f32_e32 v80, v80
	v_cndmask_b32_e32 v78, v51, v86, vcc
	v_cmp_ngt_f32_e32 vcc, s14, v87
	s_nop 1
	v_cndmask_b32_e32 v53, 0, v53, vcc
	v_cmp_nlt_f32_e32 vcc, s15, v87
	s_nop 1
	v_cndmask_b32_e32 v71, v51, v53, vcc
	v_ldexp_f32 v53, v79, v80
	v_sub_f32_e32 v79, v73, v17
	v_mul_f32_e32 v73, 0x3fb8aa3b, v79
	v_fma_f32 v80, v79, s13, -v73
	v_rndne_f32_e32 v81, v73
	v_fmac_f32_e32 v80, 0x32a5705f, v79
	v_sub_f32_e32 v73, v73, v81
	v_add_f32_e32 v73, v73, v80
	v_exp_f32_e32 v80, v73
	v_cvt_i32_f32_e32 v81, v81
	v_cmp_ngt_f32_e32 vcc, s14, v77
	s_nop 1
	v_cndmask_b32_e32 v53, 0, v53, vcc
	v_cmp_nlt_f32_e32 vcc, s15, v77
	v_sub_f32_e32 v77, v75, v17
	v_mul_f32_e32 v75, 0x3fb8aa3b, v77
	v_cndmask_b32_e32 v73, v51, v53, vcc
	v_ldexp_f32 v53, v80, v81
	v_fma_f32 v80, v77, s13, -v75
	v_rndne_f32_e32 v81, v75
	v_fmac_f32_e32 v80, 0x32a5705f, v77
	v_sub_f32_e32 v75, v75, v81
	v_add_f32_e32 v75, v75, v80
	v_exp_f32_e32 v80, v75
	v_cvt_i32_f32_e32 v81, v81
	v_cmp_ngt_f32_e32 vcc, s14, v79
	s_nop 1
	v_cndmask_b32_e32 v53, 0, v53, vcc
	v_cmp_nlt_f32_e32 vcc, s15, v79
	v_mul_f32_e32 v79, 0x3fb8aa3b, v52
	s_nop 0
	v_cndmask_b32_e32 v75, v51, v53, vcc
	v_ldexp_f32 v53, v80, v81
	v_fma_f32 v80, v52, s13, -v79
	v_rndne_f32_e32 v81, v79
	v_fmac_f32_e32 v80, 0x32a5705f, v52
	v_sub_f32_e32 v79, v79, v81
	v_add_f32_e32 v79, v79, v80
	v_exp_f32_e32 v80, v79
	v_cvt_i32_f32_e32 v81, v81
	v_cmp_ngt_f32_e32 vcc, s14, v77
	s_nop 1
	v_cndmask_b32_e32 v53, 0, v53, vcc
	v_cmp_nlt_f32_e32 vcc, s15, v77
	s_nop 1
	v_cndmask_b32_e32 v79, v51, v53, vcc
	v_ldexp_f32 v53, v80, v81
	v_cmp_ngt_f32_e32 vcc, s14, v52
	s_nop 1
	v_cndmask_b32_e32 v53, 0, v53, vcc
	v_cmp_nlt_f32_e32 vcc, s15, v52
	s_nop 1
	v_cndmask_b32_e32 v77, v51, v53, vcc
	v_pk_add_f32 v[52:53], v[70:71], v[72:73]
	v_cvt_f16_f32_e32 v83, v77
	v_pk_add_f32 v[52:53], v[74:75], v[52:53]
	s_nop 0
	v_pk_add_f32 v[80:81], v[78:79], v[52:53]
	v_cvt_pk_f16_f32 v52, v70, v71
	v_cvt_pk_f16_f32 v53, v72, v73
	ds_write2_b32 v49, v52, v53 offset1:32
	v_cvt_pk_f16_f32 v52, v74, v75
	v_cvt_pk_f16_f32 v53, v78, v79
	ds_write2_b32 v49, v52, v53 offset0:64 offset1:96
	s_waitcnt vmcnt(3)
	ds_write_b128 v45, v[54:57]
	s_waitcnt vmcnt(2)
	ds_write_b128 v46, v[58:61]
	;; [unrolled: 2-line block ×4, first 2 shown]
	s_waitcnt lgkmcnt(0)
	s_barrier
	ds_read_b128 v[52:55], v44
	ds_read_b128 v[56:59], v44 offset:16
	ds_read2_b32 v[60:61], v28 offset1:32
	v_mul_u32_u24_e32 v62, 0x10001, v83
	v_pk_fma_f32 v[14:15], v[14:15], v[76:77], v[80:81]
	s_waitcnt lgkmcnt(2)
	v_mul_u32_u24_sdwa v63, v52, s16 dst_sel:DWORD dst_unused:UNUSED_PAD src0_sel:WORD_0 src1_sel:DWORD
	v_mul_u32_u24_sdwa v52, v52, s16 dst_sel:DWORD dst_unused:UNUSED_PAD src0_sel:WORD_1 src1_sel:DWORD
	s_waitcnt lgkmcnt(0)
	v_pk_mul_f16 v52, v60, v52
	v_pk_mul_f16 v63, v60, v63
	v_pk_fma_f16 v31, v31, v62, v52
	v_mul_u32_u24_sdwa v60, v53, s16 dst_sel:DWORD dst_unused:UNUSED_PAD src0_sel:WORD_0 src1_sel:DWORD
	v_mul_u32_u24_sdwa v62, v53, s16 dst_sel:DWORD dst_unused:UNUSED_PAD src0_sel:WORD_1 src1_sel:DWORD
	ds_read2_b32 v[52:53], v28 offset0:64 offset1:96
	v_pk_fma_f16 v32, v32, v82, v63
	v_pk_fma_f16 v31, v61, v62, v31
	;; [unrolled: 1-line block ×3, first 2 shown]
	v_mul_u32_u24_sdwa v60, v54, s16 dst_sel:DWORD dst_unused:UNUSED_PAD src0_sel:WORD_0 src1_sel:DWORD
	v_mul_u32_u24_sdwa v54, v54, s16 dst_sel:DWORD dst_unused:UNUSED_PAD src0_sel:WORD_1 src1_sel:DWORD
	s_waitcnt lgkmcnt(0)
	v_pk_fma_f16 v32, v52, v60, v32
	v_pk_fma_f16 v31, v52, v54, v31
	v_mul_u32_u24_sdwa v52, v55, s16 dst_sel:DWORD dst_unused:UNUSED_PAD src0_sel:WORD_0 src1_sel:DWORD
	v_mul_u32_u24_sdwa v60, v55, s16 dst_sel:DWORD dst_unused:UNUSED_PAD src0_sel:WORD_1 src1_sel:DWORD
	ds_read2_b32 v[54:55], v28 offset0:128 offset1:160
	v_pk_fma_f16 v32, v53, v52, v32
	v_pk_fma_f16 v31, v53, v60, v31
	v_mul_u32_u24_sdwa v52, v56, s16 dst_sel:DWORD dst_unused:UNUSED_PAD src0_sel:WORD_0 src1_sel:DWORD
	v_mul_u32_u24_sdwa v53, v56, s16 dst_sel:DWORD dst_unused:UNUSED_PAD src0_sel:WORD_1 src1_sel:DWORD
	s_waitcnt lgkmcnt(0)
	v_pk_fma_f16 v32, v54, v52, v32
	v_pk_fma_f16 v31, v54, v53, v31
	v_mul_u32_u24_sdwa v52, v57, s16 dst_sel:DWORD dst_unused:UNUSED_PAD src0_sel:WORD_0 src1_sel:DWORD
	v_mul_u32_u24_sdwa v53, v57, s16 dst_sel:DWORD dst_unused:UNUSED_PAD src0_sel:WORD_1 src1_sel:DWORD
	ds_read2_b32 v[56:57], v28 offset0:192 offset1:224
	v_pk_fma_f16 v32, v55, v52, v32
	v_mul_u32_u24_sdwa v52, v58, s16 dst_sel:DWORD dst_unused:UNUSED_PAD src0_sel:WORD_0 src1_sel:DWORD
	v_pk_fma_f16 v31, v55, v53, v31
	v_mul_u32_u24_sdwa v53, v58, s16 dst_sel:DWORD dst_unused:UNUSED_PAD src0_sel:WORD_1 src1_sel:DWORD
	s_waitcnt lgkmcnt(0)
	v_pk_fma_f16 v32, v56, v52, v32
	v_mul_u32_u24_sdwa v52, v59, s16 dst_sel:DWORD dst_unused:UNUSED_PAD src0_sel:WORD_0 src1_sel:DWORD
	v_pk_fma_f16 v31, v56, v53, v31
	v_pk_fma_f16 v32, v57, v52, v32
	ds_read_b128 v[52:55], v44 offset:32
	v_add_u32_e32 v62, 0x400, v28
	ds_read2_b32 v[60:61], v62 offset1:32
	v_mul_u32_u24_sdwa v56, v59, s16 dst_sel:DWORD dst_unused:UNUSED_PAD src0_sel:WORD_1 src1_sel:DWORD
	v_pk_fma_f16 v31, v57, v56, v31
	ds_read_b128 v[56:59], v44 offset:48
	s_waitcnt lgkmcnt(2)
	v_mul_u32_u24_sdwa v63, v52, s16 dst_sel:DWORD dst_unused:UNUSED_PAD src0_sel:WORD_0 src1_sel:DWORD
	v_mul_u32_u24_sdwa v52, v52, s16 dst_sel:DWORD dst_unused:UNUSED_PAD src0_sel:WORD_1 src1_sel:DWORD
	s_waitcnt lgkmcnt(1)
	v_pk_fma_f16 v32, v60, v63, v32
	v_pk_fma_f16 v31, v60, v52, v31
	v_mul_u32_u24_sdwa v60, v53, s16 dst_sel:DWORD dst_unused:UNUSED_PAD src0_sel:WORD_0 src1_sel:DWORD
	v_mul_u32_u24_sdwa v63, v53, s16 dst_sel:DWORD dst_unused:UNUSED_PAD src0_sel:WORD_1 src1_sel:DWORD
	ds_read2_b32 v[52:53], v62 offset0:64 offset1:96
	v_pk_fma_f16 v32, v61, v60, v32
	v_pk_fma_f16 v31, v61, v63, v31
	v_mul_u32_u24_sdwa v60, v54, s16 dst_sel:DWORD dst_unused:UNUSED_PAD src0_sel:WORD_0 src1_sel:DWORD
	v_mul_u32_u24_sdwa v54, v54, s16 dst_sel:DWORD dst_unused:UNUSED_PAD src0_sel:WORD_1 src1_sel:DWORD
	s_waitcnt lgkmcnt(0)
	v_pk_fma_f16 v32, v52, v60, v32
	v_pk_fma_f16 v31, v52, v54, v31
	v_mul_u32_u24_sdwa v52, v55, s16 dst_sel:DWORD dst_unused:UNUSED_PAD src0_sel:WORD_0 src1_sel:DWORD
	v_mul_u32_u24_sdwa v60, v55, s16 dst_sel:DWORD dst_unused:UNUSED_PAD src0_sel:WORD_1 src1_sel:DWORD
	ds_read2_b32 v[54:55], v62 offset0:128 offset1:160
	v_pk_fma_f16 v32, v53, v52, v32
	v_pk_fma_f16 v31, v53, v60, v31
	v_mul_u32_u24_sdwa v52, v56, s16 dst_sel:DWORD dst_unused:UNUSED_PAD src0_sel:WORD_0 src1_sel:DWORD
	v_mul_u32_u24_sdwa v53, v56, s16 dst_sel:DWORD dst_unused:UNUSED_PAD src0_sel:WORD_1 src1_sel:DWORD
	s_waitcnt lgkmcnt(0)
	v_pk_fma_f16 v32, v54, v52, v32
	v_pk_fma_f16 v31, v54, v53, v31
	v_mul_u32_u24_sdwa v52, v57, s16 dst_sel:DWORD dst_unused:UNUSED_PAD src0_sel:WORD_0 src1_sel:DWORD
	v_mul_u32_u24_sdwa v53, v57, s16 dst_sel:DWORD dst_unused:UNUSED_PAD src0_sel:WORD_1 src1_sel:DWORD
	ds_read2_b32 v[56:57], v62 offset0:192 offset1:224
	v_pk_fma_f16 v32, v55, v52, v32
	v_mul_u32_u24_sdwa v52, v58, s16 dst_sel:DWORD dst_unused:UNUSED_PAD src0_sel:WORD_0 src1_sel:DWORD
	v_pk_fma_f16 v31, v55, v53, v31
	v_mul_u32_u24_sdwa v53, v58, s16 dst_sel:DWORD dst_unused:UNUSED_PAD src0_sel:WORD_1 src1_sel:DWORD
	s_waitcnt lgkmcnt(0)
	v_pk_fma_f16 v32, v56, v52, v32
	v_mul_u32_u24_sdwa v52, v59, s16 dst_sel:DWORD dst_unused:UNUSED_PAD src0_sel:WORD_0 src1_sel:DWORD
	v_pk_fma_f16 v31, v56, v53, v31
	v_pk_fma_f16 v32, v57, v52, v32
	ds_read_b128 v[52:55], v44 offset:64
	v_add_u32_e32 v62, 0x800, v28
	ds_read2_b32 v[60:61], v62 offset1:32
	v_mul_u32_u24_sdwa v56, v59, s16 dst_sel:DWORD dst_unused:UNUSED_PAD src0_sel:WORD_1 src1_sel:DWORD
	v_pk_fma_f16 v31, v57, v56, v31
	ds_read_b128 v[56:59], v44 offset:80
	s_waitcnt lgkmcnt(2)
	v_mul_u32_u24_sdwa v63, v52, s16 dst_sel:DWORD dst_unused:UNUSED_PAD src0_sel:WORD_0 src1_sel:DWORD
	v_mul_u32_u24_sdwa v52, v52, s16 dst_sel:DWORD dst_unused:UNUSED_PAD src0_sel:WORD_1 src1_sel:DWORD
	s_waitcnt lgkmcnt(1)
	v_pk_fma_f16 v32, v60, v63, v32
	v_pk_fma_f16 v31, v60, v52, v31
	v_mul_u32_u24_sdwa v60, v53, s16 dst_sel:DWORD dst_unused:UNUSED_PAD src0_sel:WORD_0 src1_sel:DWORD
	v_mul_u32_u24_sdwa v63, v53, s16 dst_sel:DWORD dst_unused:UNUSED_PAD src0_sel:WORD_1 src1_sel:DWORD
	ds_read2_b32 v[52:53], v62 offset0:64 offset1:96
	v_pk_fma_f16 v32, v61, v60, v32
	v_pk_fma_f16 v31, v61, v63, v31
	;; [unrolled: 44-line block ×15, first 2 shown]
	v_mul_u32_u24_sdwa v60, v54, s16 dst_sel:DWORD dst_unused:UNUSED_PAD src0_sel:WORD_0 src1_sel:DWORD
	v_mul_u32_u24_sdwa v54, v54, s16 dst_sel:DWORD dst_unused:UNUSED_PAD src0_sel:WORD_1 src1_sel:DWORD
	s_waitcnt lgkmcnt(0)
	v_pk_fma_f16 v32, v52, v60, v32
	v_pk_fma_f16 v31, v52, v54, v31
	v_mul_u32_u24_sdwa v52, v55, s16 dst_sel:DWORD dst_unused:UNUSED_PAD src0_sel:WORD_0 src1_sel:DWORD
	v_mul_u32_u24_sdwa v60, v55, s16 dst_sel:DWORD dst_unused:UNUSED_PAD src0_sel:WORD_1 src1_sel:DWORD
	ds_read2_b32 v[54:55], v62 offset0:128 offset1:160
	v_pk_fma_f16 v32, v53, v52, v32
	v_pk_fma_f16 v31, v53, v60, v31
	v_mul_u32_u24_sdwa v52, v56, s16 dst_sel:DWORD dst_unused:UNUSED_PAD src0_sel:WORD_0 src1_sel:DWORD
	v_mul_u32_u24_sdwa v53, v56, s16 dst_sel:DWORD dst_unused:UNUSED_PAD src0_sel:WORD_1 src1_sel:DWORD
	s_waitcnt lgkmcnt(0)
	v_pk_fma_f16 v32, v54, v52, v32
	v_pk_fma_f16 v31, v54, v53, v31
	ds_read2_b32 v[52:53], v62 offset0:192 offset1:224
	s_waitcnt lgkmcnt(0)
	s_barrier
	s_load_dword s17, s[6:7], 0x4
	v_mul_u32_u24_sdwa v54, v57, s16 dst_sel:DWORD dst_unused:UNUSED_PAD src0_sel:WORD_0 src1_sel:DWORD
	v_mul_u32_u24_sdwa v56, v57, s16 dst_sel:DWORD dst_unused:UNUSED_PAD src0_sel:WORD_1 src1_sel:DWORD
	v_pk_fma_f16 v32, v55, v54, v32
	v_pk_fma_f16 v31, v55, v56, v31
	v_mul_u32_u24_sdwa v54, v58, s16 dst_sel:DWORD dst_unused:UNUSED_PAD src0_sel:WORD_0 src1_sel:DWORD
	v_mul_u32_u24_sdwa v55, v58, s16 dst_sel:DWORD dst_unused:UNUSED_PAD src0_sel:WORD_1 src1_sel:DWORD
	s_waitcnt lgkmcnt(0)
	s_lshl_b32 s17, s17, 7
	v_pk_fma_f16 v32, v52, v54, v32
	v_pk_fma_f16 v31, v52, v55, v31
	v_mul_u32_u24_sdwa v52, v59, s16 dst_sel:DWORD dst_unused:UNUSED_PAD src0_sel:WORD_0 src1_sel:DWORD
	v_mul_u32_u24_sdwa v54, v59, s16 dst_sel:DWORD dst_unused:UNUSED_PAD src0_sel:WORD_1 src1_sel:DWORD
	s_add_i32 s43, s17, s43
	v_pk_fma_f16 v32, v53, v52, v32
	s_cmp_lt_i32 s43, s11
	v_pk_fma_f16 v31, v53, v54, v31
	s_cbranch_scc0 .LBB59_28
; %bb.26:                               ;   in Loop: Header=BB59_8 Depth=1
	v_mov_b32_e32 v53, v16
	v_mov_b32_e32 v52, v17
	s_branch .LBB59_8
.LBB59_27:
	v_mov_b32_e32 v16, 0xfeffffff
	v_mov_b32_e32 v17, v16
	;; [unrolled: 1-line block ×5, first 2 shown]
.LBB59_28:
	v_lshlrev_b32_e32 v22, 1, v12
	s_cmp_gt_i32 s12, s43
	s_cbranch_scc1 .LBB59_30
; %bb.29:
	v_mbcnt_hi_u32_b32 v20, -1, v34
	v_and_b32_e32 v0, 0x60, v20
	v_add_u32_e32 v21, 32, v0
	v_xor_b32_e32 v39, 16, v20
	v_xor_b32_e32 v40, 8, v20
	;; [unrolled: 1-line block ×5, first 2 shown]
	s_cbranch_execz .LBB59_31
	s_branch .LBB59_71
.LBB59_30:
                                        ; implicit-def: $vgpr20
                                        ; implicit-def: $vgpr21
                                        ; implicit-def: $vgpr39
                                        ; implicit-def: $vgpr40
                                        ; implicit-def: $vgpr41
                                        ; implicit-def: $vgpr42
                                        ; implicit-def: $vgpr43
.LBB59_31:
	s_mul_hi_i32 s5, s43, s8
	s_mul_i32 s4, s43, s8
	s_sub_i32 s45, s12, s43
	s_lshl_b64 s[4:5], s[4:5], 2
	v_lshl_add_u32 v23, v29, 2, v36
	s_mov_b64 s[6:7], src_private_base
	s_add_u32 s12, s9, s4
	v_mul_lo_u32 v4, s8, v23
	s_mov_b32 s4, 0
	s_addc_u32 s13, s10, s5
	v_and_b32_e32 v0, 28, v28
	v_ashrrev_i32_e32 v5, 31, v4
	s_mov_b32 s6, s4
	v_mov_b32_e32 v19, 0
	v_lshlrev_b32_e32 v18, 2, v0
	s_mov_b32 s5, s4
	v_mov_b32_e32 v42, s6
	v_lshl_add_u64 v[0:1], v[4:5], 2, s[12:13]
	v_mov_b32_e32 v41, s5
	v_mov_b32_e32 v40, s4
	v_lshl_add_u64 v[0:1], v[0:1], 0, v[18:19]
	v_mov_b32_e32 v8, s7
	v_cmp_gt_i32_e64 s[20:21], s45, v23
	v_mov_b32_e32 v9, 0
	scratch_store_dword off, v19, off
	scratch_store_dwordx3 off, v[40:42], off offset:4
	v_cndmask_b32_e64 v1, v8, v1, s[20:21]
	v_cndmask_b32_e64 v0, v9, v0, s[20:21]
	flat_load_dwordx4 v[0:3], v[0:1]
	s_lshl_b32 s8, s8, 5
	v_add_u32_e32 v4, s8, v4
	v_ashrrev_i32_e32 v5, 31, v4
	s_movk_i32 s4, 0x90
	v_add_u32_e32 v36, 32, v23
	v_lshl_add_u64 v[6:7], v[4:5], 2, s[12:13]
	v_mad_u32_u24 v39, v23, s4, v18
	v_lshl_add_u64 v[6:7], v[6:7], 0, v[18:19]
	v_cmp_gt_i32_e64 s[4:5], s45, v36
	scratch_store_dword off, v19, off
	scratch_store_dwordx3 off, v[40:42], off offset:4
	v_cndmask_b32_e64 v7, v8, v7, s[4:5]
	v_cndmask_b32_e64 v6, v9, v6, s[4:5]
	v_add_u32_e32 v4, s8, v4
	v_ashrrev_i32_e32 v5, 31, v4
	v_add_u32_e32 v38, 64, v23
	v_cmp_gt_i32_e64 s[6:7], s45, v38
	v_add_u32_e32 v37, 0x60, v23
	v_mul_u32_u24_e32 v21, 0x90, v12
	s_cmp_lg_u64 s[40:41], 0
	s_cselect_b64 s[10:11], -1, 0
	v_add_u32_e32 v20, s43, v35
	v_cndmask_b32_e64 v35, 0, 1, s[10:11]
	v_cmp_ne_u32_e64 s[10:11], 1, v35
	s_waitcnt vmcnt(0) lgkmcnt(0)
	ds_write_b128 v39, v[0:3]
	flat_load_dwordx4 v[0:3], v[6:7]
	v_lshl_add_u64 v[6:7], v[4:5], 2, s[12:13]
	v_lshl_add_u64 v[6:7], v[6:7], 0, v[18:19]
	v_cndmask_b32_e64 v7, v8, v7, s[6:7]
	v_cndmask_b32_e64 v6, v9, v6, s[6:7]
	scratch_store_dword off, v19, off
	scratch_store_dwordx3 off, v[40:42], off offset:4
	v_add_u32_e32 v4, s8, v4
	v_ashrrev_i32_e32 v5, 31, v4
	v_lshl_add_u64 v[4:5], v[4:5], 2, s[12:13]
	v_lshl_add_u64 v[4:5], v[4:5], 0, v[18:19]
	v_cmp_gt_i32_e64 s[8:9], s45, v37
	v_cmp_gt_i32_e64 s[12:13], s45, v12
	s_waitcnt vmcnt(0) lgkmcnt(0)
	ds_write_b128 v39, v[0:3] offset:4608
	flat_load_dwordx4 v[0:3], v[6:7]
	v_cndmask_b32_e64 v5, v8, v5, s[8:9]
	v_cndmask_b32_e64 v4, v9, v4, s[8:9]
	scratch_store_dword off, v19, off
	scratch_store_dwordx3 off, v[40:42], off offset:4
	v_mov_b32_e32 v6, v19
	v_mov_b32_e32 v7, v19
	s_waitcnt vmcnt(0) lgkmcnt(0)
	ds_write_b128 v39, v[0:3] offset:9216
	flat_load_dwordx4 v[8:11], v[4:5]
	v_mov_b32_e32 v0, v19
	v_mov_b32_e32 v1, v19
	;; [unrolled: 1-line block ×6, first 2 shown]
	s_waitcnt vmcnt(0) lgkmcnt(0)
	ds_write_b128 v39, v[8:11] offset:13824
	s_waitcnt lgkmcnt(0)
	s_barrier
	ds_read_b128 v[8:11], v13 offset:22528
	ds_read_b128 v[40:43], v21
	ds_read_b128 v[44:47], v21 offset:4608
	ds_read_b128 v[48:51], v21 offset:9216
	;; [unrolled: 1-line block ×4, first 2 shown]
	s_waitcnt lgkmcnt(4)
	;;#ASMSTART
	v_dot2_f32_f16 v0, v40, v8, v0
	;;#ASMEND
	s_nop 0
	;;#ASMSTART
	v_dot2_f32_f16 v0, v41, v9, v0
	;;#ASMEND
	s_nop 0
	;; [unrolled: 4-line block ×3, first 2 shown]
	;;#ASMSTART
	v_dot2_f32_f16 v0, v43, v11, v0
	;;#ASMEND
	s_waitcnt lgkmcnt(0)
	;;#ASMSTART
	v_dot2_f32_f16 v1, v40, v56, v1
	;;#ASMEND
	s_nop 0
	;;#ASMSTART
	v_dot2_f32_f16 v1, v41, v57, v1
	;;#ASMEND
	s_nop 0
	;;#ASMSTART
	v_dot2_f32_f16 v1, v42, v58, v1
	;;#ASMEND
	s_nop 0
	;;#ASMSTART
	v_dot2_f32_f16 v1, v43, v59, v1
	;;#ASMEND
	;;#ASMSTART
	v_dot2_f32_f16 v2, v44, v8, v2
	;;#ASMEND
	s_nop 0
	;;#ASMSTART
	v_dot2_f32_f16 v2, v45, v9, v2
	;;#ASMEND
	s_nop 0
	;;#ASMSTART
	v_dot2_f32_f16 v2, v46, v10, v2
	;;#ASMEND
	s_nop 0
	;;#ASMSTART
	v_dot2_f32_f16 v2, v47, v11, v2
	;;#ASMEND
	;; [unrolled: 15-line block ×7, first 2 shown]
	ds_read_b128 v[8:11], v13 offset:22544
	ds_read_b128 v[40:43], v21 offset:16
	;; [unrolled: 1-line block ×6, first 2 shown]
	s_waitcnt lgkmcnt(4)
	;;#ASMSTART
	v_dot2_f32_f16 v0, v40, v8, v0
	;;#ASMEND
	s_nop 0
	;;#ASMSTART
	v_dot2_f32_f16 v0, v41, v9, v0
	;;#ASMEND
	s_nop 0
	;; [unrolled: 4-line block ×3, first 2 shown]
	;;#ASMSTART
	v_dot2_f32_f16 v0, v43, v11, v0
	;;#ASMEND
	s_waitcnt lgkmcnt(0)
	;;#ASMSTART
	v_dot2_f32_f16 v1, v40, v56, v1
	;;#ASMEND
	s_nop 0
	;;#ASMSTART
	v_dot2_f32_f16 v1, v41, v57, v1
	;;#ASMEND
	s_nop 0
	;;#ASMSTART
	v_dot2_f32_f16 v1, v42, v58, v1
	;;#ASMEND
	s_nop 0
	;;#ASMSTART
	v_dot2_f32_f16 v1, v43, v59, v1
	;;#ASMEND
	;;#ASMSTART
	v_dot2_f32_f16 v2, v44, v8, v2
	;;#ASMEND
	s_nop 0
	;;#ASMSTART
	v_dot2_f32_f16 v2, v45, v9, v2
	;;#ASMEND
	s_nop 0
	;;#ASMSTART
	v_dot2_f32_f16 v2, v46, v10, v2
	;;#ASMEND
	s_nop 0
	;;#ASMSTART
	v_dot2_f32_f16 v2, v47, v11, v2
	;;#ASMEND
	;; [unrolled: 15-line block ×7, first 2 shown]
	ds_read_b128 v[8:11], v13 offset:22560
	ds_read_b128 v[40:43], v21 offset:32
	;; [unrolled: 1-line block ×6, first 2 shown]
	s_waitcnt lgkmcnt(4)
	;;#ASMSTART
	v_dot2_f32_f16 v0, v40, v8, v0
	;;#ASMEND
	s_nop 0
	;;#ASMSTART
	v_dot2_f32_f16 v0, v41, v9, v0
	;;#ASMEND
	s_nop 0
	;; [unrolled: 4-line block ×3, first 2 shown]
	;;#ASMSTART
	v_dot2_f32_f16 v0, v43, v11, v0
	;;#ASMEND
	s_waitcnt lgkmcnt(0)
	;;#ASMSTART
	v_dot2_f32_f16 v1, v40, v56, v1
	;;#ASMEND
	s_nop 0
	;;#ASMSTART
	v_dot2_f32_f16 v1, v41, v57, v1
	;;#ASMEND
	s_nop 0
	;;#ASMSTART
	v_dot2_f32_f16 v1, v42, v58, v1
	;;#ASMEND
	s_nop 0
	;;#ASMSTART
	v_dot2_f32_f16 v1, v43, v59, v1
	;;#ASMEND
	;;#ASMSTART
	v_dot2_f32_f16 v2, v44, v8, v2
	;;#ASMEND
	s_nop 0
	;;#ASMSTART
	v_dot2_f32_f16 v2, v45, v9, v2
	;;#ASMEND
	s_nop 0
	;;#ASMSTART
	v_dot2_f32_f16 v2, v46, v10, v2
	;;#ASMEND
	s_nop 0
	;;#ASMSTART
	v_dot2_f32_f16 v2, v47, v11, v2
	;;#ASMEND
	;;#ASMSTART
	v_dot2_f32_f16 v3, v44, v56, v3
	;;#ASMEND
	s_nop 0
	;;#ASMSTART
	v_dot2_f32_f16 v3, v45, v57, v3
	;;#ASMEND
	s_nop 0
	;;#ASMSTART
	v_dot2_f32_f16 v3, v46, v58, v3
	;;#ASMEND
	s_nop 0
	;;#ASMSTART
	v_dot2_f32_f16 v3, v47, v59, v3
	;;#ASMEND
	;;#ASMSTART
	v_dot2_f32_f16 v4, v48, v8, v4
	;;#ASMEND
	s_nop 0
	;;#ASMSTART
	v_dot2_f32_f16 v4, v49, v9, v4
	;;#ASMEND
	s_nop 0
	;;#ASMSTART
	v_dot2_f32_f16 v4, v50, v10, v4
	;;#ASMEND
	s_nop 0
	;;#ASMSTART
	v_dot2_f32_f16 v4, v51, v11, v4
	;;#ASMEND
	;;#ASMSTART
	v_dot2_f32_f16 v5, v48, v56, v5
	;;#ASMEND
	s_nop 0
	;;#ASMSTART
	v_dot2_f32_f16 v5, v49, v57, v5
	;;#ASMEND
	s_nop 0
	;;#ASMSTART
	v_dot2_f32_f16 v5, v50, v58, v5
	;;#ASMEND
	s_nop 0
	;;#ASMSTART
	v_dot2_f32_f16 v5, v51, v59, v5
	;;#ASMEND
	;;#ASMSTART
	v_dot2_f32_f16 v6, v52, v8, v6
	;;#ASMEND
	s_nop 0
	;;#ASMSTART
	v_dot2_f32_f16 v6, v53, v9, v6
	;;#ASMEND
	s_nop 0
	;;#ASMSTART
	v_dot2_f32_f16 v6, v54, v10, v6
	;;#ASMEND
	s_nop 0
	;;#ASMSTART
	v_dot2_f32_f16 v6, v55, v11, v6
	;;#ASMEND
	;;#ASMSTART
	v_dot2_f32_f16 v7, v52, v56, v7
	;;#ASMEND
	s_nop 0
	;;#ASMSTART
	v_dot2_f32_f16 v7, v53, v57, v7
	;;#ASMEND
	s_nop 0
	;;#ASMSTART
	v_dot2_f32_f16 v7, v54, v58, v7
	;;#ASMEND
	s_nop 0
	;;#ASMSTART
	v_dot2_f32_f16 v7, v55, v59, v7
	;;#ASMEND
	ds_read_b128 v[8:11], v13 offset:22576
	ds_read_b128 v[40:43], v21 offset:48
	;; [unrolled: 1-line block ×6, first 2 shown]
	s_waitcnt lgkmcnt(4)
	;;#ASMSTART
	v_dot2_f32_f16 v0, v40, v8, v0
	;;#ASMEND
	s_nop 0
	;;#ASMSTART
	v_dot2_f32_f16 v0, v41, v9, v0
	;;#ASMEND
	s_nop 0
	;; [unrolled: 4-line block ×3, first 2 shown]
	;;#ASMSTART
	v_dot2_f32_f16 v0, v43, v11, v0
	;;#ASMEND
	s_waitcnt lgkmcnt(0)
	;;#ASMSTART
	v_dot2_f32_f16 v1, v40, v56, v1
	;;#ASMEND
	s_nop 0
	;;#ASMSTART
	v_dot2_f32_f16 v1, v41, v57, v1
	;;#ASMEND
	s_nop 0
	;;#ASMSTART
	v_dot2_f32_f16 v1, v42, v58, v1
	;;#ASMEND
	s_nop 0
	;;#ASMSTART
	v_dot2_f32_f16 v1, v43, v59, v1
	;;#ASMEND
	;;#ASMSTART
	v_dot2_f32_f16 v2, v44, v8, v2
	;;#ASMEND
	s_nop 0
	;;#ASMSTART
	v_dot2_f32_f16 v2, v45, v9, v2
	;;#ASMEND
	s_nop 0
	;;#ASMSTART
	v_dot2_f32_f16 v2, v46, v10, v2
	;;#ASMEND
	s_nop 0
	;;#ASMSTART
	v_dot2_f32_f16 v2, v47, v11, v2
	;;#ASMEND
	;; [unrolled: 15-line block ×7, first 2 shown]
	ds_read_b128 v[8:11], v13 offset:22592
	ds_read_b128 v[40:43], v21 offset:64
	;; [unrolled: 1-line block ×6, first 2 shown]
	s_waitcnt lgkmcnt(4)
	;;#ASMSTART
	v_dot2_f32_f16 v0, v40, v8, v0
	;;#ASMEND
	s_nop 0
	;;#ASMSTART
	v_dot2_f32_f16 v0, v41, v9, v0
	;;#ASMEND
	s_nop 0
	;; [unrolled: 4-line block ×3, first 2 shown]
	;;#ASMSTART
	v_dot2_f32_f16 v0, v43, v11, v0
	;;#ASMEND
	s_waitcnt lgkmcnt(0)
	;;#ASMSTART
	v_dot2_f32_f16 v1, v40, v56, v1
	;;#ASMEND
	s_nop 0
	;;#ASMSTART
	v_dot2_f32_f16 v1, v41, v57, v1
	;;#ASMEND
	s_nop 0
	;;#ASMSTART
	v_dot2_f32_f16 v1, v42, v58, v1
	;;#ASMEND
	s_nop 0
	;;#ASMSTART
	v_dot2_f32_f16 v1, v43, v59, v1
	;;#ASMEND
	;;#ASMSTART
	v_dot2_f32_f16 v2, v44, v8, v2
	;;#ASMEND
	s_nop 0
	;;#ASMSTART
	v_dot2_f32_f16 v2, v45, v9, v2
	;;#ASMEND
	s_nop 0
	;;#ASMSTART
	v_dot2_f32_f16 v2, v46, v10, v2
	;;#ASMEND
	s_nop 0
	;;#ASMSTART
	v_dot2_f32_f16 v2, v47, v11, v2
	;;#ASMEND
	;; [unrolled: 15-line block ×7, first 2 shown]
	ds_read_b128 v[8:11], v13 offset:22608
	ds_read_b128 v[40:43], v21 offset:80
	;; [unrolled: 1-line block ×6, first 2 shown]
	s_waitcnt lgkmcnt(4)
	;;#ASMSTART
	v_dot2_f32_f16 v0, v40, v8, v0
	;;#ASMEND
	s_nop 0
	;;#ASMSTART
	v_dot2_f32_f16 v0, v41, v9, v0
	;;#ASMEND
	s_nop 0
	;; [unrolled: 4-line block ×3, first 2 shown]
	;;#ASMSTART
	v_dot2_f32_f16 v0, v43, v11, v0
	;;#ASMEND
	s_waitcnt lgkmcnt(0)
	;;#ASMSTART
	v_dot2_f32_f16 v1, v40, v56, v1
	;;#ASMEND
	s_nop 0
	;;#ASMSTART
	v_dot2_f32_f16 v1, v41, v57, v1
	;;#ASMEND
	s_nop 0
	;;#ASMSTART
	v_dot2_f32_f16 v1, v42, v58, v1
	;;#ASMEND
	s_nop 0
	;;#ASMSTART
	v_dot2_f32_f16 v1, v43, v59, v1
	;;#ASMEND
	;;#ASMSTART
	v_dot2_f32_f16 v2, v44, v8, v2
	;;#ASMEND
	s_nop 0
	;;#ASMSTART
	v_dot2_f32_f16 v2, v45, v9, v2
	;;#ASMEND
	s_nop 0
	;;#ASMSTART
	v_dot2_f32_f16 v2, v46, v10, v2
	;;#ASMEND
	s_nop 0
	;;#ASMSTART
	v_dot2_f32_f16 v2, v47, v11, v2
	;;#ASMEND
	;; [unrolled: 15-line block ×7, first 2 shown]
	ds_read_b128 v[8:11], v13 offset:22624
	ds_read_b128 v[40:43], v21 offset:96
	ds_read_b128 v[44:47], v21 offset:4704
	ds_read_b128 v[48:51], v21 offset:9312
	ds_read_b128 v[52:55], v21 offset:13920
	ds_read_b128 v[56:59], v13 offset:22752
	s_waitcnt lgkmcnt(4)
	;;#ASMSTART
	v_dot2_f32_f16 v0, v40, v8, v0
	;;#ASMEND
	s_nop 0
	;;#ASMSTART
	v_dot2_f32_f16 v0, v41, v9, v0
	;;#ASMEND
	s_nop 0
	;; [unrolled: 4-line block ×3, first 2 shown]
	;;#ASMSTART
	v_dot2_f32_f16 v0, v43, v11, v0
	;;#ASMEND
	s_waitcnt lgkmcnt(0)
	;;#ASMSTART
	v_dot2_f32_f16 v1, v40, v56, v1
	;;#ASMEND
	s_nop 0
	;;#ASMSTART
	v_dot2_f32_f16 v1, v41, v57, v1
	;;#ASMEND
	s_nop 0
	;;#ASMSTART
	v_dot2_f32_f16 v1, v42, v58, v1
	;;#ASMEND
	s_nop 0
	;;#ASMSTART
	v_dot2_f32_f16 v1, v43, v59, v1
	;;#ASMEND
	;;#ASMSTART
	v_dot2_f32_f16 v2, v44, v8, v2
	;;#ASMEND
	s_nop 0
	;;#ASMSTART
	v_dot2_f32_f16 v2, v45, v9, v2
	;;#ASMEND
	s_nop 0
	;;#ASMSTART
	v_dot2_f32_f16 v2, v46, v10, v2
	;;#ASMEND
	s_nop 0
	;;#ASMSTART
	v_dot2_f32_f16 v2, v47, v11, v2
	;;#ASMEND
	;; [unrolled: 15-line block ×7, first 2 shown]
	ds_read_b128 v[8:11], v13 offset:22640
	ds_read_b128 v[40:43], v21 offset:112
	;; [unrolled: 1-line block ×6, first 2 shown]
	s_waitcnt lgkmcnt(4)
	;;#ASMSTART
	v_dot2_f32_f16 v0, v40, v8, v0
	;;#ASMEND
	s_nop 0
	;;#ASMSTART
	v_dot2_f32_f16 v0, v41, v9, v0
	;;#ASMEND
	s_nop 0
	;; [unrolled: 4-line block ×3, first 2 shown]
	;;#ASMSTART
	v_dot2_f32_f16 v0, v43, v11, v0
	;;#ASMEND
	s_waitcnt lgkmcnt(0)
	;;#ASMSTART
	v_dot2_f32_f16 v1, v40, v56, v1
	;;#ASMEND
	s_nop 0
	;;#ASMSTART
	v_dot2_f32_f16 v1, v41, v57, v1
	;;#ASMEND
	s_nop 0
	;;#ASMSTART
	v_dot2_f32_f16 v1, v42, v58, v1
	;;#ASMEND
	s_nop 0
	;;#ASMSTART
	v_dot2_f32_f16 v1, v43, v59, v1
	;;#ASMEND
	;;#ASMSTART
	v_dot2_f32_f16 v2, v44, v8, v2
	;;#ASMEND
	s_nop 0
	;;#ASMSTART
	v_dot2_f32_f16 v2, v45, v9, v2
	;;#ASMEND
	s_nop 0
	;;#ASMSTART
	v_dot2_f32_f16 v2, v46, v10, v2
	;;#ASMEND
	s_nop 0
	;;#ASMSTART
	v_dot2_f32_f16 v2, v47, v11, v2
	;;#ASMEND
	;; [unrolled: 15-line block ×5, first 2 shown]
	;;#ASMSTART
	v_dot2_f32_f16 v6, v52, v8, v6
	;;#ASMEND
	s_nop 0
	;;#ASMSTART
	v_dot2_f32_f16 v6, v53, v9, v6
	;;#ASMEND
	v_mov_b64_e32 v[8:9], v[16:17]
	;;#ASMSTART
	v_dot2_f32_f16 v6, v54, v10, v6
	;;#ASMEND
	s_nop 0
	;;#ASMSTART
	v_dot2_f32_f16 v6, v55, v11, v6
	;;#ASMEND
	;;#ASMSTART
	v_dot2_f32_f16 v7, v52, v56, v7
	;;#ASMEND
	s_nop 0
	;;#ASMSTART
	v_dot2_f32_f16 v7, v53, v57, v7
	;;#ASMEND
	s_nop 0
	;; [unrolled: 4-line block ×3, first 2 shown]
	;;#ASMSTART
	v_dot2_f32_f16 v7, v55, v59, v7
	;;#ASMEND
	s_and_saveexec_b64 s[14:15], s[12:13]
	s_cbranch_execz .LBB59_35
; %bb.32:
	s_and_b64 vcc, exec, s[10:11]
	s_cbranch_vccnz .LBB59_34
; %bb.33:
	v_add_u32_e32 v8, v20, v12
	v_ashrrev_i32_e32 v9, 31, v8
	v_lshl_add_u64 v[8:9], v[8:9], 1, s[40:41]
	global_load_ushort v8, v[8:9], off
	s_waitcnt vmcnt(0)
	v_cvt_f32_f16_e32 v8, v8
	v_mul_f32_e32 v19, v30, v8
.LBB59_34:
	v_add_f32_e32 v0, v0, v19
	v_add_f32_e32 v8, 0x40051340, v0
	v_max_f32_e32 v9, v16, v16
	v_max_f32_e32 v8, v9, v8
	v_mov_b32_e32 v9, v17
.LBB59_35:
	s_or_b64 exec, exec, s[14:15]
	v_add_u32_e32 v19, 32, v12
	v_cmp_gt_i32_e64 s[14:15], s45, v19
	s_and_saveexec_b64 s[16:17], s[14:15]
	s_cbranch_execz .LBB59_40
; %bb.36:
	s_and_b64 vcc, exec, s[10:11]
	s_cbranch_vccnz .LBB59_38
; %bb.37:
	v_ashrrev_i32_e32 v21, 31, v20
	v_mov_b32_e32 v13, 0
	v_lshl_add_u64 v[10:11], v[20:21], 0, v[12:13]
	v_lshl_add_u64 v[10:11], v[10:11], 1, s[40:41]
	global_load_ushort v10, v[10:11], off offset:64
	s_waitcnt vmcnt(0)
	v_cvt_f32_f16_e32 v10, v10
	v_mul_f32_e32 v10, v30, v10
	s_branch .LBB59_39
.LBB59_38:
	v_mov_b32_e32 v10, 0
.LBB59_39:
	v_add_f32_e32 v2, v2, v10
	v_add_f32_e32 v10, 0x40051340, v2
	v_max_f32_e32 v8, v8, v8
	v_max_f32_e32 v8, v8, v10
.LBB59_40:
	s_or_b64 exec, exec, s[16:17]
	v_add_u32_e32 v35, 64, v12
	v_cmp_gt_i32_e64 s[16:17], s45, v35
	s_and_saveexec_b64 s[18:19], s[16:17]
	s_cbranch_execz .LBB59_45
; %bb.41:
	s_and_b64 vcc, exec, s[10:11]
	s_cbranch_vccnz .LBB59_43
; %bb.42:
	v_ashrrev_i32_e32 v21, 31, v20
	v_mov_b32_e32 v13, 0
	v_lshl_add_u64 v[10:11], v[20:21], 0, v[12:13]
	v_lshl_add_u64 v[10:11], v[10:11], 1, s[40:41]
	global_load_ushort v10, v[10:11], off offset:128
	s_waitcnt vmcnt(0)
	v_cvt_f32_f16_e32 v10, v10
	v_mul_f32_e32 v10, v30, v10
	s_branch .LBB59_44
.LBB59_43:
	v_mov_b32_e32 v10, 0
.LBB59_44:
	v_add_f32_e32 v4, v4, v10
	v_add_f32_e32 v10, 0x40051340, v4
	v_max_f32_e32 v8, v8, v8
	v_max_f32_e32 v8, v8, v10
.LBB59_45:
	;; [unrolled: 26-line block ×3, first 2 shown]
	s_or_b64 exec, exec, s[22:23]
	v_mbcnt_hi_u32_b32 v20, -1, v34
	v_and_b32_e32 v10, 0x60, v20
	v_add_u32_e32 v21, 32, v10
	v_xor_b32_e32 v39, 16, v20
	v_cmp_lt_i32_e32 vcc, v39, v21
	v_xor_b32_e32 v40, 8, v20
	v_xor_b32_e32 v41, 4, v20
	v_cndmask_b32_e32 v10, v20, v39, vcc
	v_lshlrev_b32_e32 v34, 2, v10
	ds_bpermute_b32 v10, v34, v8
	v_cmp_lt_i32_e32 vcc, v40, v21
	v_max_f32_e32 v8, v8, v8
	v_xor_b32_e32 v42, 2, v20
	v_cndmask_b32_e32 v11, v20, v40, vcc
	s_waitcnt lgkmcnt(0)
	v_max_f32_e32 v10, v10, v10
	v_lshlrev_b32_e32 v47, 2, v11
	v_max_f32_e32 v8, v8, v10
	ds_bpermute_b32 v10, v47, v8
	v_cmp_lt_i32_e32 vcc, v41, v21
	v_xor_b32_e32 v43, 1, v20
	s_waitcnt lgkmcnt(0)
	v_max_f32_e32 v10, v10, v10
	v_cndmask_b32_e32 v11, v20, v41, vcc
	v_lshlrev_b32_e32 v48, 2, v11
	v_max_f32_e32 v8, v8, v10
	ds_bpermute_b32 v10, v48, v8
	v_cmp_lt_i32_e32 vcc, v42, v21
	s_waitcnt lgkmcnt(0)
	v_max_f32_e32 v10, v10, v10
	v_cndmask_b32_e32 v11, v20, v42, vcc
	v_lshlrev_b32_e32 v46, 2, v11
	v_max_f32_e32 v8, v8, v10
	ds_bpermute_b32 v10, v46, v8
	v_cmp_lt_i32_e32 vcc, v43, v21
	s_waitcnt lgkmcnt(0)
	v_max_f32_e32 v10, v10, v10
	v_cndmask_b32_e32 v11, v20, v43, vcc
	v_lshlrev_b32_e32 v45, 2, v11
	v_max_f32_e32 v8, v8, v10
	ds_bpermute_b32 v10, v45, v8
	v_mul_hi_u32 v11, s36, v33
	s_waitcnt lgkmcnt(0)
	v_max_f32_e32 v10, v10, v10
	v_max_f32_e32 v8, v8, v10
	v_add_u32_e32 v10, v33, v11
	v_lshrrev_b32_e32 v10, s37, v10
	v_mul_lo_u32 v10, v10, s38
	v_sub_u32_e32 v10, v33, v10
	v_mul_lo_u32 v10, v10, s44
	v_add_u32_e32 v10, s43, v10
	s_and_saveexec_b64 s[22:23], s[12:13]
	s_cbranch_execnz .LBB59_54
; %bb.51:
	s_or_b64 exec, exec, s[22:23]
	s_and_saveexec_b64 s[12:13], s[14:15]
	s_cbranch_execnz .LBB59_58
.LBB59_52:
	s_or_b64 exec, exec, s[12:13]
	s_and_saveexec_b64 s[12:13], s[16:17]
	s_cbranch_execnz .LBB59_62
.LBB59_53:
	s_or_b64 exec, exec, s[12:13]
	s_and_saveexec_b64 s[12:13], s[18:19]
	s_cbranch_execnz .LBB59_66
	s_branch .LBB59_70
.LBB59_54:
	s_and_b64 vcc, exec, s[10:11]
	s_cbranch_vccnz .LBB59_56
; %bb.55:
	v_add_u32_e32 v50, v10, v12
	v_ashrrev_i32_e32 v51, 31, v50
	v_lshl_add_u64 v[50:51], v[50:51], 1, s[40:41]
	global_load_ushort v11, v[50:51], off
	s_waitcnt vmcnt(0)
	v_cvt_f32_f16_e32 v11, v11
	v_mul_f32_e32 v11, v30, v11
	s_branch .LBB59_57
.LBB59_56:
	v_mov_b32_e32 v11, 0
.LBB59_57:
	v_add_f32_e32 v1, v1, v11
	v_add_f32_e32 v11, 0x40051340, v1
	v_max_f32_e32 v9, v9, v9
	v_max_f32_e32 v9, v9, v11
	s_or_b64 exec, exec, s[22:23]
	s_and_saveexec_b64 s[12:13], s[14:15]
	s_cbranch_execz .LBB59_52
.LBB59_58:
	s_and_b64 vcc, exec, s[10:11]
	s_cbranch_vccnz .LBB59_60
; %bb.59:
	v_ashrrev_i32_e32 v11, 31, v10
	v_mov_b32_e32 v13, 0
	v_lshl_add_u64 v[50:51], v[10:11], 0, v[12:13]
	v_lshl_add_u64 v[50:51], v[50:51], 1, s[40:41]
	global_load_ushort v11, v[50:51], off offset:64
	s_waitcnt vmcnt(0)
	v_cvt_f32_f16_e32 v11, v11
	v_mul_f32_e32 v11, v30, v11
	s_branch .LBB59_61
.LBB59_60:
	v_mov_b32_e32 v11, 0
.LBB59_61:
	v_add_f32_e32 v3, v3, v11
	v_add_f32_e32 v11, 0x40051340, v3
	v_max_f32_e32 v9, v9, v9
	v_max_f32_e32 v9, v9, v11
	s_or_b64 exec, exec, s[12:13]
	s_and_saveexec_b64 s[12:13], s[16:17]
	s_cbranch_execz .LBB59_53
.LBB59_62:
	s_and_b64 vcc, exec, s[10:11]
	s_cbranch_vccnz .LBB59_64
; %bb.63:
	v_ashrrev_i32_e32 v11, 31, v10
	v_mov_b32_e32 v13, 0
	v_lshl_add_u64 v[50:51], v[10:11], 0, v[12:13]
	v_lshl_add_u64 v[50:51], v[50:51], 1, s[40:41]
	global_load_ushort v11, v[50:51], off offset:128
	s_waitcnt vmcnt(0)
	v_cvt_f32_f16_e32 v11, v11
	v_mul_f32_e32 v11, v30, v11
	s_branch .LBB59_65
.LBB59_64:
	v_mov_b32_e32 v11, 0
.LBB59_65:
	v_add_f32_e32 v5, v5, v11
	v_add_f32_e32 v11, 0x40051340, v5
	v_max_f32_e32 v9, v9, v9
	v_max_f32_e32 v9, v9, v11
	s_or_b64 exec, exec, s[12:13]
	s_and_saveexec_b64 s[12:13], s[18:19]
	s_cbranch_execz .LBB59_70
.LBB59_66:
	s_and_b64 vcc, exec, s[10:11]
	s_cbranch_vccnz .LBB59_68
; %bb.67:
	v_ashrrev_i32_e32 v11, 31, v10
	v_mov_b32_e32 v13, 0
	v_lshl_add_u64 v[10:11], v[10:11], 0, v[12:13]
	v_lshl_add_u64 v[10:11], v[10:11], 1, s[40:41]
	global_load_ushort v10, v[10:11], off offset:192
	s_waitcnt vmcnt(0)
	v_cvt_f32_f16_e32 v10, v10
	v_mul_f32_e32 v10, v30, v10
	s_branch .LBB59_69
.LBB59_68:
	v_mov_b32_e32 v10, 0
.LBB59_69:
	v_add_f32_e32 v7, v7, v10
	v_add_f32_e32 v10, 0x40051340, v7
	v_max_f32_e32 v9, v9, v9
	v_max_f32_e32 v9, v9, v10
.LBB59_70:
	s_or_b64 exec, exec, s[12:13]
	ds_bpermute_b32 v10, v34, v9
	v_max_f32_e32 v9, v9, v9
	s_mov_b64 s[18:19], src_private_base
	v_sub_f32_e32 v0, v0, v8
	s_mov_b32 s18, 0x3fb8aa3b
	s_waitcnt lgkmcnt(0)
	v_max_f32_e32 v10, v10, v10
	v_max_f32_e32 v9, v9, v10
	ds_bpermute_b32 v11, v47, v9
	v_mul_f32_e32 v13, 0x3fb8aa3b, v0
	v_lshlrev_b32_e32 v10, 9, v29
	v_fma_f32 v29, v0, s18, -v13
	v_rndne_f32_e32 v30, v13
	s_waitcnt lgkmcnt(0)
	v_max_f32_e32 v11, v11, v11
	v_max_f32_e32 v9, v9, v11
	ds_bpermute_b32 v11, v48, v9
	v_fmac_f32_e32 v29, 0x32a5705f, v0
	v_sub_f32_e32 v13, v13, v30
	v_add_f32_e32 v13, v13, v29
	v_cvt_i32_f32_e32 v30, v30
	s_waitcnt lgkmcnt(0)
	v_max_f32_e32 v11, v11, v11
	v_max_f32_e32 v9, v9, v11
	ds_bpermute_b32 v11, v46, v9
	v_exp_f32_e32 v13, v13
	v_sub_f32_e32 v2, v2, v8
	v_mul_f32_e32 v29, 0x3fb8aa3b, v2
	v_rndne_f32_e32 v33, v29
	s_waitcnt lgkmcnt(0)
	v_max_f32_e32 v11, v11, v11
	v_max_f32_e32 v9, v9, v11
	ds_bpermute_b32 v11, v45, v9
	v_ldexp_f32 v13, v13, v30
	v_fma_f32 v30, v2, s18, -v29
	v_fmac_f32_e32 v30, 0x32a5705f, v2
	v_sub_f32_e32 v29, v29, v33
	v_add_f32_e32 v29, v29, v30
	s_mov_b32 s22, 0xc2ce8ed0
	v_exp_f32_e32 v29, v29
	v_cvt_i32_f32_e32 v30, v33
	v_cmp_ngt_f32_e32 vcc, s22, v0
	s_waitcnt lgkmcnt(0)
	v_max_f32_e32 v11, v11, v11
	s_mov_b32 s23, 0x42b17218
	v_cndmask_b32_e32 v13, 0, v13, vcc
	v_max_f32_e32 v9, v9, v11
	v_mov_b32_e32 v11, 0x7f800000
	v_cmp_nlt_f32_e32 vcc, s23, v0
	v_sub_f32_e32 v4, v4, v8
	v_cmp_ngt_f32_e64 s[10:11], s22, v2
	v_cndmask_b32_e32 v0, v11, v13, vcc
	v_cmp_gt_u32_e32 vcc, s45, v12
	v_cmp_ngt_f32_e64 s[12:13], s22, v4
	v_sub_f32_e32 v1, v1, v9
	v_cndmask_b32_e32 v13, 0, v0, vcc
	v_ldexp_f32 v0, v29, v30
	v_mul_f32_e32 v29, 0x3fb8aa3b, v4
	v_fma_f32 v30, v4, s18, -v29
	v_rndne_f32_e32 v33, v29
	v_fmac_f32_e32 v30, 0x32a5705f, v4
	v_sub_f32_e32 v29, v29, v33
	v_add_f32_e32 v29, v29, v30
	v_exp_f32_e32 v29, v29
	v_cvt_i32_f32_e32 v30, v33
	v_cndmask_b32_e64 v0, 0, v0, s[10:11]
	v_cmp_nlt_f32_e64 s[10:11], s23, v2
	v_sub_f32_e32 v2, v6, v8
	v_mul_f32_e32 v6, 0x3fb8aa3b, v2
	v_cndmask_b32_e64 v0, v11, v0, s[10:11]
	v_cmp_gt_u32_e64 s[10:11], s45, v19
	v_cmp_ngt_f32_e64 s[14:15], s22, v2
	v_cmp_ngt_f32_e64 s[16:17], s22, v1
	v_cndmask_b32_e64 v33, 0, v0, s[10:11]
	v_ldexp_f32 v0, v29, v30
	v_fma_f32 v29, v2, s18, -v6
	v_rndne_f32_e32 v30, v6
	v_fmac_f32_e32 v29, 0x32a5705f, v2
	v_sub_f32_e32 v6, v6, v30
	v_add_f32_e32 v6, v6, v29
	v_exp_f32_e32 v6, v6
	v_cvt_i32_f32_e32 v29, v30
	v_cndmask_b32_e64 v0, 0, v0, s[12:13]
	v_cmp_nlt_f32_e64 s[12:13], s23, v4
	v_mul_f32_e32 v4, 0x3fb8aa3b, v1
	s_nop 0
	v_cndmask_b32_e64 v0, v11, v0, s[12:13]
	v_cmp_gt_u32_e64 s[12:13], s45, v35
	s_barrier
	s_nop 0
	v_cndmask_b32_e64 v30, 0, v0, s[12:13]
	v_ldexp_f32 v0, v6, v29
	v_fma_f32 v6, v1, s18, -v4
	v_rndne_f32_e32 v29, v4
	v_fmac_f32_e32 v6, 0x32a5705f, v1
	v_sub_f32_e32 v4, v4, v29
	v_add_f32_e32 v4, v4, v6
	v_exp_f32_e32 v4, v4
	v_cvt_i32_f32_e32 v6, v29
	v_cndmask_b32_e64 v0, 0, v0, s[14:15]
	v_cmp_nlt_f32_e64 s[14:15], s23, v2
	v_sub_f32_e32 v2, v3, v9
	v_mul_f32_e32 v3, 0x3fb8aa3b, v2
	v_cndmask_b32_e64 v0, v11, v0, s[14:15]
	v_cmp_gt_u32_e64 s[14:15], s45, v44
	v_add_u32_e32 v90, 0xc00, v28
	s_nop 0
	v_cndmask_b32_e64 v29, 0, v0, s[14:15]
	v_ldexp_f32 v0, v4, v6
	v_fma_f32 v4, v2, s18, -v3
	v_rndne_f32_e32 v6, v3
	v_fmac_f32_e32 v4, 0x32a5705f, v2
	v_sub_f32_e32 v3, v3, v6
	v_add_f32_e32 v3, v3, v4
	v_exp_f32_e32 v3, v3
	v_cvt_i32_f32_e32 v4, v6
	v_cndmask_b32_e64 v0, 0, v0, s[16:17]
	v_cmp_nlt_f32_e64 s[16:17], s23, v1
	v_sub_f32_e32 v1, v5, v9
	s_nop 0
	v_cndmask_b32_e64 v0, v11, v0, s[16:17]
	v_cndmask_b32_e32 v34, 0, v0, vcc
	v_ldexp_f32 v0, v3, v4
	v_mul_f32_e32 v3, 0x3fb8aa3b, v1
	v_fma_f32 v4, v1, s18, -v3
	v_rndne_f32_e32 v5, v3
	v_fmac_f32_e32 v4, 0x32a5705f, v1
	v_sub_f32_e32 v3, v3, v5
	v_add_f32_e32 v3, v3, v4
	v_exp_f32_e32 v3, v3
	v_cvt_i32_f32_e32 v4, v5
	v_cmp_ngt_f32_e32 vcc, s22, v2
	s_nop 1
	v_cndmask_b32_e32 v0, 0, v0, vcc
	v_cmp_nlt_f32_e32 vcc, s23, v2
	v_sub_f32_e32 v2, v7, v9
	s_nop 0
	v_cndmask_b32_e32 v0, v11, v0, vcc
	v_cndmask_b32_e64 v45, 0, v0, s[10:11]
	v_ldexp_f32 v0, v3, v4
	v_mul_f32_e32 v3, 0x3fb8aa3b, v2
	v_fma_f32 v4, v2, s18, -v3
	v_rndne_f32_e32 v5, v3
	v_fmac_f32_e32 v4, 0x32a5705f, v2
	v_sub_f32_e32 v3, v3, v5
	v_add_f32_e32 v3, v3, v4
	v_exp_f32_e32 v3, v3
	v_cvt_i32_f32_e32 v4, v5
	v_cmp_ngt_f32_e32 vcc, s22, v1
	s_mul_hi_i32 s11, s43, s2
	s_mul_i32 s10, s43, s2
	v_cndmask_b32_e32 v0, 0, v0, vcc
	v_cmp_nlt_f32_e32 vcc, s23, v1
	s_lshl_b64 s[10:11], s[10:11], 2
	s_add_u32 s10, s26, s10
	v_cndmask_b32_e32 v0, v11, v0, vcc
	v_cndmask_b32_e64 v46, 0, v0, s[12:13]
	v_ldexp_f32 v0, v3, v4
	v_cmp_ngt_f32_e32 vcc, s22, v2
	v_mul_lo_u32 v4, s2, v23
	s_mov_b32 s12, 0
	v_cndmask_b32_e32 v0, 0, v0, vcc
	v_cmp_nlt_f32_e32 vcc, s23, v2
	v_cvt_pk_f16_f32 v2, v13, v34
	s_addc_u32 s11, s27, s11
	v_cndmask_b32_e32 v0, v11, v0, vcc
	v_cndmask_b32_e64 v47, 0, v0, s[14:15]
	v_add_u32_e32 v0, 0x4800, v10
	v_add_u32_e32 v1, v0, v28
	ds_write_b32 v1, v2
	v_lshl_add_u32 v1, v19, 2, v0
	v_cvt_pk_f16_f32 v2, v33, v45
	ds_write_b32 v1, v2
	v_lshl_add_u32 v1, v35, 2, v0
	v_cvt_pk_f16_f32 v2, v30, v46
	;; [unrolled: 3-line block ×3, first 2 shown]
	v_ashrrev_i32_e32 v5, 31, v4
	s_mov_b32 s14, s12
	ds_write_b32 v0, v1
	v_lshl_add_u64 v[0:1], v[4:5], 2, s[10:11]
	v_mov_b32_e32 v19, 0
	s_mov_b32 s13, s12
	v_mov_b32_e32 v50, s14
	v_lshl_add_u64 v[0:1], v[0:1], 0, v[18:19]
	v_mov_b32_e32 v49, s13
	v_mov_b32_e32 v48, s12
	v_mov_b32_e32 v35, s19
	v_mov_b32_e32 v44, 0
	scratch_store_dword off, v19, off
	scratch_store_dwordx3 off, v[48:50], off offset:4
	v_cndmask_b32_e64 v1, v35, v1, s[20:21]
	v_cndmask_b32_e64 v0, v44, v0, s[20:21]
	flat_load_dwordx4 v[0:3], v[0:1]
	s_lshl_b32 s2, s2, 5
	v_add_u32_e32 v4, s2, v4
	v_ashrrev_i32_e32 v5, 31, v4
	v_lshl_add_u64 v[6:7], v[4:5], 2, s[10:11]
	v_lshl_or_b32 v23, v23, 7, v18
	v_lshl_add_u64 v[6:7], v[6:7], 0, v[18:19]
	v_add_u32_e32 v4, s2, v4
	v_ashrrev_i32_e32 v5, 31, v4
	s_waitcnt vmcnt(0) lgkmcnt(0)
	ds_write_b128 v23, v[0:3]
	scratch_store_dword off, v19, off
	scratch_store_dwordx3 off, v[48:50], off offset:4
	v_cndmask_b32_e64 v1, v35, v7, s[4:5]
	v_cndmask_b32_e64 v0, v44, v6, s[4:5]
	flat_load_dwordx4 v[0:3], v[0:1]
	v_lshl_add_u64 v[6:7], v[4:5], 2, s[10:11]
	v_lshl_or_b32 v23, v36, 7, v18
	v_lshl_add_u64 v[6:7], v[6:7], 0, v[18:19]
	v_cndmask_b32_e64 v7, v35, v7, s[6:7]
	v_cndmask_b32_e64 v6, v44, v6, s[6:7]
	scratch_store_dword off, v19, off
	scratch_store_dwordx3 off, v[48:50], off offset:4
	v_add_u32_e32 v4, s2, v4
	v_ashrrev_i32_e32 v5, 31, v4
	v_lshl_add_u64 v[4:5], v[4:5], 2, s[10:11]
	v_lshl_add_u64 v[4:5], v[4:5], 0, v[18:19]
	v_cndmask_b32_e64 v5, v35, v5, s[8:9]
	v_cndmask_b32_e64 v4, v44, v4, s[8:9]
	s_mov_b32 s2, 0x10001
	s_waitcnt vmcnt(0) lgkmcnt(0)
	ds_write_b128 v23, v[0:3]
	flat_load_dwordx4 v[0:3], v[6:7]
	v_lshl_or_b32 v6, v38, 7, v18
	scratch_store_dword off, v19, off
	scratch_store_dwordx3 off, v[48:50], off offset:4
	v_add_u32_e32 v23, 0x400, v28
	v_add_u32_e32 v38, 0x800, v28
	s_waitcnt vmcnt(0) lgkmcnt(0)
	ds_write_b128 v6, v[0:3]
	flat_load_dwordx4 v[2:5], v[4:5]
	v_sub_f32_e32 v0, v16, v8
	v_mul_f32_e32 v1, 0x3fb8aa3b, v0
	v_fma_f32 v7, v0, s18, -v1
	v_rndne_f32_e32 v16, v1
	v_fmac_f32_e32 v7, 0x32a5705f, v0
	v_sub_f32_e32 v1, v1, v16
	v_add_f32_e32 v1, v1, v7
	v_cvt_i32_f32_e32 v16, v16
	v_exp_f32_e32 v1, v1
	v_cmp_ngt_f32_e32 vcc, s22, v0
	v_lshl_or_b32 v6, v37, 7, v18
	v_ldexp_f32 v1, v1, v16
	v_cndmask_b32_e32 v1, 0, v1, vcc
	v_cmp_nlt_f32_e32 vcc, s23, v0
	v_add_f32_e32 v0, v13, v33
	v_sub_f32_e32 v13, v17, v9
	v_mul_f32_e32 v16, 0x3fb8aa3b, v13
	v_fma_f32 v17, v13, s18, -v16
	v_rndne_f32_e32 v18, v16
	v_fmac_f32_e32 v17, 0x32a5705f, v13
	v_sub_f32_e32 v16, v16, v18
	v_add_f32_e32 v16, v16, v17
	v_cvt_i32_f32_e32 v18, v18
	v_exp_f32_e32 v16, v16
	v_cndmask_b32_e32 v1, v11, v1, vcc
	v_cvt_f16_f32_e32 v7, v1
	v_add_f32_e32 v0, v30, v0
	v_add_f32_e32 v0, v29, v0
	v_fmac_f32_e32 v0, v14, v1
	v_ldexp_f32 v1, v16, v18
	v_cmp_ngt_f32_e32 vcc, s22, v13
	v_mul_u32_u24_e32 v29, 0x10001, v7
	s_waitcnt vmcnt(0) lgkmcnt(0)
	ds_write_b128 v6, v[2:5]
	v_cndmask_b32_e32 v1, 0, v1, vcc
	v_cmp_nlt_f32_e32 vcc, s23, v13
	s_waitcnt lgkmcnt(0)
	s_barrier
	v_cndmask_b32_e32 v7, v11, v1, vcc
	v_add_f32_e32 v1, v34, v45
	v_cvt_f16_f32_e32 v11, v7
	v_add_f32_e32 v1, v46, v1
	v_add_f32_e32 v1, v47, v1
	v_fmac_f32_e32 v1, v15, v7
	ds_read2_b32 v[6:7], v28 offset1:32
	ds_read2_b32 v[18:19], v28 offset0:64 offset1:96
	ds_read2_b32 v[64:65], v28 offset0:128 offset1:160
	ds_read_b128 v[2:5], v10 offset:18432
	ds_read_b128 v[14:17], v10 offset:18448
	ds_read2_b32 v[66:67], v28 offset0:192 offset1:224
	ds_read2_b32 v[68:69], v23 offset1:32
	ds_read_b128 v[34:37], v10 offset:18464
	ds_read_b128 v[44:47], v10 offset:18480
	;; [unrolled: 1-line block ×4, first 2 shown]
	ds_read2_b32 v[70:71], v23 offset0:64 offset1:96
	ds_read2_b32 v[72:73], v23 offset0:128 offset1:160
	ds_read_b128 v[56:59], v10 offset:18528
	ds_read_b128 v[60:63], v10 offset:18544
	ds_read2_b32 v[74:75], v23 offset0:192 offset1:224
	ds_read2_b32 v[76:77], v38 offset1:32
	ds_read2_b32 v[78:79], v38 offset0:64 offset1:96
	ds_read2_b32 v[80:81], v38 offset0:128 offset1:160
	;; [unrolled: 1-line block ×3, first 2 shown]
	ds_read2_b32 v[84:85], v90 offset1:32
	ds_read2_b32 v[86:87], v90 offset0:64 offset1:96
	ds_read2_b32 v[88:89], v90 offset0:128 offset1:160
	s_waitcnt lgkmcnt(14)
	v_mul_u32_u24_sdwa v13, v2, s2 dst_sel:DWORD dst_unused:UNUSED_PAD src0_sel:WORD_0 src1_sel:DWORD
	v_mul_u32_u24_sdwa v2, v2, s2 dst_sel:DWORD dst_unused:UNUSED_PAD src0_sel:WORD_1 src1_sel:DWORD
	v_mul_u32_u24_e32 v11, 0x10001, v11
	v_pk_mul_f16 v13, v6, v13
	v_pk_mul_f16 v2, v6, v2
	v_mul_u32_u24_sdwa v23, v3, s2 dst_sel:DWORD dst_unused:UNUSED_PAD src0_sel:WORD_0 src1_sel:DWORD
	v_mul_u32_u24_sdwa v3, v3, s2 dst_sel:DWORD dst_unused:UNUSED_PAD src0_sel:WORD_1 src1_sel:DWORD
	v_pk_fma_f16 v6, v32, v29, v13
	v_pk_fma_f16 v2, v31, v11, v2
	v_mul_u32_u24_sdwa v30, v4, s2 dst_sel:DWORD dst_unused:UNUSED_PAD src0_sel:WORD_0 src1_sel:DWORD
	v_mul_u32_u24_sdwa v4, v4, s2 dst_sel:DWORD dst_unused:UNUSED_PAD src0_sel:WORD_1 src1_sel:DWORD
	v_pk_fma_f16 v6, v7, v23, v6
	v_pk_fma_f16 v2, v7, v3, v2
	;; [unrolled: 4-line block ×10, first 2 shown]
	v_mul_u32_u24_sdwa v97, v37, s2 dst_sel:DWORD dst_unused:UNUSED_PAD src0_sel:WORD_0 src1_sel:DWORD
	v_mul_u32_u24_sdwa v37, v37, s2 dst_sel:DWORD dst_unused:UNUSED_PAD src0_sel:WORD_1 src1_sel:DWORD
	s_waitcnt lgkmcnt(11)
	v_pk_fma_f16 v3, v70, v96, v3
	v_pk_fma_f16 v2, v70, v36, v2
	v_mul_u32_u24_sdwa v98, v44, s2 dst_sel:DWORD dst_unused:UNUSED_PAD src0_sel:WORD_0 src1_sel:DWORD
	v_mul_u32_u24_sdwa v44, v44, s2 dst_sel:DWORD dst_unused:UNUSED_PAD src0_sel:WORD_1 src1_sel:DWORD
	v_pk_fma_f16 v3, v71, v97, v3
	v_pk_fma_f16 v2, v71, v37, v2
	v_mul_u32_u24_sdwa v99, v45, s2 dst_sel:DWORD dst_unused:UNUSED_PAD src0_sel:WORD_0 src1_sel:DWORD
	v_mul_u32_u24_sdwa v45, v45, s2 dst_sel:DWORD dst_unused:UNUSED_PAD src0_sel:WORD_1 src1_sel:DWORD
	s_waitcnt lgkmcnt(10)
	v_pk_fma_f16 v3, v72, v98, v3
	v_pk_fma_f16 v2, v72, v44, v2
	v_mul_u32_u24_sdwa v100, v46, s2 dst_sel:DWORD dst_unused:UNUSED_PAD src0_sel:WORD_0 src1_sel:DWORD
	v_mul_u32_u24_sdwa v46, v46, s2 dst_sel:DWORD dst_unused:UNUSED_PAD src0_sel:WORD_1 src1_sel:DWORD
	v_pk_fma_f16 v3, v73, v99, v3
	v_pk_fma_f16 v2, v73, v45, v2
	;; [unrolled: 9-line block ×8, first 2 shown]
	ds_read2_b32 v[6:7], v90 offset0:192 offset1:224
	v_mul_u32_u24_sdwa v113, v59, s2 dst_sel:DWORD dst_unused:UNUSED_PAD src0_sel:WORD_0 src1_sel:DWORD
	v_mul_u32_u24_sdwa v59, v59, s2 dst_sel:DWORD dst_unused:UNUSED_PAD src0_sel:WORD_1 src1_sel:DWORD
	s_waitcnt lgkmcnt(2)
	v_pk_fma_f16 v3, v86, v112, v3
	v_pk_fma_f16 v2, v86, v58, v2
	v_mul_u32_u24_sdwa v114, v60, s2 dst_sel:DWORD dst_unused:UNUSED_PAD src0_sel:WORD_0 src1_sel:DWORD
	v_mul_u32_u24_sdwa v60, v60, s2 dst_sel:DWORD dst_unused:UNUSED_PAD src0_sel:WORD_1 src1_sel:DWORD
	v_pk_fma_f16 v3, v87, v113, v3
	v_pk_fma_f16 v2, v87, v59, v2
	v_mul_u32_u24_sdwa v115, v61, s2 dst_sel:DWORD dst_unused:UNUSED_PAD src0_sel:WORD_0 src1_sel:DWORD
	v_mul_u32_u24_sdwa v61, v61, s2 dst_sel:DWORD dst_unused:UNUSED_PAD src0_sel:WORD_1 src1_sel:DWORD
	s_waitcnt lgkmcnt(1)
	v_pk_fma_f16 v3, v88, v114, v3
	v_pk_fma_f16 v2, v88, v60, v2
	;; [unrolled: 1-line block ×4, first 2 shown]
	v_mul_u32_u24_sdwa v4, v62, s2 dst_sel:DWORD dst_unused:UNUSED_PAD src0_sel:WORD_0 src1_sel:DWORD
	v_mul_u32_u24_sdwa v5, v62, s2 dst_sel:DWORD dst_unused:UNUSED_PAD src0_sel:WORD_1 src1_sel:DWORD
	s_waitcnt lgkmcnt(0)
	v_pk_fma_f16 v3, v6, v4, v3
	v_pk_fma_f16 v6, v6, v5, v2
	v_mul_u32_u24_sdwa v2, v63, s2 dst_sel:DWORD dst_unused:UNUSED_PAD src0_sel:WORD_0 src1_sel:DWORD
	v_pk_fma_f16 v13, v7, v2, v3
	ds_read_b128 v[2:5], v10 offset:18560
	ds_read_b128 v[14:17], v10 offset:18576
	v_add_u32_e32 v23, 0x1000, v28
	ds_read2_b32 v[18:19], v23 offset1:32
	v_mul_u32_u24_sdwa v11, v63, s2 dst_sel:DWORD dst_unused:UNUSED_PAD src0_sel:WORD_1 src1_sel:DWORD
	v_pk_fma_f16 v6, v7, v11, v6
	s_waitcnt lgkmcnt(2)
	v_mul_u32_u24_sdwa v7, v2, s2 dst_sel:DWORD dst_unused:UNUSED_PAD src0_sel:WORD_0 src1_sel:DWORD
	v_mul_u32_u24_sdwa v2, v2, s2 dst_sel:DWORD dst_unused:UNUSED_PAD src0_sel:WORD_1 src1_sel:DWORD
	s_waitcnt lgkmcnt(0)
	v_pk_fma_f16 v7, v18, v7, v13
	v_pk_fma_f16 v6, v18, v2, v6
	v_mul_u32_u24_sdwa v11, v3, s2 dst_sel:DWORD dst_unused:UNUSED_PAD src0_sel:WORD_0 src1_sel:DWORD
	v_mul_u32_u24_sdwa v13, v3, s2 dst_sel:DWORD dst_unused:UNUSED_PAD src0_sel:WORD_1 src1_sel:DWORD
	ds_read2_b32 v[2:3], v23 offset0:64 offset1:96
	v_pk_fma_f16 v7, v19, v11, v7
	v_pk_fma_f16 v6, v19, v13, v6
	v_mul_u32_u24_sdwa v11, v4, s2 dst_sel:DWORD dst_unused:UNUSED_PAD src0_sel:WORD_0 src1_sel:DWORD
	v_mul_u32_u24_sdwa v4, v4, s2 dst_sel:DWORD dst_unused:UNUSED_PAD src0_sel:WORD_1 src1_sel:DWORD
	s_waitcnt lgkmcnt(0)
	v_pk_fma_f16 v7, v2, v11, v7
	v_pk_fma_f16 v2, v2, v4, v6
	v_mul_u32_u24_sdwa v6, v5, s2 dst_sel:DWORD dst_unused:UNUSED_PAD src0_sel:WORD_0 src1_sel:DWORD
	v_mul_u32_u24_sdwa v11, v5, s2 dst_sel:DWORD dst_unused:UNUSED_PAD src0_sel:WORD_1 src1_sel:DWORD
	ds_read2_b32 v[4:5], v23 offset0:128 offset1:160
	v_pk_fma_f16 v6, v3, v6, v7
	v_pk_fma_f16 v2, v3, v11, v2
	v_mul_u32_u24_sdwa v3, v14, s2 dst_sel:DWORD dst_unused:UNUSED_PAD src0_sel:WORD_0 src1_sel:DWORD
	v_mul_u32_u24_sdwa v7, v14, s2 dst_sel:DWORD dst_unused:UNUSED_PAD src0_sel:WORD_1 src1_sel:DWORD
	s_waitcnt lgkmcnt(0)
	v_pk_fma_f16 v3, v4, v3, v6
	v_pk_fma_f16 v2, v4, v7, v2
	ds_read2_b32 v[6:7], v23 offset0:192 offset1:224
	v_mul_u32_u24_sdwa v4, v15, s2 dst_sel:DWORD dst_unused:UNUSED_PAD src0_sel:WORD_0 src1_sel:DWORD
	v_mul_u32_u24_sdwa v11, v15, s2 dst_sel:DWORD dst_unused:UNUSED_PAD src0_sel:WORD_1 src1_sel:DWORD
	v_pk_fma_f16 v3, v5, v4, v3
	v_pk_fma_f16 v2, v5, v11, v2
	v_mul_u32_u24_sdwa v4, v16, s2 dst_sel:DWORD dst_unused:UNUSED_PAD src0_sel:WORD_0 src1_sel:DWORD
	v_mul_u32_u24_sdwa v5, v16, s2 dst_sel:DWORD dst_unused:UNUSED_PAD src0_sel:WORD_1 src1_sel:DWORD
	s_waitcnt lgkmcnt(0)
	v_pk_fma_f16 v3, v6, v4, v3
	v_pk_fma_f16 v6, v6, v5, v2
	v_mul_u32_u24_sdwa v2, v17, s2 dst_sel:DWORD dst_unused:UNUSED_PAD src0_sel:WORD_0 src1_sel:DWORD
	v_pk_fma_f16 v13, v7, v2, v3
	ds_read_b128 v[2:5], v10 offset:18592
	v_add_u32_e32 v23, 0x1400, v28
	ds_read2_b32 v[18:19], v23 offset1:32
	v_mul_u32_u24_sdwa v11, v17, s2 dst_sel:DWORD dst_unused:UNUSED_PAD src0_sel:WORD_1 src1_sel:DWORD
	v_pk_fma_f16 v6, v7, v11, v6
	ds_read_b128 v[14:17], v10 offset:18608
	s_waitcnt lgkmcnt(2)
	v_mul_u32_u24_sdwa v7, v2, s2 dst_sel:DWORD dst_unused:UNUSED_PAD src0_sel:WORD_0 src1_sel:DWORD
	v_mul_u32_u24_sdwa v2, v2, s2 dst_sel:DWORD dst_unused:UNUSED_PAD src0_sel:WORD_1 src1_sel:DWORD
	s_waitcnt lgkmcnt(1)
	v_pk_fma_f16 v7, v18, v7, v13
	v_pk_fma_f16 v6, v18, v2, v6
	v_mul_u32_u24_sdwa v11, v3, s2 dst_sel:DWORD dst_unused:UNUSED_PAD src0_sel:WORD_0 src1_sel:DWORD
	v_mul_u32_u24_sdwa v13, v3, s2 dst_sel:DWORD dst_unused:UNUSED_PAD src0_sel:WORD_1 src1_sel:DWORD
	ds_read2_b32 v[2:3], v23 offset0:64 offset1:96
	v_pk_fma_f16 v7, v19, v11, v7
	v_pk_fma_f16 v6, v19, v13, v6
	v_mul_u32_u24_sdwa v11, v4, s2 dst_sel:DWORD dst_unused:UNUSED_PAD src0_sel:WORD_0 src1_sel:DWORD
	v_mul_u32_u24_sdwa v4, v4, s2 dst_sel:DWORD dst_unused:UNUSED_PAD src0_sel:WORD_1 src1_sel:DWORD
	s_waitcnt lgkmcnt(0)
	v_pk_fma_f16 v7, v2, v11, v7
	v_pk_fma_f16 v2, v2, v4, v6
	v_mul_u32_u24_sdwa v6, v5, s2 dst_sel:DWORD dst_unused:UNUSED_PAD src0_sel:WORD_0 src1_sel:DWORD
	v_mul_u32_u24_sdwa v11, v5, s2 dst_sel:DWORD dst_unused:UNUSED_PAD src0_sel:WORD_1 src1_sel:DWORD
	ds_read2_b32 v[4:5], v23 offset0:128 offset1:160
	v_pk_fma_f16 v6, v3, v6, v7
	v_pk_fma_f16 v2, v3, v11, v2
	v_mul_u32_u24_sdwa v3, v14, s2 dst_sel:DWORD dst_unused:UNUSED_PAD src0_sel:WORD_0 src1_sel:DWORD
	v_mul_u32_u24_sdwa v7, v14, s2 dst_sel:DWORD dst_unused:UNUSED_PAD src0_sel:WORD_1 src1_sel:DWORD
	s_waitcnt lgkmcnt(0)
	v_pk_fma_f16 v3, v4, v3, v6
	v_pk_fma_f16 v2, v4, v7, v2
	ds_read2_b32 v[6:7], v23 offset0:192 offset1:224
	v_mul_u32_u24_sdwa v4, v15, s2 dst_sel:DWORD dst_unused:UNUSED_PAD src0_sel:WORD_0 src1_sel:DWORD
	v_mul_u32_u24_sdwa v11, v15, s2 dst_sel:DWORD dst_unused:UNUSED_PAD src0_sel:WORD_1 src1_sel:DWORD
	v_pk_fma_f16 v3, v5, v4, v3
	v_pk_fma_f16 v2, v5, v11, v2
	v_mul_u32_u24_sdwa v4, v16, s2 dst_sel:DWORD dst_unused:UNUSED_PAD src0_sel:WORD_0 src1_sel:DWORD
	v_mul_u32_u24_sdwa v5, v16, s2 dst_sel:DWORD dst_unused:UNUSED_PAD src0_sel:WORD_1 src1_sel:DWORD
	s_waitcnt lgkmcnt(0)
	v_pk_fma_f16 v3, v6, v4, v3
	v_pk_fma_f16 v6, v6, v5, v2
	v_mul_u32_u24_sdwa v2, v17, s2 dst_sel:DWORD dst_unused:UNUSED_PAD src0_sel:WORD_0 src1_sel:DWORD
	v_pk_fma_f16 v13, v7, v2, v3
	ds_read_b128 v[2:5], v10 offset:18624
	v_add_u32_e32 v23, 0x1800, v28
	ds_read2_b32 v[18:19], v23 offset1:32
	v_mul_u32_u24_sdwa v11, v17, s2 dst_sel:DWORD dst_unused:UNUSED_PAD src0_sel:WORD_1 src1_sel:DWORD
	v_pk_fma_f16 v6, v7, v11, v6
	ds_read_b128 v[14:17], v10 offset:18640
	;; [unrolled: 44-line block ×11, first 2 shown]
	s_waitcnt lgkmcnt(2)
	v_mul_u32_u24_sdwa v7, v2, s2 dst_sel:DWORD dst_unused:UNUSED_PAD src0_sel:WORD_0 src1_sel:DWORD
	v_mul_u32_u24_sdwa v2, v2, s2 dst_sel:DWORD dst_unused:UNUSED_PAD src0_sel:WORD_1 src1_sel:DWORD
	s_waitcnt lgkmcnt(1)
	v_pk_fma_f16 v6, v18, v2, v6
	v_mul_u32_u24_sdwa v10, v3, s2 dst_sel:DWORD dst_unused:UNUSED_PAD src0_sel:WORD_0 src1_sel:DWORD
	v_mul_u32_u24_sdwa v11, v3, s2 dst_sel:DWORD dst_unused:UNUSED_PAD src0_sel:WORD_1 src1_sel:DWORD
	ds_read2_b32 v[2:3], v23 offset0:64 offset1:96
	v_pk_fma_f16 v7, v18, v7, v13
	v_pk_fma_f16 v6, v19, v11, v6
	;; [unrolled: 1-line block ×3, first 2 shown]
	v_mul_u32_u24_sdwa v10, v4, s2 dst_sel:DWORD dst_unused:UNUSED_PAD src0_sel:WORD_0 src1_sel:DWORD
	v_mul_u32_u24_sdwa v4, v4, s2 dst_sel:DWORD dst_unused:UNUSED_PAD src0_sel:WORD_1 src1_sel:DWORD
	s_waitcnt lgkmcnt(0)
	v_pk_fma_f16 v7, v2, v10, v7
	v_pk_fma_f16 v2, v2, v4, v6
	v_mul_u32_u24_sdwa v6, v5, s2 dst_sel:DWORD dst_unused:UNUSED_PAD src0_sel:WORD_0 src1_sel:DWORD
	v_mul_u32_u24_sdwa v10, v5, s2 dst_sel:DWORD dst_unused:UNUSED_PAD src0_sel:WORD_1 src1_sel:DWORD
	ds_read2_b32 v[4:5], v23 offset0:128 offset1:160
	v_pk_fma_f16 v6, v3, v6, v7
	v_pk_fma_f16 v2, v3, v10, v2
	v_mul_u32_u24_sdwa v3, v14, s2 dst_sel:DWORD dst_unused:UNUSED_PAD src0_sel:WORD_0 src1_sel:DWORD
	v_mul_u32_u24_sdwa v7, v14, s2 dst_sel:DWORD dst_unused:UNUSED_PAD src0_sel:WORD_1 src1_sel:DWORD
	s_waitcnt lgkmcnt(0)
	v_pk_fma_f16 v6, v4, v3, v6
	v_pk_fma_f16 v4, v4, v7, v2
	ds_read2_b32 v[2:3], v23 offset0:192 offset1:224
	v_mul_u32_u24_sdwa v7, v15, s2 dst_sel:DWORD dst_unused:UNUSED_PAD src0_sel:WORD_0 src1_sel:DWORD
	v_mul_u32_u24_sdwa v10, v15, s2 dst_sel:DWORD dst_unused:UNUSED_PAD src0_sel:WORD_1 src1_sel:DWORD
	v_pk_fma_f16 v6, v5, v7, v6
	v_pk_fma_f16 v4, v5, v10, v4
	v_mul_u32_u24_sdwa v5, v16, s2 dst_sel:DWORD dst_unused:UNUSED_PAD src0_sel:WORD_0 src1_sel:DWORD
	v_mul_u32_u24_sdwa v7, v16, s2 dst_sel:DWORD dst_unused:UNUSED_PAD src0_sel:WORD_1 src1_sel:DWORD
	s_waitcnt lgkmcnt(0)
	v_pk_fma_f16 v5, v2, v5, v6
	v_pk_fma_f16 v2, v2, v7, v4
	v_mul_u32_u24_sdwa v4, v17, s2 dst_sel:DWORD dst_unused:UNUSED_PAD src0_sel:WORD_0 src1_sel:DWORD
	v_mul_u32_u24_sdwa v6, v17, s2 dst_sel:DWORD dst_unused:UNUSED_PAD src0_sel:WORD_1 src1_sel:DWORD
	v_pk_fma_f16 v32, v3, v4, v5
	v_pk_fma_f16 v31, v3, v6, v2
	v_mov_b64_e32 v[16:17], v[8:9]
	v_mov_b64_e32 v[14:15], v[0:1]
	s_barrier
.LBB59_71:
	v_cmp_lt_i32_e32 vcc, v39, v21
	s_cmp_eq_u64 s[24:25], 0
	s_cselect_b64 s[4:5], -1, 0
	v_cndmask_b32_e32 v0, v20, v39, vcc
	v_lshlrev_b32_e32 v1, 2, v0
	ds_bpermute_b32 v0, v1, v14
	ds_bpermute_b32 v1, v1, v15
	v_cmp_lt_i32_e32 vcc, v40, v21
	s_cmp_lg_u32 s3, 0
	s_cselect_b64 s[6:7], -1, 0
	v_cndmask_b32_e32 v2, v20, v40, vcc
	v_lshlrev_b32_e32 v3, 2, v2
	s_waitcnt lgkmcnt(0)
	v_pk_add_f32 v[0:1], v[14:15], v[0:1]
	ds_bpermute_b32 v2, v3, v0
	ds_bpermute_b32 v3, v3, v1
	v_cmp_lt_i32_e32 vcc, v41, v21
	s_or_b64 s[4:5], s[6:7], s[4:5]
	s_waitcnt lgkmcnt(0)
	v_pk_add_f32 v[0:1], v[0:1], v[2:3]
	v_cndmask_b32_e32 v4, v20, v41, vcc
	v_lshlrev_b32_e32 v4, 2, v4
	ds_bpermute_b32 v2, v4, v0
	ds_bpermute_b32 v3, v4, v1
	v_cmp_lt_i32_e32 vcc, v42, v21
	s_waitcnt lgkmcnt(0)
	v_pk_add_f32 v[0:1], v[0:1], v[2:3]
	v_cndmask_b32_e32 v4, v20, v42, vcc
	v_lshlrev_b32_e32 v4, 2, v4
	ds_bpermute_b32 v2, v4, v0
	ds_bpermute_b32 v3, v4, v1
	v_cmp_lt_i32_e32 vcc, v43, v21
	s_waitcnt lgkmcnt(0)
	v_pk_add_f32 v[0:1], v[0:1], v[2:3]
	v_cndmask_b32_e32 v4, v20, v43, vcc
	v_lshlrev_b32_e32 v4, 2, v4
	ds_bpermute_b32 v2, v4, v0
	ds_bpermute_b32 v3, v4, v1
	s_and_b64 vcc, exec, s[4:5]
	s_waitcnt lgkmcnt(0)
	v_pk_add_f32 v[0:1], v[0:1], v[2:3]
	s_cbranch_vccnz .LBB59_73
; %bb.72:
	s_lshl_b64 s[4:5], s[34:35], 2
	s_add_u32 s4, s24, s4
	s_addc_u32 s5, s25, s5
	v_mov_b32_e32 v2, 0
	global_load_dword v4, v2, s[4:5]
	v_max_f32_e32 v2, v16, v16
	v_max_f32_e32 v3, v17, v17
	s_mov_b32 s2, 0x3fb8aa3b
	s_mov_b32 s4, 0xc2ce8ed0
	;; [unrolled: 1-line block ×3, first 2 shown]
	v_mov_b32_e32 v7, 0x7f800000
	s_waitcnt vmcnt(0)
	v_max_f32_e32 v5, v4, v4
	v_max_f32_e32 v2, v2, v5
	;; [unrolled: 1-line block ×3, first 2 shown]
	v_sub_f32_e32 v5, v16, v2
	v_sub_f32_e32 v6, v4, v2
	;; [unrolled: 1-line block ×3, first 2 shown]
	v_mul_f32_e32 v4, 0x3fb8aa3b, v5
	v_sub_f32_e32 v8, v17, v3
	v_mul_f32_e32 v10, 0x3fb8aa3b, v6
	v_fma_f32 v14, v5, s2, -v4
	v_rndne_f32_e32 v15, v4
	v_mul_f32_e32 v11, 0x3fb8aa3b, v8
	v_fma_f32 v16, v6, s2, -v10
	v_rndne_f32_e32 v17, v10
	v_fmac_f32_e32 v14, 0x32a5705f, v5
	v_sub_f32_e32 v4, v4, v15
	v_mul_f32_e32 v13, 0x3fb8aa3b, v9
	v_fma_f32 v18, v8, s2, -v11
	v_rndne_f32_e32 v19, v11
	v_fmac_f32_e32 v16, 0x32a5705f, v6
	v_sub_f32_e32 v10, v10, v17
	v_add_f32_e32 v4, v4, v14
	v_fma_f32 v20, v9, s2, -v13
	v_rndne_f32_e32 v21, v13
	v_cvt_i32_f32_e32 v15, v15
	v_fmac_f32_e32 v18, 0x32a5705f, v8
	v_sub_f32_e32 v11, v11, v19
	v_add_f32_e32 v10, v10, v16
	v_exp_f32_e32 v4, v4
	v_cvt_i32_f32_e32 v17, v17
	v_fmac_f32_e32 v20, 0x32a5705f, v9
	v_sub_f32_e32 v13, v13, v21
	v_add_f32_e32 v11, v11, v18
	v_exp_f32_e32 v10, v10
	v_cvt_i32_f32_e32 v19, v19
	v_add_f32_e32 v13, v13, v20
	v_exp_f32_e32 v11, v11
	v_cvt_i32_f32_e32 v21, v21
	v_exp_f32_e32 v13, v13
	v_ldexp_f32 v4, v4, v15
	v_cmp_ngt_f32_e32 vcc, s4, v5
	v_ldexp_f32 v10, v10, v17
	v_ldexp_f32 v11, v11, v19
	v_cndmask_b32_e32 v4, 0, v4, vcc
	v_cmp_ngt_f32_e32 vcc, s4, v6
	v_ldexp_f32 v13, v13, v21
	v_mov_b64_e32 v[16:17], v[2:3]
	v_cndmask_b32_e32 v10, 0, v10, vcc
	v_cmp_ngt_f32_e32 vcc, s4, v8
	s_nop 1
	v_cndmask_b32_e32 v11, 0, v11, vcc
	v_cmp_ngt_f32_e32 vcc, s4, v9
	s_nop 1
	v_cndmask_b32_e32 v13, 0, v13, vcc
	v_cmp_nlt_f32_e32 vcc, s5, v5
	s_nop 1
	v_cndmask_b32_e32 v4, v7, v4, vcc
	v_cmp_nlt_f32_e32 vcc, s5, v6
	;; [unrolled: 3-line block ×3, first 2 shown]
	v_cvt_f16_f32_e32 v8, v4
	s_nop 0
	v_cndmask_b32_e32 v5, v7, v11, vcc
	v_cvt_f16_f32_e32 v10, v5
	v_cmp_nlt_f32_e32 vcc, s5, v9
	s_nop 1
	v_cndmask_b32_e32 v7, v7, v13, vcc
	v_pk_fma_f32 v[0:1], v[0:1], v[4:5], v[6:7]
	v_mul_u32_u24_e32 v4, 0x10001, v8
	v_mul_u32_u24_e32 v5, 0x10001, v10
	v_pk_mul_f16 v32, v32, v4
	v_pk_mul_f16 v31, v31, v5
.LBB59_73:
	v_cmp_gt_i32_e32 vcc, s38, v27
	s_and_saveexec_b64 s[4:5], vcc
	s_cbranch_execz .LBB59_83
; %bb.74:
	s_load_dword s2, s[0:1], 0xd4
	v_mov_b32_e32 v2, 1.0
	s_waitcnt lgkmcnt(0)
	s_cmp_lg_u32 s2, 1
	s_cselect_b64 s[4:5], -1, 0
	s_cmp_eq_u32 s2, 1
	s_cselect_b64 s[0:1], -1, 0
	s_and_b64 vcc, exec, s[4:5]
	s_cbranch_vccnz .LBB59_76
; %bb.75:
	v_div_scale_f32 v2, s[6:7], v0, v0, 1.0
	v_rcp_f32_e32 v3, v2
	v_div_scale_f32 v4, vcc, 1.0, v0, 1.0
	v_fma_f32 v5, -v2, v3, 1.0
	v_fmac_f32_e32 v3, v5, v3
	v_mul_f32_e32 v5, v4, v3
	v_fma_f32 v6, -v2, v5, v4
	v_fmac_f32_e32 v5, v6, v3
	v_fma_f32 v2, -v2, v5, v4
	v_div_fmas_f32 v2, v2, v3, v5
	v_div_fixup_f32 v2, v2, v0, 1.0
.LBB59_76:
	s_mul_i32 s8, s33, s38
	s_add_i32 s8, s8, s42
	v_add_u32_e32 v3, s8, v26
	v_mul_lo_u32 v3, v3, s39
	v_add_u32_e32 v3, s34, v3
	v_cvt_f32_f16_sdwa v7, v32 dst_sel:DWORD dst_unused:UNUSED_PAD src0_sel:WORD_1
	v_cvt_f32_f16_e32 v6, v32
	v_mul_lo_u32 v3, s2, v3
	v_add_u32_e32 v4, s3, v3
	v_cmp_eq_u32_e32 vcc, 0, v12
	v_lshl_add_u32 v8, v4, 6, v22
	v_mov_b32_e32 v9, 0
	v_lshl_add_u64 v[8:9], v[8:9], 2, s[28:29]
	v_pk_mul_f32 v[2:3], v[2:3], v[6:7] op_sel_hi:[0,1]
	s_and_b64 s[4:5], vcc, s[4:5]
	global_store_dwordx2 v[8:9], v[2:3], off
	s_and_saveexec_b64 s[6:7], s[4:5]
	s_cbranch_execz .LBB59_78
; %bb.77:
	v_ashrrev_i32_e32 v5, 31, v4
	v_lshl_add_u64 v[2:3], v[4:5], 3, s[30:31]
	v_mov_b32_e32 v4, v16
	v_mov_b32_e32 v5, v0
	global_store_dwordx2 v[2:3], v[4:5], off
.LBB59_78:
	s_or_b64 exec, exec, s[6:7]
	v_cmp_gt_i32_e32 vcc, s38, v25
	s_and_b64 exec, exec, vcc
	s_cbranch_execz .LBB59_83
; %bb.79:
	s_andn2_b64 vcc, exec, s[0:1]
	v_mov_b32_e32 v0, 1.0
	s_cbranch_vccnz .LBB59_81
; %bb.80:
	v_div_scale_f32 v0, s[0:1], v1, v1, 1.0
	v_rcp_f32_e32 v2, v0
	v_div_scale_f32 v3, vcc, 1.0, v1, 1.0
	v_fma_f32 v4, -v0, v2, 1.0
	v_fmac_f32_e32 v2, v4, v2
	v_mul_f32_e32 v4, v3, v2
	v_fma_f32 v5, -v0, v4, v3
	v_fmac_f32_e32 v4, v5, v2
	v_fma_f32 v0, -v0, v4, v3
	v_div_fmas_f32 v0, v0, v2, v4
	v_div_fixup_f32 v0, v0, v1, 1.0
.LBB59_81:
	v_add_u32_e32 v2, s8, v24
	v_mul_lo_u32 v2, v2, s39
	v_add_u32_e32 v2, s34, v2
	v_cvt_f32_f16_sdwa v5, v31 dst_sel:DWORD dst_unused:UNUSED_PAD src0_sel:WORD_1
	v_cvt_f32_f16_e32 v4, v31
	v_mul_lo_u32 v2, s2, v2
	v_add_u32_e32 v2, s3, v2
	v_lshl_add_u32 v6, v2, 6, v22
	v_mov_b32_e32 v7, 0
	v_lshl_add_u64 v[6:7], v[6:7], 2, s[28:29]
	v_pk_mul_f32 v[4:5], v[0:1], v[4:5] op_sel_hi:[0,1]
	global_store_dwordx2 v[6:7], v[4:5], off
	s_and_b64 exec, exec, s[4:5]
	s_cbranch_execz .LBB59_83
; %bb.82:
	v_ashrrev_i32_e32 v3, 31, v2
	v_lshl_add_u64 v[2:3], v[2:3], 3, s[30:31]
	v_mov_b32_e32 v0, v17
	global_store_dwordx2 v[2:3], v[0:1], off
.LBB59_83:
	s_endpgm
	.section	.rodata,"a",@progbits
	.p2align	6, 0x0
	.amdhsa_kernel _ZL15flash_attn_tileILi64ELi64ELi16ELi1ELb0EEvPKcS1_S1_S1_S1_PKiPfP15HIP_vector_typeIfLj2EEffffjfiS5_IjLj3EEiiiiiiiiiiiliiliiiiil
		.amdhsa_group_segment_fixed_size 24576
		.amdhsa_private_segment_fixed_size 32
		.amdhsa_kernarg_size 464
		.amdhsa_user_sgpr_count 2
		.amdhsa_user_sgpr_dispatch_ptr 0
		.amdhsa_user_sgpr_queue_ptr 0
		.amdhsa_user_sgpr_kernarg_segment_ptr 1
		.amdhsa_user_sgpr_dispatch_id 0
		.amdhsa_user_sgpr_kernarg_preload_length 0
		.amdhsa_user_sgpr_kernarg_preload_offset 0
		.amdhsa_user_sgpr_private_segment_size 0
		.amdhsa_uses_dynamic_stack 0
		.amdhsa_enable_private_segment 1
		.amdhsa_system_sgpr_workgroup_id_x 1
		.amdhsa_system_sgpr_workgroup_id_y 1
		.amdhsa_system_sgpr_workgroup_id_z 1
		.amdhsa_system_sgpr_workgroup_info 0
		.amdhsa_system_vgpr_workitem_id 1
		.amdhsa_next_free_vgpr 116
		.amdhsa_next_free_sgpr 91
		.amdhsa_accum_offset 116
		.amdhsa_reserve_vcc 1
		.amdhsa_float_round_mode_32 0
		.amdhsa_float_round_mode_16_64 0
		.amdhsa_float_denorm_mode_32 3
		.amdhsa_float_denorm_mode_16_64 3
		.amdhsa_dx10_clamp 1
		.amdhsa_ieee_mode 1
		.amdhsa_fp16_overflow 0
		.amdhsa_tg_split 0
		.amdhsa_exception_fp_ieee_invalid_op 0
		.amdhsa_exception_fp_denorm_src 0
		.amdhsa_exception_fp_ieee_div_zero 0
		.amdhsa_exception_fp_ieee_overflow 0
		.amdhsa_exception_fp_ieee_underflow 0
		.amdhsa_exception_fp_ieee_inexact 0
		.amdhsa_exception_int_div_zero 0
	.end_amdhsa_kernel
	.section	.text._ZL15flash_attn_tileILi64ELi64ELi16ELi1ELb0EEvPKcS1_S1_S1_S1_PKiPfP15HIP_vector_typeIfLj2EEffffjfiS5_IjLj3EEiiiiiiiiiiiliiliiiiil,"axG",@progbits,_ZL15flash_attn_tileILi64ELi64ELi16ELi1ELb0EEvPKcS1_S1_S1_S1_PKiPfP15HIP_vector_typeIfLj2EEffffjfiS5_IjLj3EEiiiiiiiiiiiliiliiiiil,comdat
.Lfunc_end59:
	.size	_ZL15flash_attn_tileILi64ELi64ELi16ELi1ELb0EEvPKcS1_S1_S1_S1_PKiPfP15HIP_vector_typeIfLj2EEffffjfiS5_IjLj3EEiiiiiiiiiiiliiliiiiil, .Lfunc_end59-_ZL15flash_attn_tileILi64ELi64ELi16ELi1ELb0EEvPKcS1_S1_S1_S1_PKiPfP15HIP_vector_typeIfLj2EEffffjfiS5_IjLj3EEiiiiiiiiiiiliiliiiiil
                                        ; -- End function
	.set _ZL15flash_attn_tileILi64ELi64ELi16ELi1ELb0EEvPKcS1_S1_S1_S1_PKiPfP15HIP_vector_typeIfLj2EEffffjfiS5_IjLj3EEiiiiiiiiiiiliiliiiiil.num_vgpr, 116
	.set _ZL15flash_attn_tileILi64ELi64ELi16ELi1ELb0EEvPKcS1_S1_S1_S1_PKiPfP15HIP_vector_typeIfLj2EEffffjfiS5_IjLj3EEiiiiiiiiiiiliiliiiiil.num_agpr, 0
	.set _ZL15flash_attn_tileILi64ELi64ELi16ELi1ELb0EEvPKcS1_S1_S1_S1_PKiPfP15HIP_vector_typeIfLj2EEffffjfiS5_IjLj3EEiiiiiiiiiiiliiliiiiil.numbered_sgpr, 52
	.set _ZL15flash_attn_tileILi64ELi64ELi16ELi1ELb0EEvPKcS1_S1_S1_S1_PKiPfP15HIP_vector_typeIfLj2EEffffjfiS5_IjLj3EEiiiiiiiiiiiliiliiiiil.num_named_barrier, 0
	.set _ZL15flash_attn_tileILi64ELi64ELi16ELi1ELb0EEvPKcS1_S1_S1_S1_PKiPfP15HIP_vector_typeIfLj2EEffffjfiS5_IjLj3EEiiiiiiiiiiiliiliiiiil.private_seg_size, 32
	.set _ZL15flash_attn_tileILi64ELi64ELi16ELi1ELb0EEvPKcS1_S1_S1_S1_PKiPfP15HIP_vector_typeIfLj2EEffffjfiS5_IjLj3EEiiiiiiiiiiiliiliiiiil.uses_vcc, 1
	.set _ZL15flash_attn_tileILi64ELi64ELi16ELi1ELb0EEvPKcS1_S1_S1_S1_PKiPfP15HIP_vector_typeIfLj2EEffffjfiS5_IjLj3EEiiiiiiiiiiiliiliiiiil.uses_flat_scratch, 0
	.set _ZL15flash_attn_tileILi64ELi64ELi16ELi1ELb0EEvPKcS1_S1_S1_S1_PKiPfP15HIP_vector_typeIfLj2EEffffjfiS5_IjLj3EEiiiiiiiiiiiliiliiiiil.has_dyn_sized_stack, 0
	.set _ZL15flash_attn_tileILi64ELi64ELi16ELi1ELb0EEvPKcS1_S1_S1_S1_PKiPfP15HIP_vector_typeIfLj2EEffffjfiS5_IjLj3EEiiiiiiiiiiiliiliiiiil.has_recursion, 0
	.set _ZL15flash_attn_tileILi64ELi64ELi16ELi1ELb0EEvPKcS1_S1_S1_S1_PKiPfP15HIP_vector_typeIfLj2EEffffjfiS5_IjLj3EEiiiiiiiiiiiliiliiiiil.has_indirect_call, 0
	.section	.AMDGPU.csdata,"",@progbits
; Kernel info:
; codeLenInByte = 30300
; TotalNumSgprs: 58
; NumVgprs: 116
; NumAgprs: 0
; TotalNumVgprs: 116
; ScratchSize: 32
; MemoryBound: 0
; FloatMode: 240
; IeeeMode: 1
; LDSByteSize: 24576 bytes/workgroup (compile time only)
; SGPRBlocks: 12
; VGPRBlocks: 14
; NumSGPRsForWavesPerEU: 97
; NumVGPRsForWavesPerEU: 116
; AccumOffset: 116
; Occupancy: 4
; WaveLimiterHint : 1
; COMPUTE_PGM_RSRC2:SCRATCH_EN: 1
; COMPUTE_PGM_RSRC2:USER_SGPR: 2
; COMPUTE_PGM_RSRC2:TRAP_HANDLER: 0
; COMPUTE_PGM_RSRC2:TGID_X_EN: 1
; COMPUTE_PGM_RSRC2:TGID_Y_EN: 1
; COMPUTE_PGM_RSRC2:TGID_Z_EN: 1
; COMPUTE_PGM_RSRC2:TIDIG_COMP_CNT: 1
; COMPUTE_PGM_RSRC3_GFX90A:ACCUM_OFFSET: 28
; COMPUTE_PGM_RSRC3_GFX90A:TG_SPLIT: 0
	.section	.text._ZL33flash_attn_stream_k_fixup_uniformILi64ELi16ELi1EEvPfPK15HIP_vector_typeIfLj2EEiiiiiiS1_IjLj3EES5_S5_,"axG",@progbits,_ZL33flash_attn_stream_k_fixup_uniformILi64ELi16ELi1EEvPfPK15HIP_vector_typeIfLj2EEiiiiiiS1_IjLj3EES5_S5_,comdat
	.globl	_ZL33flash_attn_stream_k_fixup_uniformILi64ELi16ELi1EEvPfPK15HIP_vector_typeIfLj2EEiiiiiiS1_IjLj3EES5_S5_ ; -- Begin function _ZL33flash_attn_stream_k_fixup_uniformILi64ELi16ELi1EEvPfPK15HIP_vector_typeIfLj2EEiiiiiiS1_IjLj3EES5_S5_
	.p2align	8
	.type	_ZL33flash_attn_stream_k_fixup_uniformILi64ELi16ELi1EEvPfPK15HIP_vector_typeIfLj2EEiiiiiiS1_IjLj3EES5_S5_,@function
_ZL33flash_attn_stream_k_fixup_uniformILi64ELi16ELi1EEvPfPK15HIP_vector_typeIfLj2EEiiiiiiS1_IjLj3EES5_S5_: ; @_ZL33flash_attn_stream_k_fixup_uniformILi64ELi16ELi1EEvPfPK15HIP_vector_typeIfLj2EEiiiiiiS1_IjLj3EES5_S5_
; %bb.0:
	s_load_dwordx8 s[8:15], s[0:1], 0x1c
	s_load_dwordx2 s[6:7], s[0:1], 0x10
	s_load_dwordx4 s[20:23], s[0:1], 0x3c
	s_waitcnt lgkmcnt(0)
	s_mul_hi_u32 s5, s11, s2
	s_add_i32 s5, s2, s5
	s_lshr_b32 s5, s5, s12
	s_mul_i32 s11, s5, s13
	s_sub_i32 s11, s2, s11
	s_mul_hi_u32 s12, s11, s14
	s_add_i32 s12, s11, s12
	s_lshr_b32 s16, s12, s15
	s_mul_i32 s12, s16, s20
	s_sub_i32 s12, s11, s12
	;; [unrolled: 5-line block ×3, first 2 shown]
	s_lshl_b32 s12, s17, 4
	s_add_i32 s12, s12, s3
	s_cmp_lt_i32 s12, s6
	s_cselect_b64 s[12:13], -1, 0
	s_add_i32 s14, s11, s4
	s_cmp_lt_i32 s14, s9
	s_cselect_b64 s[14:15], -1, 0
	s_and_b64 s[12:13], s[12:13], s[14:15]
	s_andn2_b64 vcc, exec, s[12:13]
	s_cbranch_vccnz .LBB60_6
; %bb.1:
	s_load_dwordx4 s[12:15], s[0:1], 0x0
	s_mul_i32 s0, s5, s6
	s_add_i32 s0, s0, s3
	s_mul_i32 s0, s0, s7
	s_mul_i32 s16, s16, s9
	s_add_i32 s0, s0, s4
	s_add_i32 s0, s0, s16
	s_mul_i32 s1, s7, s17
	s_add_i32 s0, s0, s11
	s_lshl_b32 s1, s1, 10
	s_lshl_b32 s0, s0, 6
	s_add_i32 s1, s1, s0
	v_or_b32_e32 v4, s1, v0
	s_waitcnt lgkmcnt(0)
	v_mov_b32_e32 v2, s12
	v_mov_b32_e32 v3, s13
	v_ashrrev_i32_e32 v5, 31, v4
	v_lshl_add_u64 v[2:3], v[4:5], 2, v[2:3]
	global_load_dword v5, v[2:3], off
	s_mul_i32 s6, s10, s2
	s_add_i32 s7, s6, s10
	s_add_i32 s3, s3, s4
	s_lshl_b32 s0, s7, 4
	s_add_i32 s0, s3, s0
	s_add_i32 s0, s0, -16
	s_ashr_i32 s1, s0, 31
	s_lshl_b64 s[0:1], s[0:1], 3
	s_add_u32 s0, s14, s0
	s_addc_u32 s1, s15, s1
	s_load_dword s9, s[0:1], 0x4
	s_add_i32 s4, s7, -2
	s_cmp_lt_i32 s4, s6
	s_cbranch_scc1 .LBB60_4
; %bb.2:
	s_lshl_b32 s4, s8, 6
	s_ashr_i32 s5, s4, 31
	s_lshl_b64 s[4:5], s[4:5], 2
	s_add_u32 s4, s14, s4
	s_addc_u32 s5, s15, s5
	s_add_i32 s2, s2, 1
	s_mul_i32 s2, s10, s2
	s_load_dword s0, s[0:1], 0x0
	s_lshl_b32 s1, s3, 6
	s_lshl_b32 s10, s2, 10
	s_add_i32 s1, s1, s10
	v_or_b32_e32 v0, s1, v0
	s_lshl_b32 s1, s2, 4
	s_add_i32 s1, s3, s1
	s_lshl_b32 s2, s8, 4
	s_add_i32 s1, s1, s2
	s_add_i32 s7, s7, -1
	v_add_u32_e32 v0, 0xfffff800, v0
	s_sub_i32 s2, s1, 32
	s_waitcnt lgkmcnt(0)
	v_mov_b32_e32 v7, s0
	v_mov_b32_e32 v4, s9
	s_mov_b32 s8, 0x3fb8aa3b
	s_mov_b32 s9, 0xc2ce8ed0
	;; [unrolled: 1-line block ×3, first 2 shown]
	v_mov_b32_e32 v6, 0x7f800000
	s_mov_b32 s11, 0xc1a00000
.LBB60_3:                               ; =>This Inner Loop Header: Depth=1
	v_ashrrev_i32_e32 v1, 31, v0
	v_lshl_add_u64 v[8:9], v[0:1], 2, s[4:5]
	global_load_dword v9, v[8:9], off
	s_ashr_i32 s3, s2, 31
	s_lshl_b64 s[0:1], s[2:3], 3
	s_add_u32 s0, s14, s0
	s_addc_u32 s1, s15, s1
	s_load_dwordx2 s[0:1], s[0:1], 0x0
	v_max_f32_e32 v1, v7, v7
	s_add_i32 s7, s7, -1
	s_add_i32 s2, s2, -16
	v_add_u32_e32 v0, 0xfffffc00, v0
	s_waitcnt lgkmcnt(0)
	v_max_f32_e64 v10, s0, s0
	v_max_f32_e32 v1, v1, v10
	v_sub_f32_e32 v11, s0, v1
	v_sub_f32_e32 v10, v7, v1
	v_mul_f32_e32 v12, 0x3fb8aa3b, v11
	v_mov_b32_e32 v7, v1
	v_mul_f32_e32 v1, 0x3fb8aa3b, v10
	v_fma_f32 v15, v11, s8, -v12
	v_rndne_f32_e32 v16, v12
	v_fma_f32 v13, v10, s8, -v1
	v_rndne_f32_e32 v14, v1
	v_fmac_f32_e32 v15, 0x32a5705f, v11
	v_sub_f32_e32 v12, v12, v16
	v_fmac_f32_e32 v13, 0x32a5705f, v10
	v_sub_f32_e32 v1, v1, v14
	v_add_f32_e32 v12, v12, v15
	v_cvt_i32_f32_e32 v16, v16
	v_add_f32_e32 v1, v1, v13
	v_exp_f32_e32 v12, v12
	v_cvt_i32_f32_e32 v14, v14
	v_exp_f32_e32 v1, v1
	v_cmp_ngt_f32_e32 vcc, s9, v11
	v_ldexp_f32 v12, v12, v16
	v_mov_b32_e32 v8, s1
	v_ldexp_f32 v1, v1, v14
	v_cmp_ngt_f32_e64 s[0:1], s9, v10
	v_cndmask_b32_e32 v12, 0, v12, vcc
	v_cmp_nlt_f32_e32 vcc, s10, v11
	v_cndmask_b32_e64 v1, 0, v1, s[0:1]
	v_cmp_nlt_f32_e64 s[0:1], s10, v10
	v_cndmask_b32_e32 v12, v6, v12, vcc
	v_cmp_le_f32_e32 vcc, s11, v11
	v_cndmask_b32_e64 v1, v6, v1, s[0:1]
	v_cmp_le_f32_e64 s[0:1], s11, v10
	v_cndmask_b32_e32 v12, 0, v12, vcc
	s_cmp_le_i32 s7, s6
	v_cndmask_b32_e64 v10, 0, v1, s[0:1]
	s_waitcnt vmcnt(0)
	v_pk_mul_f32 v[8:9], v[8:9], v[12:13] op_sel_hi:[1,0]
	s_nop 0
	v_pk_fma_f32 v[4:5], v[4:5], v[10:11], v[8:9] op_sel_hi:[1,0,1]
	s_cbranch_scc0 .LBB60_3
	s_branch .LBB60_5
.LBB60_4:
	s_waitcnt lgkmcnt(0)
	v_mov_b32_e32 v4, s9
.LBB60_5:
	s_waitcnt vmcnt(0)
	v_div_scale_f32 v0, s[0:1], v4, v4, v5
	v_rcp_f32_e32 v1, v0
	v_div_scale_f32 v6, vcc, v5, v4, v5
	v_fma_f32 v7, -v0, v1, 1.0
	v_fmac_f32_e32 v1, v7, v1
	v_mul_f32_e32 v7, v6, v1
	v_fma_f32 v8, -v0, v7, v6
	v_fmac_f32_e32 v7, v8, v1
	v_fma_f32 v0, -v0, v7, v6
	v_div_fmas_f32 v0, v0, v1, v7
	v_div_fixup_f32 v0, v0, v4, v5
	global_store_dword v[2:3], v0, off
.LBB60_6:
	s_endpgm
	.section	.rodata,"a",@progbits
	.p2align	6, 0x0
	.amdhsa_kernel _ZL33flash_attn_stream_k_fixup_uniformILi64ELi16ELi1EEvPfPK15HIP_vector_typeIfLj2EEiiiiiiS1_IjLj3EES5_S5_
		.amdhsa_group_segment_fixed_size 0
		.amdhsa_private_segment_fixed_size 0
		.amdhsa_kernarg_size 76
		.amdhsa_user_sgpr_count 2
		.amdhsa_user_sgpr_dispatch_ptr 0
		.amdhsa_user_sgpr_queue_ptr 0
		.amdhsa_user_sgpr_kernarg_segment_ptr 1
		.amdhsa_user_sgpr_dispatch_id 0
		.amdhsa_user_sgpr_kernarg_preload_length 0
		.amdhsa_user_sgpr_kernarg_preload_offset 0
		.amdhsa_user_sgpr_private_segment_size 0
		.amdhsa_uses_dynamic_stack 0
		.amdhsa_enable_private_segment 0
		.amdhsa_system_sgpr_workgroup_id_x 1
		.amdhsa_system_sgpr_workgroup_id_y 1
		.amdhsa_system_sgpr_workgroup_id_z 1
		.amdhsa_system_sgpr_workgroup_info 0
		.amdhsa_system_vgpr_workitem_id 0
		.amdhsa_next_free_vgpr 17
		.amdhsa_next_free_sgpr 24
		.amdhsa_accum_offset 20
		.amdhsa_reserve_vcc 1
		.amdhsa_float_round_mode_32 0
		.amdhsa_float_round_mode_16_64 0
		.amdhsa_float_denorm_mode_32 3
		.amdhsa_float_denorm_mode_16_64 3
		.amdhsa_dx10_clamp 1
		.amdhsa_ieee_mode 1
		.amdhsa_fp16_overflow 0
		.amdhsa_tg_split 0
		.amdhsa_exception_fp_ieee_invalid_op 0
		.amdhsa_exception_fp_denorm_src 0
		.amdhsa_exception_fp_ieee_div_zero 0
		.amdhsa_exception_fp_ieee_overflow 0
		.amdhsa_exception_fp_ieee_underflow 0
		.amdhsa_exception_fp_ieee_inexact 0
		.amdhsa_exception_int_div_zero 0
	.end_amdhsa_kernel
	.section	.text._ZL33flash_attn_stream_k_fixup_uniformILi64ELi16ELi1EEvPfPK15HIP_vector_typeIfLj2EEiiiiiiS1_IjLj3EES5_S5_,"axG",@progbits,_ZL33flash_attn_stream_k_fixup_uniformILi64ELi16ELi1EEvPfPK15HIP_vector_typeIfLj2EEiiiiiiS1_IjLj3EES5_S5_,comdat
.Lfunc_end60:
	.size	_ZL33flash_attn_stream_k_fixup_uniformILi64ELi16ELi1EEvPfPK15HIP_vector_typeIfLj2EEiiiiiiS1_IjLj3EES5_S5_, .Lfunc_end60-_ZL33flash_attn_stream_k_fixup_uniformILi64ELi16ELi1EEvPfPK15HIP_vector_typeIfLj2EEiiiiiiS1_IjLj3EES5_S5_
                                        ; -- End function
	.set _ZL33flash_attn_stream_k_fixup_uniformILi64ELi16ELi1EEvPfPK15HIP_vector_typeIfLj2EEiiiiiiS1_IjLj3EES5_S5_.num_vgpr, 17
	.set _ZL33flash_attn_stream_k_fixup_uniformILi64ELi16ELi1EEvPfPK15HIP_vector_typeIfLj2EEiiiiiiS1_IjLj3EES5_S5_.num_agpr, 0
	.set _ZL33flash_attn_stream_k_fixup_uniformILi64ELi16ELi1EEvPfPK15HIP_vector_typeIfLj2EEiiiiiiS1_IjLj3EES5_S5_.numbered_sgpr, 24
	.set _ZL33flash_attn_stream_k_fixup_uniformILi64ELi16ELi1EEvPfPK15HIP_vector_typeIfLj2EEiiiiiiS1_IjLj3EES5_S5_.num_named_barrier, 0
	.set _ZL33flash_attn_stream_k_fixup_uniformILi64ELi16ELi1EEvPfPK15HIP_vector_typeIfLj2EEiiiiiiS1_IjLj3EES5_S5_.private_seg_size, 0
	.set _ZL33flash_attn_stream_k_fixup_uniformILi64ELi16ELi1EEvPfPK15HIP_vector_typeIfLj2EEiiiiiiS1_IjLj3EES5_S5_.uses_vcc, 1
	.set _ZL33flash_attn_stream_k_fixup_uniformILi64ELi16ELi1EEvPfPK15HIP_vector_typeIfLj2EEiiiiiiS1_IjLj3EES5_S5_.uses_flat_scratch, 0
	.set _ZL33flash_attn_stream_k_fixup_uniformILi64ELi16ELi1EEvPfPK15HIP_vector_typeIfLj2EEiiiiiiS1_IjLj3EES5_S5_.has_dyn_sized_stack, 0
	.set _ZL33flash_attn_stream_k_fixup_uniformILi64ELi16ELi1EEvPfPK15HIP_vector_typeIfLj2EEiiiiiiS1_IjLj3EES5_S5_.has_recursion, 0
	.set _ZL33flash_attn_stream_k_fixup_uniformILi64ELi16ELi1EEvPfPK15HIP_vector_typeIfLj2EEiiiiiiS1_IjLj3EES5_S5_.has_indirect_call, 0
	.section	.AMDGPU.csdata,"",@progbits
; Kernel info:
; codeLenInByte = 816
; TotalNumSgprs: 30
; NumVgprs: 17
; NumAgprs: 0
; TotalNumVgprs: 17
; ScratchSize: 0
; MemoryBound: 0
; FloatMode: 240
; IeeeMode: 1
; LDSByteSize: 0 bytes/workgroup (compile time only)
; SGPRBlocks: 3
; VGPRBlocks: 2
; NumSGPRsForWavesPerEU: 30
; NumVGPRsForWavesPerEU: 17
; AccumOffset: 20
; Occupancy: 8
; WaveLimiterHint : 0
; COMPUTE_PGM_RSRC2:SCRATCH_EN: 0
; COMPUTE_PGM_RSRC2:USER_SGPR: 2
; COMPUTE_PGM_RSRC2:TRAP_HANDLER: 0
; COMPUTE_PGM_RSRC2:TGID_X_EN: 1
; COMPUTE_PGM_RSRC2:TGID_Y_EN: 1
; COMPUTE_PGM_RSRC2:TGID_Z_EN: 1
; COMPUTE_PGM_RSRC2:TIDIG_COMP_CNT: 0
; COMPUTE_PGM_RSRC3_GFX90A:ACCUM_OFFSET: 4
; COMPUTE_PGM_RSRC3_GFX90A:TG_SPLIT: 0
	.section	.text._ZL33flash_attn_stream_k_fixup_generalILi64ELi16ELi1EEvPfPK15HIP_vector_typeIfLj2EEiiiiS1_IjLj3EES5_S5_S5_,"axG",@progbits,_ZL33flash_attn_stream_k_fixup_generalILi64ELi16ELi1EEvPfPK15HIP_vector_typeIfLj2EEiiiiS1_IjLj3EES5_S5_S5_,comdat
	.globl	_ZL33flash_attn_stream_k_fixup_generalILi64ELi16ELi1EEvPfPK15HIP_vector_typeIfLj2EEiiiiS1_IjLj3EES5_S5_S5_ ; -- Begin function _ZL33flash_attn_stream_k_fixup_generalILi64ELi16ELi1EEvPfPK15HIP_vector_typeIfLj2EEiiiiS1_IjLj3EES5_S5_S5_
	.p2align	8
	.type	_ZL33flash_attn_stream_k_fixup_generalILi64ELi16ELi1EEvPfPK15HIP_vector_typeIfLj2EEiiiiS1_IjLj3EES5_S5_S5_,@function
_ZL33flash_attn_stream_k_fixup_generalILi64ELi16ELi1EEvPfPK15HIP_vector_typeIfLj2EEiiiiS1_IjLj3EES5_S5_S5_: ; @_ZL33flash_attn_stream_k_fixup_generalILi64ELi16ELi1EEvPfPK15HIP_vector_typeIfLj2EEiiiiS1_IjLj3EES5_S5_S5_
; %bb.0:
	s_load_dwordx4 s[8:11], s[0:1], 0x10
	s_load_dword s22, s[0:1], 0x50
	s_mov_b32 s12, 0
	s_waitcnt lgkmcnt(0)
	s_mul_hi_i32 s13, s11, s2
	s_cmp_lg_u64 s[12:13], 0
	s_mul_i32 s5, s11, s2
	s_cbranch_scc0 .LBB61_20
; %bb.1:
	s_add_u32 s6, s22, 0
	s_addc_u32 s7, 0, 0
	s_xor_b64 s[6:7], s[6:7], 0
	v_cvt_f32_u32_e32 v1, s6
	v_cvt_f32_u32_e32 v2, s7
	s_sub_u32 s12, 0, s6
	s_subb_u32 s18, 0, s7
	v_fmamk_f32 v1, v2, 0x4f800000, v1
	v_rcp_f32_e32 v1, v1
	s_nop 0
	v_mul_f32_e32 v1, 0x5f7ffffc, v1
	v_mul_f32_e32 v2, 0x2f800000, v1
	v_trunc_f32_e32 v2, v2
	v_fmamk_f32 v1, v2, 0xcf800000, v1
	v_cvt_u32_f32_e32 v2, v2
	v_cvt_u32_f32_e32 v1, v1
	v_readfirstlane_b32 s19, v2
	v_readfirstlane_b32 s14, v1
	s_mul_i32 s15, s12, s19
	s_mul_hi_u32 s21, s12, s14
	s_mul_i32 s20, s18, s14
	s_add_i32 s15, s21, s15
	s_add_i32 s15, s15, s20
	s_mul_i32 s23, s12, s14
	s_mul_i32 s21, s14, s15
	s_mul_hi_u32 s24, s14, s23
	s_mul_hi_u32 s20, s14, s15
	s_add_u32 s21, s24, s21
	s_addc_u32 s20, 0, s20
	s_mul_hi_u32 s25, s19, s23
	s_mul_i32 s23, s19, s23
	s_add_u32 s21, s21, s23
	s_mul_hi_u32 s24, s19, s15
	s_addc_u32 s20, s20, s25
	s_addc_u32 s21, s24, 0
	s_mul_i32 s15, s19, s15
	s_add_u32 s15, s20, s15
	s_addc_u32 s20, 0, s21
	s_add_u32 s21, s14, s15
	s_cselect_b64 s[14:15], -1, 0
	s_cmp_lg_u64 s[14:15], 0
	s_addc_u32 s19, s19, s20
	s_mul_i32 s14, s12, s19
	s_mul_hi_u32 s15, s12, s21
	s_add_i32 s14, s15, s14
	s_mul_i32 s18, s18, s21
	s_add_i32 s14, s14, s18
	s_mul_i32 s12, s12, s21
	s_mul_hi_u32 s18, s19, s12
	s_mul_i32 s20, s19, s12
	s_mul_i32 s24, s21, s14
	s_mul_hi_u32 s12, s21, s12
	s_mul_hi_u32 s23, s21, s14
	s_add_u32 s12, s12, s24
	s_addc_u32 s23, 0, s23
	s_add_u32 s12, s12, s20
	s_mul_hi_u32 s15, s19, s14
	s_addc_u32 s12, s23, s18
	s_addc_u32 s15, s15, 0
	s_mul_i32 s14, s19, s14
	s_add_u32 s12, s12, s14
	s_addc_u32 s18, 0, s15
	s_add_u32 s20, s21, s12
	s_cselect_b64 s[14:15], -1, 0
	s_cmp_lg_u64 s[14:15], 0
	s_addc_u32 s18, s19, s18
	s_ashr_i32 s14, s13, 31
	s_add_u32 s12, s5, s14
	s_mov_b32 s15, s14
	s_addc_u32 s13, s13, s14
	s_xor_b64 s[12:13], s[12:13], s[14:15]
	s_mul_i32 s21, s12, s18
	s_mul_hi_u32 s23, s12, s20
	s_mul_hi_u32 s19, s12, s18
	s_add_u32 s21, s23, s21
	s_addc_u32 s19, 0, s19
	s_mul_hi_u32 s24, s13, s20
	s_mul_i32 s20, s13, s20
	s_add_u32 s20, s21, s20
	s_mul_hi_u32 s23, s13, s18
	s_addc_u32 s19, s19, s24
	s_addc_u32 s20, s23, 0
	s_mul_i32 s18, s13, s18
	s_add_u32 s23, s19, s18
	s_addc_u32 s24, 0, s20
	s_mul_i32 s18, s6, s24
	s_mul_hi_u32 s19, s6, s23
	s_add_i32 s18, s19, s18
	s_mul_i32 s19, s7, s23
	s_add_i32 s25, s18, s19
	s_sub_i32 s20, s13, s25
	s_mul_i32 s18, s6, s23
	s_sub_u32 s12, s12, s18
	s_cselect_b64 s[18:19], -1, 0
	s_cmp_lg_u64 s[18:19], 0
	s_subb_u32 s26, s20, s7
	s_sub_u32 s27, s12, s6
	s_cselect_b64 s[20:21], -1, 0
	s_cmp_lg_u64 s[20:21], 0
	s_subb_u32 s20, s26, 0
	s_cmp_ge_u32 s20, s7
	s_cselect_b32 s21, -1, 0
	s_cmp_ge_u32 s27, s6
	s_cselect_b32 s26, -1, 0
	s_cmp_eq_u32 s20, s7
	s_cselect_b32 s20, s26, s21
	s_add_u32 s21, s23, 1
	s_addc_u32 s26, s24, 0
	s_add_u32 s27, s23, 2
	s_addc_u32 s28, s24, 0
	s_cmp_lg_u32 s20, 0
	s_cselect_b32 s20, s27, s21
	s_cselect_b32 s21, s28, s26
	s_cmp_lg_u64 s[18:19], 0
	s_subb_u32 s13, s13, s25
	s_cmp_ge_u32 s13, s7
	s_cselect_b32 s18, -1, 0
	s_cmp_ge_u32 s12, s6
	s_cselect_b32 s6, -1, 0
	s_cmp_eq_u32 s13, s7
	s_cselect_b32 s6, s6, s18
	s_cmp_lg_u32 s6, 0
	s_cselect_b32 s7, s21, s24
	s_cselect_b32 s6, s20, s23
	s_xor_b64 s[12:13], s[14:15], 0
	s_xor_b64 s[6:7], s[6:7], s[12:13]
	s_sub_u32 s6, s6, s12
	s_load_dwordx4 s[12:15], s[0:1], 0x44
	s_cbranch_execnz .LBB61_3
.LBB61_2:
	v_cvt_f32_u32_e32 v1, s22
	s_sub_i32 s6, 0, s22
	v_rcp_iflag_f32_e32 v1, v1
	s_nop 0
	v_mul_f32_e32 v1, 0x4f7ffffe, v1
	v_cvt_u32_f32_e32 v1, v1
	s_nop 0
	v_readfirstlane_b32 s7, v1
	s_mul_i32 s6, s6, s7
	s_mul_hi_u32 s6, s7, s6
	s_add_i32 s7, s7, s6
	s_mul_hi_u32 s6, s5, s7
	s_waitcnt lgkmcnt(0)
	s_mul_i32 s15, s6, s22
	s_sub_i32 s5, s5, s15
	s_add_i32 s7, s6, 1
	s_sub_i32 s15, s5, s22
	s_cmp_ge_u32 s5, s22
	s_cselect_b32 s6, s7, s6
	s_cselect_b32 s5, s15, s5
	s_add_i32 s7, s6, 1
	s_cmp_ge_u32 s5, s22
	s_cselect_b32 s6, s7, s6
.LBB61_3:
	s_add_i32 s5, s2, 1
	s_mul_hi_i32 s21, s11, s5
	s_mov_b32 s20, 0
	s_cmp_lg_u64 s[20:21], 0
	s_mul_i32 s5, s11, s5
	s_cbranch_scc0 .LBB61_21
; %bb.4:
	s_add_u32 s16, s22, 0
	s_addc_u32 s17, 0, 0
	s_xor_b64 s[18:19], s[16:17], 0
	v_cvt_f32_u32_e32 v1, s18
	v_cvt_f32_u32_e32 v2, s19
	s_sub_u32 s7, 0, s18
	s_waitcnt lgkmcnt(0)
	s_subb_u32 s15, 0, s19
	v_fmamk_f32 v1, v2, 0x4f800000, v1
	v_rcp_f32_e32 v1, v1
	s_nop 0
	v_mul_f32_e32 v1, 0x5f7ffffc, v1
	v_mul_f32_e32 v2, 0x2f800000, v1
	v_trunc_f32_e32 v2, v2
	v_fmamk_f32 v1, v2, 0xcf800000, v1
	v_cvt_u32_f32_e32 v2, v2
	v_cvt_u32_f32_e32 v1, v1
	v_readfirstlane_b32 s20, v2
	v_readfirstlane_b32 s23, v1
	s_mul_i32 s24, s7, s20
	s_mul_hi_u32 s26, s7, s23
	s_mul_i32 s25, s15, s23
	s_add_i32 s24, s26, s24
	s_add_i32 s24, s24, s25
	s_mul_i32 s27, s7, s23
	s_mul_i32 s26, s23, s24
	s_mul_hi_u32 s28, s23, s27
	s_mul_hi_u32 s25, s23, s24
	s_add_u32 s26, s28, s26
	s_addc_u32 s25, 0, s25
	s_mul_hi_u32 s29, s20, s27
	s_mul_i32 s27, s20, s27
	s_add_u32 s26, s26, s27
	s_mul_hi_u32 s28, s20, s24
	s_addc_u32 s25, s25, s29
	s_addc_u32 s26, s28, 0
	s_mul_i32 s24, s20, s24
	s_add_u32 s24, s25, s24
	s_addc_u32 s26, 0, s26
	s_add_u32 s23, s23, s24
	s_cselect_b64 s[24:25], -1, 0
	s_cmp_lg_u64 s[24:25], 0
	s_addc_u32 s20, s20, s26
	s_mul_i32 s24, s7, s20
	s_mul_hi_u32 s25, s7, s23
	s_add_i32 s24, s25, s24
	s_mul_i32 s15, s15, s23
	s_add_i32 s24, s24, s15
	s_mul_i32 s7, s7, s23
	s_mul_hi_u32 s25, s20, s7
	s_mul_i32 s26, s20, s7
	s_mul_i32 s28, s23, s24
	s_mul_hi_u32 s7, s23, s7
	s_mul_hi_u32 s27, s23, s24
	s_add_u32 s7, s7, s28
	s_addc_u32 s27, 0, s27
	s_add_u32 s7, s7, s26
	s_mul_hi_u32 s15, s20, s24
	s_addc_u32 s7, s27, s25
	s_addc_u32 s15, s15, 0
	s_mul_i32 s24, s20, s24
	s_add_u32 s7, s7, s24
	s_addc_u32 s15, 0, s15
	s_add_u32 s7, s23, s7
	s_cselect_b64 s[24:25], -1, 0
	s_cmp_lg_u64 s[24:25], 0
	s_addc_u32 s15, s20, s15
	s_ashr_i32 s24, s21, 31
	s_add_u32 s20, s5, s24
	s_mov_b32 s25, s24
	s_addc_u32 s21, s21, s24
	s_xor_b64 s[20:21], s[20:21], s[24:25]
	s_mul_i32 s26, s20, s15
	s_mul_hi_u32 s27, s20, s7
	s_mul_hi_u32 s23, s20, s15
	s_add_u32 s26, s27, s26
	s_addc_u32 s23, 0, s23
	s_mul_hi_u32 s28, s21, s7
	s_mul_i32 s7, s21, s7
	s_add_u32 s7, s26, s7
	s_mul_hi_u32 s27, s21, s15
	s_addc_u32 s7, s23, s28
	s_addc_u32 s23, s27, 0
	s_mul_i32 s15, s21, s15
	s_add_u32 s7, s7, s15
	s_addc_u32 s15, 0, s23
	s_mul_i32 s23, s18, s15
	s_mul_hi_u32 s26, s18, s7
	s_add_i32 s23, s26, s23
	s_mul_i32 s26, s19, s7
	s_add_i32 s23, s23, s26
	s_sub_i32 s28, s21, s23
	s_mul_i32 s26, s18, s7
	s_sub_u32 s20, s20, s26
	s_cselect_b64 s[26:27], -1, 0
	s_cmp_lg_u64 s[26:27], 0
	s_subb_u32 s30, s28, s19
	s_sub_u32 s31, s20, s18
	s_cselect_b64 s[28:29], -1, 0
	s_cmp_lg_u64 s[28:29], 0
	s_subb_u32 s28, s30, 0
	s_cmp_ge_u32 s28, s19
	s_cselect_b32 s29, -1, 0
	s_cmp_ge_u32 s31, s18
	s_cselect_b32 s30, -1, 0
	s_cmp_eq_u32 s28, s19
	s_cselect_b32 s28, s30, s29
	s_add_u32 s29, s7, 1
	s_addc_u32 s30, s15, 0
	s_add_u32 s31, s7, 2
	s_addc_u32 s33, s15, 0
	s_cmp_lg_u32 s28, 0
	s_cselect_b32 s28, s31, s29
	s_cselect_b32 s29, s33, s30
	s_cmp_lg_u64 s[26:27], 0
	s_subb_u32 s21, s21, s23
	s_cmp_ge_u32 s21, s19
	s_cselect_b32 s23, -1, 0
	s_cmp_ge_u32 s20, s18
	s_cselect_b32 s18, -1, 0
	s_cmp_eq_u32 s21, s19
	s_cselect_b32 s18, s18, s23
	s_cmp_lg_u32 s18, 0
	s_cselect_b32 s19, s29, s15
	s_cselect_b32 s18, s28, s7
	s_xor_b64 s[20:21], s[24:25], 0
	s_xor_b64 s[18:19], s[18:19], s[20:21]
	s_sub_u32 s18, s18, s20
	s_cbranch_execnz .LBB61_6
.LBB61_5:
	v_cvt_f32_u32_e32 v1, s22
	s_sub_i32 s7, 0, s22
	v_rcp_iflag_f32_e32 v1, v1
	s_nop 0
	v_mul_f32_e32 v1, 0x4f7ffffe, v1
	v_cvt_u32_f32_e32 v1, v1
	s_waitcnt lgkmcnt(0)
	v_readfirstlane_b32 s15, v1
	s_mul_i32 s7, s7, s15
	s_mul_hi_u32 s7, s15, s7
	s_add_i32 s15, s15, s7
	s_mul_hi_u32 s7, s5, s15
	s_mul_i32 s16, s7, s22
	s_sub_i32 s5, s5, s16
	s_add_i32 s15, s7, 1
	s_sub_i32 s16, s5, s22
	s_cmp_ge_u32 s5, s22
	s_cselect_b32 s7, s15, s7
	s_cselect_b32 s5, s16, s5
	s_add_i32 s15, s7, 1
	s_cmp_ge_u32 s5, s22
	s_cselect_b32 s18, s15, s7
.LBB61_6:
	s_cmp_eq_u32 s6, s18
	s_waitcnt lgkmcnt(0)
	s_mul_hi_u32 s5, s6, s12
	s_cselect_b64 s[16:17], -1, 0
	s_add_i32 s5, s5, s6
	s_lshr_b32 s7, s5, s13
	s_mul_i32 s5, s7, s14
	s_cmp_eq_u32 s5, s6
	s_mul_hi_u32 s5, s18, s12
	s_cselect_b64 s[20:21], -1, 0
	s_add_i32 s5, s5, s18
	s_lshr_b32 s5, s5, s13
	s_cmp_eq_u32 s7, s5
	s_mul_i32 s5, s5, s14
	s_cselect_b64 s[24:25], -1, 0
	s_cmp_lg_u32 s5, s18
	s_cselect_b64 s[18:19], -1, 0
	s_and_b64 s[18:19], s[24:25], s[18:19]
	s_or_b64 s[16:17], s[16:17], s[20:21]
	s_or_b64 s[16:17], s[16:17], s[18:19]
	s_and_b64 vcc, exec, s[16:17]
	s_cbranch_vccnz .LBB61_23
; %bb.7:
	s_load_dwordx8 s[24:31], s[0:1], 0x20
	s_load_dword s15, s[0:1], 0x40
	s_waitcnt lgkmcnt(0)
	s_mul_hi_u32 s5, s6, s24
	s_add_i32 s5, s5, s6
	s_lshr_b32 s5, s5, s25
	s_mul_i32 s16, s5, s26
	s_sub_i32 s16, s6, s16
	s_mul_hi_u32 s17, s16, s27
	s_add_i32 s17, s16, s17
	s_lshr_b32 s21, s17, s28
	s_mul_i32 s17, s21, s29
	s_sub_i32 s16, s16, s17
	;; [unrolled: 5-line block ×3, first 2 shown]
	s_mul_hi_u32 s16, s15, s12
	s_add_i32 s15, s15, s16
	s_lshr_b32 s23, s15, s13
	s_lshl_b32 s15, s23, 4
	s_add_i32 s15, s15, s3
	s_cmp_lt_i32 s15, s8
	s_cselect_b64 s[16:17], -1, 0
	s_add_i32 s15, s20, s4
	s_cmp_lt_i32 s15, s10
	s_cselect_b64 s[18:19], -1, 0
	s_and_b64 s[16:17], s[16:17], s[18:19]
	s_andn2_b64 vcc, exec, s[16:17]
	s_cbranch_vccnz .LBB61_23
; %bb.8:
	s_load_dwordx4 s[16:19], s[0:1], 0x0
	s_mov_b32 s0, 0
	s_lshl_b32 s24, s22, 6
	s_mov_b32 s25, s0
	s_add_i32 s15, s3, s4
	s_waitcnt lgkmcnt(0)
	v_mov_b32_e32 v2, s16
	v_mov_b32_e32 v3, s17
	s_lshl_b64 s[16:17], s[24:25], 2
	s_add_u32 s16, s18, s16
	s_mul_i32 s1, s5, s8
	s_addc_u32 s17, s19, s17
	s_add_i32 s1, s1, s3
	s_mul_i32 s1, s1, s9
	s_mul_i32 s21, s21, s10
	s_add_i32 s1, s1, s4
	s_add_i32 s1, s1, s21
	s_mul_i32 s5, s9, s23
	s_add_i32 s1, s1, s20
	s_lshl_b32 s5, s5, 10
	s_lshl_b32 s1, s1, 6
	s_add_i32 s5, s5, s1
	v_or_b32_e32 v4, s5, v0
	v_ashrrev_i32_e32 v5, 31, v4
	v_lshl_add_u64 v[2:3], v[4:5], 2, v[2:3]
	global_load_dword v1, v[2:3], off
	v_cvt_f32_u32_e32 v4, s22
	s_lshl_b32 s1, s2, 4
	s_add_i32 s4, s1, s15
	s_ashr_i32 s5, s4, 31
	s_lshl_b64 s[4:5], s[4:5], 3
	v_rcp_iflag_f32_e32 v4, v4
	s_add_u32 s4, s18, s4
	s_addc_u32 s5, s19, s5
	s_load_dwordx2 s[4:5], s[4:5], 0x0
	v_mul_f32_e32 v4, 0x4f7ffffe, v4
	v_cvt_u32_f32_e32 v7, v4
	s_add_i32 s24, s2, -1
	v_lshl_or_b32 v6, s15, 6, v0
	s_waitcnt lgkmcnt(0)
	v_mov_b32_e32 v0, s5
	v_mov_b32_e32 v9, s4
	s_mov_b32 s10, 0x3fb8aa3b
	s_mov_b32 s20, 0xc2ce8ed0
	;; [unrolled: 1-line block ×4, first 2 shown]
	v_mov_b32_e32 v8, 0x7f800000
	s_mul_hi_i32 s1, s24, s11
	s_cmp_lg_u64 s[0:1], 0
	s_mul_i32 s8, s24, s11
	s_cbranch_scc0 .LBB61_19
.LBB61_9:
	s_add_u32 s2, s22, 0
	s_addc_u32 s3, 0, 0
	s_xor_b64 s[2:3], s[2:3], 0
	v_cvt_f32_u32_e32 v4, s2
	v_cvt_f32_u32_e32 v5, s3
	s_sub_u32 s9, 0, s2
	s_subb_u32 s25, 0, s3
	v_fmac_f32_e32 v4, 0x4f800000, v5
	v_rcp_f32_e32 v4, v4
	s_nop 0
	v_mul_f32_e32 v4, 0x5f7ffffc, v4
	v_mul_f32_e32 v5, 0x2f800000, v4
	v_trunc_f32_e32 v5, v5
	v_fmac_f32_e32 v4, 0xcf800000, v5
	v_cvt_u32_f32_e32 v5, v5
	v_cvt_u32_f32_e32 v4, v4
	v_readfirstlane_b32 s26, v5
	v_readfirstlane_b32 s4, v4
	s_mul_i32 s5, s9, s26
	s_mul_hi_u32 s28, s9, s4
	s_mul_i32 s27, s25, s4
	s_add_i32 s5, s28, s5
	s_mul_i32 s29, s9, s4
	s_add_i32 s5, s5, s27
	s_mul_i32 s28, s4, s5
	s_mul_hi_u32 s30, s4, s29
	s_mul_hi_u32 s27, s4, s5
	s_add_u32 s28, s30, s28
	s_addc_u32 s27, 0, s27
	s_mul_hi_u32 s31, s26, s29
	s_mul_i32 s29, s26, s29
	s_add_u32 s28, s28, s29
	s_mul_hi_u32 s30, s26, s5
	s_addc_u32 s27, s27, s31
	s_addc_u32 s28, s30, 0
	s_mul_i32 s5, s26, s5
	s_add_u32 s5, s27, s5
	s_addc_u32 s27, 0, s28
	s_add_u32 s28, s4, s5
	s_cselect_b64 s[4:5], -1, 0
	s_cmp_lg_u64 s[4:5], 0
	s_addc_u32 s26, s26, s27
	s_mul_i32 s4, s9, s26
	s_mul_hi_u32 s5, s9, s28
	s_add_i32 s4, s5, s4
	s_mul_i32 s25, s25, s28
	s_add_i32 s4, s4, s25
	s_mul_i32 s9, s9, s28
	s_mul_hi_u32 s25, s26, s9
	s_mul_i32 s27, s26, s9
	s_mul_i32 s30, s28, s4
	s_mul_hi_u32 s9, s28, s9
	s_mul_hi_u32 s29, s28, s4
	s_add_u32 s9, s9, s30
	s_addc_u32 s29, 0, s29
	s_add_u32 s9, s9, s27
	s_mul_hi_u32 s5, s26, s4
	s_addc_u32 s9, s29, s25
	s_addc_u32 s5, s5, 0
	s_mul_i32 s4, s26, s4
	s_add_u32 s4, s9, s4
	s_addc_u32 s9, 0, s5
	s_add_u32 s25, s28, s4
	s_cselect_b64 s[4:5], -1, 0
	s_cmp_lg_u64 s[4:5], 0
	s_addc_u32 s9, s26, s9
	s_ashr_i32 s4, s1, 31
	s_add_u32 s26, s8, s4
	s_mov_b32 s5, s4
	s_addc_u32 s27, s1, s4
	s_xor_b64 s[26:27], s[26:27], s[4:5]
	s_mul_i32 s28, s26, s9
	s_mul_hi_u32 s29, s26, s25
	s_mul_hi_u32 s1, s26, s9
	s_add_u32 s28, s29, s28
	s_addc_u32 s1, 0, s1
	s_mul_hi_u32 s30, s27, s25
	s_mul_i32 s25, s27, s25
	s_add_u32 s25, s28, s25
	s_mul_hi_u32 s29, s27, s9
	s_addc_u32 s1, s1, s30
	s_addc_u32 s25, s29, 0
	s_mul_i32 s9, s27, s9
	s_add_u32 s1, s1, s9
	s_addc_u32 s9, 0, s25
	s_mul_i32 s25, s2, s9
	s_mul_hi_u32 s28, s2, s1
	s_add_i32 s25, s28, s25
	s_mul_i32 s28, s3, s1
	s_add_i32 s25, s25, s28
	s_sub_i32 s30, s27, s25
	s_mul_i32 s28, s2, s1
	s_sub_u32 s26, s26, s28
	s_cselect_b64 s[28:29], -1, 0
	s_cmp_lg_u64 s[28:29], 0
	s_subb_u32 s33, s30, s3
	s_sub_u32 s34, s26, s2
	s_cselect_b64 s[30:31], -1, 0
	s_cmp_lg_u64 s[30:31], 0
	s_subb_u32 s30, s33, 0
	s_cmp_ge_u32 s30, s3
	s_cselect_b32 s31, -1, 0
	s_cmp_ge_u32 s34, s2
	s_cselect_b32 s33, -1, 0
	s_cmp_eq_u32 s30, s3
	s_cselect_b32 s30, s33, s31
	s_add_u32 s31, s1, 1
	s_addc_u32 s33, s9, 0
	s_add_u32 s34, s1, 2
	s_addc_u32 s35, s9, 0
	s_cmp_lg_u32 s30, 0
	s_cselect_b32 s30, s34, s31
	s_cselect_b32 s31, s35, s33
	s_cmp_lg_u64 s[28:29], 0
	s_subb_u32 s25, s27, s25
	s_cmp_ge_u32 s25, s3
	s_cselect_b32 s27, -1, 0
	s_cmp_ge_u32 s26, s2
	s_cselect_b32 s2, -1, 0
	s_cmp_eq_u32 s25, s3
	s_cselect_b32 s2, s2, s27
	s_cmp_lg_u32 s2, 0
	s_cselect_b32 s3, s31, s9
	s_cselect_b32 s2, s30, s1
	s_xor_b64 s[4:5], s[4:5], 0
	s_xor_b64 s[2:3], s[2:3], s[4:5]
	s_sub_u32 s4, s2, s4
	s_cbranch_execnz .LBB61_11
.LBB61_10:
	s_sub_i32 s1, 0, s22
	v_readfirstlane_b32 s2, v7
	s_mul_i32 s1, s1, s2
	s_mul_hi_u32 s1, s2, s1
	s_add_i32 s2, s2, s1
	s_mul_hi_u32 s1, s8, s2
	s_mul_i32 s3, s1, s22
	s_sub_i32 s3, s8, s3
	s_add_i32 s2, s1, 1
	s_sub_i32 s4, s3, s22
	s_cmp_ge_u32 s3, s22
	s_cselect_b32 s1, s2, s1
	s_cselect_b32 s3, s4, s3
	s_add_i32 s2, s1, 1
	s_cmp_ge_u32 s3, s22
	s_cselect_b32 s4, s2, s1
.LBB61_11:
	s_cmp_lg_u32 s6, s4
	s_cbranch_scc0 .LBB61_15
; %bb.12:
	s_add_i32 s1, s24, s22
	s_lshl_b32 s1, s1, 4
	s_add_i32 s2, s1, s15
	s_mov_b32 s3, s0
	s_lshl_b64 s[2:3], s[2:3], 3
	s_add_u32 s8, s18, s2
	s_mul_hi_u32 s1, s4, s12
	s_addc_u32 s9, s19, s3
	s_add_i32 s1, s1, s4
	s_lshr_b32 s1, s1, s13
	s_mul_i32 s2, s1, s14
	s_cmp_eq_u32 s2, s4
	s_cselect_b64 s[2:3], -1, 0
	s_cmp_lt_u32 s1, s7
	s_cselect_b64 s[26:27], -1, 0
	s_or_b64 s[26:27], s[26:27], s[2:3]
	s_mov_b64 s[2:3], -1
	s_and_b64 vcc, exec, s[26:27]
	s_mov_b32 s1, s24
	s_mov_b32 s25, s6
	s_cbranch_vccnz .LBB61_14
; %bb.13:
	s_add_i32 s1, s24, -1
	s_mov_b64 s[2:3], 0
	s_mov_b32 s25, s4
.LBB61_14:
	v_lshl_add_u32 v4, s24, 10, v6
	v_ashrrev_i32_e32 v5, 31, v4
	v_lshl_add_u64 v[4:5], v[4:5], 2, s[16:17]
	global_load_dword v5, v[4:5], off
	s_load_dwordx2 s[4:5], s[8:9], 0x0
	v_max_f32_e32 v4, v9, v9
	s_waitcnt lgkmcnt(0)
	v_max_f32_e64 v10, s4, s4
	v_max_f32_e32 v10, v4, v10
	v_sub_f32_e32 v11, v9, v10
	v_sub_f32_e32 v13, s4, v10
	v_mul_f32_e32 v4, 0x3fb8aa3b, v11
	v_mul_f32_e32 v12, 0x3fb8aa3b, v13
	v_fma_f32 v14, v11, s10, -v4
	v_rndne_f32_e32 v15, v4
	v_fma_f32 v16, v13, s10, -v12
	v_rndne_f32_e32 v17, v12
	v_fmac_f32_e32 v14, 0x32a5705f, v11
	v_sub_f32_e32 v4, v4, v15
	v_fmac_f32_e32 v16, 0x32a5705f, v13
	v_sub_f32_e32 v12, v12, v17
	v_add_f32_e32 v4, v4, v14
	v_cvt_i32_f32_e32 v15, v15
	v_add_f32_e32 v12, v12, v16
	v_exp_f32_e32 v14, v4
	v_cvt_i32_f32_e32 v17, v17
	v_exp_f32_e32 v12, v12
	v_cmp_ngt_f32_e32 vcc, s20, v11
	v_ldexp_f32 v14, v14, v15
	v_mov_b32_e32 v4, s5
	v_ldexp_f32 v12, v12, v17
	v_cndmask_b32_e32 v14, 0, v14, vcc
	v_cmp_ngt_f32_e32 vcc, s20, v13
	s_nop 1
	v_cndmask_b32_e32 v12, 0, v12, vcc
	v_cmp_nlt_f32_e32 vcc, s21, v11
	s_nop 1
	v_cndmask_b32_e32 v14, v8, v14, vcc
	v_cmp_nlt_f32_e32 vcc, s21, v13
	s_nop 1
	v_cndmask_b32_e32 v15, v8, v12, vcc
	v_cmp_le_f32_e32 vcc, s23, v11
	s_nop 1
	v_cndmask_b32_e32 v12, 0, v14, vcc
	v_cmp_le_f32_e32 vcc, s23, v13
	s_nop 1
	v_cndmask_b32_e32 v14, 0, v15, vcc
	s_waitcnt vmcnt(0)
	v_pk_mul_f32 v[4:5], v[4:5], v[14:15] op_sel_hi:[1,0]
	s_nop 0
	v_pk_fma_f32 v[4:5], v[0:1], v[12:13], v[4:5] op_sel_hi:[1,0,1]
	s_cbranch_execz .LBB61_16
	s_branch .LBB61_17
.LBB61_15:
                                        ; implicit-def: $vgpr4_vgpr5
                                        ; implicit-def: $sgpr2_sgpr3
                                        ; implicit-def: $vgpr10
                                        ; implicit-def: $sgpr1
                                        ; implicit-def: $sgpr25
.LBB61_16:
	s_add_i32 s1, s24, -1
	s_mov_b64 s[2:3], 0
	s_mov_b32 s25, s6
	v_mov_b32_e32 v10, v9
	s_waitcnt vmcnt(0)
	v_mov_b64_e32 v[4:5], v[0:1]
.LBB61_17:
	s_andn2_b64 vcc, exec, s[2:3]
	s_cbranch_vccz .LBB61_22
; %bb.18:
	s_mov_b32 s6, s25
	s_mov_b32 s24, s1
	v_mov_b32_e32 v9, v10
	s_waitcnt vmcnt(0)
	v_mov_b64_e32 v[0:1], v[4:5]
	s_mul_hi_i32 s1, s24, s11
	s_cmp_lg_u64 s[0:1], 0
	s_mul_i32 s8, s24, s11
	s_cbranch_scc1 .LBB61_9
.LBB61_19:
                                        ; implicit-def: $sgpr4_sgpr5
	s_branch .LBB61_10
.LBB61_20:
                                        ; implicit-def: $sgpr6_sgpr7
	s_load_dwordx4 s[12:15], s[0:1], 0x44
	s_branch .LBB61_2
.LBB61_21:
                                        ; implicit-def: $sgpr18_sgpr19
	s_branch .LBB61_5
.LBB61_22:
	v_div_scale_f32 v0, s[0:1], v4, v4, v5
	s_waitcnt vmcnt(0)
	v_rcp_f32_e32 v1, v0
	v_div_scale_f32 v6, vcc, v5, v4, v5
	v_fma_f32 v7, -v0, v1, 1.0
	v_fmac_f32_e32 v1, v7, v1
	v_mul_f32_e32 v7, v6, v1
	v_fma_f32 v8, -v0, v7, v6
	v_fmac_f32_e32 v7, v8, v1
	v_fma_f32 v0, -v0, v7, v6
	v_div_fmas_f32 v0, v0, v1, v7
	v_div_fixup_f32 v0, v0, v4, v5
	global_store_dword v[2:3], v0, off
.LBB61_23:
	s_endpgm
	.section	.rodata,"a",@progbits
	.p2align	6, 0x0
	.amdhsa_kernel _ZL33flash_attn_stream_k_fixup_generalILi64ELi16ELi1EEvPfPK15HIP_vector_typeIfLj2EEiiiiS1_IjLj3EES5_S5_S5_
		.amdhsa_group_segment_fixed_size 0
		.amdhsa_private_segment_fixed_size 0
		.amdhsa_kernarg_size 336
		.amdhsa_user_sgpr_count 2
		.amdhsa_user_sgpr_dispatch_ptr 0
		.amdhsa_user_sgpr_queue_ptr 0
		.amdhsa_user_sgpr_kernarg_segment_ptr 1
		.amdhsa_user_sgpr_dispatch_id 0
		.amdhsa_user_sgpr_kernarg_preload_length 0
		.amdhsa_user_sgpr_kernarg_preload_offset 0
		.amdhsa_user_sgpr_private_segment_size 0
		.amdhsa_uses_dynamic_stack 0
		.amdhsa_enable_private_segment 0
		.amdhsa_system_sgpr_workgroup_id_x 1
		.amdhsa_system_sgpr_workgroup_id_y 1
		.amdhsa_system_sgpr_workgroup_id_z 1
		.amdhsa_system_sgpr_workgroup_info 0
		.amdhsa_system_vgpr_workitem_id 0
		.amdhsa_next_free_vgpr 18
		.amdhsa_next_free_sgpr 36
		.amdhsa_accum_offset 20
		.amdhsa_reserve_vcc 1
		.amdhsa_float_round_mode_32 0
		.amdhsa_float_round_mode_16_64 0
		.amdhsa_float_denorm_mode_32 3
		.amdhsa_float_denorm_mode_16_64 3
		.amdhsa_dx10_clamp 1
		.amdhsa_ieee_mode 1
		.amdhsa_fp16_overflow 0
		.amdhsa_tg_split 0
		.amdhsa_exception_fp_ieee_invalid_op 0
		.amdhsa_exception_fp_denorm_src 0
		.amdhsa_exception_fp_ieee_div_zero 0
		.amdhsa_exception_fp_ieee_overflow 0
		.amdhsa_exception_fp_ieee_underflow 0
		.amdhsa_exception_fp_ieee_inexact 0
		.amdhsa_exception_int_div_zero 0
	.end_amdhsa_kernel
	.section	.text._ZL33flash_attn_stream_k_fixup_generalILi64ELi16ELi1EEvPfPK15HIP_vector_typeIfLj2EEiiiiS1_IjLj3EES5_S5_S5_,"axG",@progbits,_ZL33flash_attn_stream_k_fixup_generalILi64ELi16ELi1EEvPfPK15HIP_vector_typeIfLj2EEiiiiS1_IjLj3EES5_S5_S5_,comdat
.Lfunc_end61:
	.size	_ZL33flash_attn_stream_k_fixup_generalILi64ELi16ELi1EEvPfPK15HIP_vector_typeIfLj2EEiiiiS1_IjLj3EES5_S5_S5_, .Lfunc_end61-_ZL33flash_attn_stream_k_fixup_generalILi64ELi16ELi1EEvPfPK15HIP_vector_typeIfLj2EEiiiiS1_IjLj3EES5_S5_S5_
                                        ; -- End function
	.set _ZL33flash_attn_stream_k_fixup_generalILi64ELi16ELi1EEvPfPK15HIP_vector_typeIfLj2EEiiiiS1_IjLj3EES5_S5_S5_.num_vgpr, 18
	.set _ZL33flash_attn_stream_k_fixup_generalILi64ELi16ELi1EEvPfPK15HIP_vector_typeIfLj2EEiiiiS1_IjLj3EES5_S5_S5_.num_agpr, 0
	.set _ZL33flash_attn_stream_k_fixup_generalILi64ELi16ELi1EEvPfPK15HIP_vector_typeIfLj2EEiiiiS1_IjLj3EES5_S5_S5_.numbered_sgpr, 36
	.set _ZL33flash_attn_stream_k_fixup_generalILi64ELi16ELi1EEvPfPK15HIP_vector_typeIfLj2EEiiiiS1_IjLj3EES5_S5_S5_.num_named_barrier, 0
	.set _ZL33flash_attn_stream_k_fixup_generalILi64ELi16ELi1EEvPfPK15HIP_vector_typeIfLj2EEiiiiS1_IjLj3EES5_S5_S5_.private_seg_size, 0
	.set _ZL33flash_attn_stream_k_fixup_generalILi64ELi16ELi1EEvPfPK15HIP_vector_typeIfLj2EEiiiiS1_IjLj3EES5_S5_S5_.uses_vcc, 1
	.set _ZL33flash_attn_stream_k_fixup_generalILi64ELi16ELi1EEvPfPK15HIP_vector_typeIfLj2EEiiiiS1_IjLj3EES5_S5_S5_.uses_flat_scratch, 0
	.set _ZL33flash_attn_stream_k_fixup_generalILi64ELi16ELi1EEvPfPK15HIP_vector_typeIfLj2EEiiiiS1_IjLj3EES5_S5_S5_.has_dyn_sized_stack, 0
	.set _ZL33flash_attn_stream_k_fixup_generalILi64ELi16ELi1EEvPfPK15HIP_vector_typeIfLj2EEiiiiS1_IjLj3EES5_S5_S5_.has_recursion, 0
	.set _ZL33flash_attn_stream_k_fixup_generalILi64ELi16ELi1EEvPfPK15HIP_vector_typeIfLj2EEiiiiS1_IjLj3EES5_S5_S5_.has_indirect_call, 0
	.section	.AMDGPU.csdata,"",@progbits
; Kernel info:
; codeLenInByte = 2932
; TotalNumSgprs: 42
; NumVgprs: 18
; NumAgprs: 0
; TotalNumVgprs: 18
; ScratchSize: 0
; MemoryBound: 0
; FloatMode: 240
; IeeeMode: 1
; LDSByteSize: 0 bytes/workgroup (compile time only)
; SGPRBlocks: 5
; VGPRBlocks: 2
; NumSGPRsForWavesPerEU: 42
; NumVGPRsForWavesPerEU: 18
; AccumOffset: 20
; Occupancy: 8
; WaveLimiterHint : 0
; COMPUTE_PGM_RSRC2:SCRATCH_EN: 0
; COMPUTE_PGM_RSRC2:USER_SGPR: 2
; COMPUTE_PGM_RSRC2:TRAP_HANDLER: 0
; COMPUTE_PGM_RSRC2:TGID_X_EN: 1
; COMPUTE_PGM_RSRC2:TGID_Y_EN: 1
; COMPUTE_PGM_RSRC2:TGID_Z_EN: 1
; COMPUTE_PGM_RSRC2:TIDIG_COMP_CNT: 0
; COMPUTE_PGM_RSRC3_GFX90A:ACCUM_OFFSET: 4
; COMPUTE_PGM_RSRC3_GFX90A:TG_SPLIT: 0
	.section	.text._ZL15flash_attn_tileILi64ELi64ELi8ELi1ELb0EEvPKcS1_S1_S1_S1_PKiPfP15HIP_vector_typeIfLj2EEffffjfiS5_IjLj3EEiiiiiiiiiiiliiliiiiil,"axG",@progbits,_ZL15flash_attn_tileILi64ELi64ELi8ELi1ELb0EEvPKcS1_S1_S1_S1_PKiPfP15HIP_vector_typeIfLj2EEffffjfiS5_IjLj3EEiiiiiiiiiiiliiliiiiil,comdat
	.globl	_ZL15flash_attn_tileILi64ELi64ELi8ELi1ELb0EEvPKcS1_S1_S1_S1_PKiPfP15HIP_vector_typeIfLj2EEffffjfiS5_IjLj3EEiiiiiiiiiiiliiliiiiil ; -- Begin function _ZL15flash_attn_tileILi64ELi64ELi8ELi1ELb0EEvPKcS1_S1_S1_S1_PKiPfP15HIP_vector_typeIfLj2EEffffjfiS5_IjLj3EEiiiiiiiiiiiliiliiiiil
	.p2align	8
	.type	_ZL15flash_attn_tileILi64ELi64ELi8ELi1ELb0EEvPKcS1_S1_S1_S1_PKiPfP15HIP_vector_typeIfLj2EEffffjfiS5_IjLj3EEiiiiiiiiiiiliiliiiiil,@function
_ZL15flash_attn_tileILi64ELi64ELi8ELi1ELb0EEvPKcS1_S1_S1_S1_PKiPfP15HIP_vector_typeIfLj2EEffffjfiS5_IjLj3EEiiiiiiiiiiiliiliiiiil: ; @_ZL15flash_attn_tileILi64ELi64ELi8ELi1ELb0EEvPKcS1_S1_S1_S1_PKiPfP15HIP_vector_typeIfLj2EEffffjfiS5_IjLj3EEiiiiiiiiiiiliiliiiiil
; %bb.0:
	s_load_dwordx4 s[24:27], s[0:1], 0x5c
	s_load_dwordx2 s[38:39], s[0:1], 0x80
	s_load_dwordx2 s[40:41], s[0:1], 0xb8
	s_mov_b64 s[36:37], 0
	s_waitcnt lgkmcnt(0)
	v_cvt_f32_u32_e32 v1, s27
	s_sub_i32 s5, 0, s27
	v_rcp_iflag_f32_e32 v1, v1
	s_nop 0
	v_mul_f32_e32 v1, 0x4f7ffffe, v1
	v_cvt_u32_f32_e32 v1, v1
	s_nop 0
	v_readfirstlane_b32 s6, v1
	s_mul_i32 s5, s5, s6
	s_mul_hi_u32 s5, s6, s5
	s_add_i32 s6, s6, s5
	s_mul_hi_u32 s5, s4, s6
	s_mul_i32 s6, s5, s27
	s_sub_i32 s6, s4, s6
	s_add_i32 s7, s5, 1
	s_sub_i32 s8, s6, s27
	s_cmp_ge_u32 s6, s27
	s_cselect_b32 s5, s7, s5
	s_cselect_b32 s6, s8, s6
	s_add_i32 s7, s5, 1
	s_cmp_ge_u32 s6, s27
	s_cselect_b32 s33, s7, s5
	s_abs_i32 s5, s39
	v_cvt_f32_u32_e32 v1, s5
	s_mul_i32 s8, s33, s27
	s_sub_i32 s9, 0, s5
	s_sub_i32 s34, s4, s8
	v_rcp_iflag_f32_e32 v1, v1
	s_abs_i32 s7, s27
	s_xor_b32 s6, s27, s39
	s_ashr_i32 s6, s6, 31
	v_mul_f32_e32 v1, 0x4f7ffffe, v1
	v_cvt_u32_f32_e32 v1, v1
	s_nop 0
	v_readfirstlane_b32 s4, v1
	s_mul_i32 s9, s9, s4
	s_mul_hi_u32 s8, s4, s9
	s_add_i32 s4, s4, s8
	s_mul_hi_u32 s4, s7, s4
	s_mul_i32 s8, s4, s5
	s_sub_i32 s7, s7, s8
	s_add_i32 s9, s4, 1
	s_sub_i32 s8, s7, s5
	s_cmp_ge_u32 s7, s5
	s_cselect_b32 s4, s9, s4
	s_cselect_b32 s7, s8, s7
	s_add_i32 s8, s4, 1
	s_cmp_ge_u32 s7, s5
	s_cselect_b32 s4, s8, s4
	s_xor_b32 s4, s4, s6
	s_sub_i32 s43, s4, s6
	s_abs_i32 s39, s43
	v_cvt_f32_u32_e32 v1, s39
	s_load_dwordx16 s[8:23], s[0:1], 0x0
	s_sub_i32 s4, 0, s39
	s_abs_i32 s42, s34
	v_rcp_iflag_f32_e32 v1, v1
	s_nop 0
	v_mul_f32_e32 v1, 0x4f7ffffe, v1
	v_cvt_u32_f32_e32 v1, v1
	s_nop 0
	v_readfirstlane_b32 s5, v1
	s_mul_i32 s4, s4, s5
	s_mul_hi_u32 s4, s5, s4
	s_add_i32 s4, s5, s4
	s_waitcnt lgkmcnt(0)
	s_cmp_eq_u64 s[14:15], 0
	s_cbranch_scc1 .LBB62_2
; %bb.1:
	s_abs_i32 s5, s40
	v_cvt_f32_u32_e32 v1, s5
	s_sub_i32 s30, 0, s5
	s_abs_i32 s29, s33
	s_ashr_i32 s28, s33, 31
	v_rcp_iflag_f32_e32 v1, v1
	s_load_dwordx2 s[6:7], s[0:1], 0xc8
	v_mul_f32_e32 v1, 0x4f7ffffe, v1
	v_cvt_u32_f32_e32 v1, v1
	s_nop 0
	v_readfirstlane_b32 s31, v1
	s_mul_i32 s30, s30, s31
	s_mul_hi_u32 s30, s31, s30
	s_add_i32 s31, s31, s30
	s_mul_hi_u32 s30, s29, s31
	s_mul_i32 s30, s30, s5
	s_sub_i32 s29, s29, s30
	s_sub_i32 s30, s29, s5
	s_cmp_ge_u32 s29, s5
	s_cselect_b32 s29, s30, s29
	s_sub_i32 s30, s29, s5
	s_cmp_ge_u32 s29, s5
	s_cselect_b32 s5, s30, s29
	s_xor_b32 s5, s5, s28
	s_sub_i32 s5, s5, s28
	s_ashr_i32 s28, s5, 31
	s_waitcnt lgkmcnt(0)
	s_mul_hi_u32 s29, s6, s5
	s_mul_i32 s28, s6, s28
	s_mul_i32 s7, s7, s5
	s_add_i32 s28, s29, s28
	s_add_i32 s28, s28, s7
	s_mul_i32 s5, s6, s5
	s_add_u32 s36, s14, s5
	s_addc_u32 s37, s15, s28
.LBB62_2:
	s_load_dwordx4 s[28:31], s[0:1], 0x40
	s_mul_hi_u32 s15, s42, s4
	s_load_dword s4, s[0:1], 0x50
	v_mov_b32_e32 v23, 1.0
	s_waitcnt lgkmcnt(0)
	v_cmp_le_f32_e64 s[6:7], s29, 0
	s_and_b64 vcc, exec, s[6:7]
	s_cbranch_vccnz .LBB62_4
; %bb.3:
	v_mov_b32_e32 v1, s4
	v_sub_co_u32_e32 v1, vcc, s34, v1
	v_mov_b32_e32 v2, s31
	v_mov_b32_e32 v3, s30
	s_add_i32 s4, s34, 1
	v_lshlrev_b32_e32 v1, 1, v1
	v_cndmask_b32_e32 v2, v2, v3, vcc
	v_or_b32_e32 v1, 1, v1
	v_mov_b32_e32 v3, s4
	v_cndmask_b32_e32 v1, v1, v3, vcc
	v_cvt_f32_i32_e32 v1, v1
	v_cmp_neq_f32_e32 vcc, 1.0, v2
	s_mov_b32 s4, 0x3f2aaaab
	s_movk_i32 s6, 0x204
	v_cndmask_b32_e32 v1, 1.0, v1, vcc
	v_cmp_neq_f32_e32 vcc, 0, v1
	s_mov_b32 s5, 0x42b17218
	s_mov_b32 s7, 0x3fb8aa3b
	v_cndmask_b32_e32 v18, 1.0, v2, vcc
	v_frexp_mant_f32_e64 v2, |v18|
	v_cmp_gt_f32_e32 vcc, s4, v2
	s_mov_b32 s4, 0x3f317218
	s_brev_b32 s14, -2
	v_cndmask_b32_e64 v3, 1.0, 2.0, vcc
	v_mul_f32_e32 v2, v2, v3
	v_add_f32_e32 v5, 1.0, v2
	v_rcp_f32_e32 v10, v5
	v_add_f32_e32 v3, -1.0, v5
	v_sub_f32_e32 v7, v2, v3
	v_add_f32_e32 v3, -1.0, v2
	v_mul_f32_e32 v11, v3, v10
	v_mul_f32_e32 v4, v5, v11
	v_fma_f32 v6, v11, v5, -v4
	v_fmac_f32_e32 v6, v11, v7
	v_add_f32_e32 v2, v4, v6
	v_sub_f32_e32 v5, v3, v2
	v_pk_add_f32 v[8:9], v[2:3], v[4:5] neg_lo:[0,1] neg_hi:[0,1]
	v_mov_b32_e32 v7, v2
	v_pk_add_f32 v[2:3], v[8:9], v[6:7] neg_lo:[0,1] neg_hi:[0,1]
	v_mov_b32_e32 v6, 0x3e91f4c4
	v_add_f32_e32 v2, v2, v3
	v_add_f32_e32 v2, v5, v2
	v_mul_f32_e32 v3, v10, v2
	v_add_f32_e32 v2, v11, v3
	v_sub_f32_e32 v4, v2, v11
	v_sub_f32_e32 v12, v3, v4
	v_mul_f32_e32 v3, v2, v2
	v_fma_f32 v5, v2, v2, -v3
	v_add_f32_e32 v4, v12, v12
	v_fmac_f32_e32 v5, v2, v4
	v_add_f32_e32 v4, v3, v5
	v_fmac_f32_e32 v6, 0x3e76c4e1, v4
	v_fmaak_f32 v6, v4, v6, 0x3ecccdef
	v_sub_f32_e32 v3, v4, v3
	v_sub_f32_e32 v13, v5, v3
	v_mul_f32_e32 v3, v4, v6
	v_fma_f32 v5, v4, v6, -v3
	v_fmac_f32_e32 v5, v13, v6
	v_add_f32_e32 v6, v3, v5
	v_add_f32_e32 v7, 0x3f2aaaaa, v6
	v_sub_f32_e32 v3, v6, v3
	v_sub_f32_e32 v3, v5, v3
	v_add_f32_e32 v5, 0xbf2aaaaa, v7
	v_add_f32_e32 v3, 0x31739010, v3
	v_sub_f32_e32 v5, v6, v5
	v_pk_mul_f32 v[8:9], v[2:3], v[4:5]
	v_pk_add_f32 v[10:11], v[2:3], v[4:5]
	v_fma_f32 v6, v4, v2, -v8
	v_fmac_f32_e32 v6, v4, v12
	v_mov_b32_e32 v9, v11
	v_fmac_f32_e32 v6, v13, v2
	v_pk_add_f32 v[4:5], v[8:9], v[6:7]
	v_ldexp_f32 v14, v12, 1
	v_sub_f32_e32 v3, v4, v8
	v_sub_f32_e32 v3, v6, v3
	;; [unrolled: 1-line block ×3, first 2 shown]
	v_add_f32_e32 v9, v11, v6
	v_pk_mul_f32 v[6:7], v[4:5], v[4:5] op_sel:[0,1] op_sel_hi:[1,0]
	v_cvt_f64_f32_e64 v[10:11], |v18|
	v_frexp_exp_i32_f64_e32 v7, v[10:11]
	v_subbrev_co_u32_e32 v7, vcc, 0, v7, vcc
	v_cvt_f32_i32_e32 v7, v7
	v_fma_f32 v8, v4, v5, -v6
	v_fmac_f32_e32 v8, v4, v9
	v_fmac_f32_e32 v8, v3, v5
	v_mul_f32_e32 v4, 0x3f317218, v7
	v_fma_f32 v3, v7, s4, -v4
	v_fmamk_f32 v10, v7, 0xb102e308, v3
	v_ldexp_f32 v11, v2, 1
	v_add_f32_e32 v5, v6, v8
	v_pk_add_f32 v[2:3], v[4:5], v[10:11]
	v_mov_b32_e32 v12, v5
	v_mov_b32_e32 v13, v3
	;; [unrolled: 1-line block ×3, first 2 shown]
	v_pk_add_f32 v[6:7], v[12:13], v[6:7] neg_lo:[0,1] neg_hi:[0,1]
	v_mov_b32_e32 v9, v5
	v_pk_add_f32 v[6:7], v[8:9], v[6:7] neg_lo:[0,1] neg_hi:[0,1]
	v_mov_b32_e32 v11, v2
	v_add_f32_e32 v5, v14, v6
	v_add_f32_e32 v5, v5, v7
	v_pk_add_f32 v[6:7], v[2:3], v[4:5] neg_lo:[0,1] neg_hi:[0,1]
	v_pk_add_f32 v[8:9], v[2:3], v[4:5]
	v_mov_b32_e32 v16, v3
	v_mov_b32_e32 v7, v9
	v_pk_add_f32 v[12:13], v[10:11], v[6:7] neg_lo:[0,1] neg_hi:[0,1]
	v_pk_add_f32 v[6:7], v[10:11], v[6:7]
	v_mov_b32_e32 v4, v5
	v_pk_add_f32 v[10:11], v[6:7], v[2:3] op_sel:[1,0] op_sel_hi:[0,1] neg_lo:[0,1] neg_hi:[0,1]
	v_pk_add_f32 v[14:15], v[8:9], v[10:11] op_sel_hi:[1,0] neg_lo:[0,1] neg_hi:[0,1]
	v_mov_b32_e32 v8, v9
	v_mov_b32_e32 v9, v7
	;; [unrolled: 1-line block ×3, first 2 shown]
	v_pk_add_f32 v[8:9], v[8:9], v[16:17] neg_lo:[0,1] neg_hi:[0,1]
	v_mov_b32_e32 v5, v2
	v_pk_add_f32 v[2:3], v[4:5], v[8:9] neg_lo:[0,1] neg_hi:[0,1]
	v_mov_b32_e32 v14, v12
	v_pk_add_f32 v[4:5], v[14:15], v[2:3]
	v_mov_b32_e32 v13, v7
	v_pk_add_f32 v[8:9], v[4:5], v[4:5] op_sel:[0,1] op_sel_hi:[1,0]
	s_mov_b32 s4, 0x7f800000
	v_pk_add_f32 v[6:7], v[6:7], v[8:9] op_sel:[1,0] op_sel_hi:[0,1]
	v_mov_b32_e32 v5, v6
	v_pk_add_f32 v[10:11], v[4:5], v[12:13] neg_lo:[0,1] neg_hi:[0,1]
	v_mov_b32_e32 v3, v8
	v_sub_f32_e32 v4, v4, v10
	v_pk_add_f32 v[2:3], v[2:3], v[10:11] neg_lo:[0,1] neg_hi:[0,1]
	v_sub_f32_e32 v4, v12, v4
	v_add_f32_e32 v2, v2, v4
	v_add_f32_e32 v2, v2, v3
	;; [unrolled: 1-line block ×3, first 2 shown]
	v_sub_f32_e32 v4, v3, v6
	v_sub_f32_e32 v2, v2, v4
	v_mul_f32_e32 v4, v1, v3
	v_fma_f32 v3, v1, v3, -v4
	v_fmac_f32_e32 v3, v1, v2
	v_add_f32_e32 v2, v4, v3
	v_cmp_class_f32_e64 vcc, v4, s6
	v_sub_f32_e32 v5, v2, v4
	v_sub_f32_e32 v3, v3, v5
	v_cndmask_b32_e32 v2, v2, v4, vcc
	v_mov_b32_e32 v4, 0x37000000
	v_cmp_eq_f32_e32 vcc, s5, v2
	v_cmp_class_f32_e64 s[30:31], v18, s6
	s_nop 0
	v_cndmask_b32_e32 v4, 0, v4, vcc
	v_sub_f32_e32 v5, v2, v4
	v_mul_f32_e32 v6, 0x3fb8aa3b, v5
	v_fma_f32 v7, v5, s7, -v6
	v_rndne_f32_e32 v8, v6
	v_fmamk_f32 v7, v5, 0x32a5705f, v7
	v_sub_f32_e32 v6, v6, v8
	v_add_f32_e32 v6, v6, v7
	v_exp_f32_e32 v6, v6
	v_cvt_i32_f32_e32 v7, v8
	v_cmp_neq_f32_e64 vcc, |v2|, s4
	s_mov_b32 s4, 0xc2ce8ed0
	s_nop 0
	v_cndmask_b32_e32 v2, 0, v3, vcc
	v_ldexp_f32 v3, v6, v7
	v_cmp_ngt_f32_e32 vcc, s4, v5
	v_add_f32_e32 v2, v4, v2
	v_mov_b32_e32 v4, 0x7f800000
	v_cndmask_b32_e32 v3, 0, v3, vcc
	v_cmp_nlt_f32_e32 vcc, s5, v5
	v_mov_b32_e32 v5, 0x7fc00000
	s_nop 0
	v_cndmask_b32_e32 v3, v4, v3, vcc
	v_fma_f32 v2, v3, v2, v3
	v_cmp_class_f32_e64 vcc, v3, s6
	v_cmp_gt_f32_e64 s[6:7], 0, v1
	s_nop 0
	v_cndmask_b32_e32 v2, v2, v3, vcc
	v_trunc_f32_e32 v3, v1
	v_cmp_eq_f32_e32 vcc, v3, v1
	v_mul_f32_e32 v3, 0.5, v1
	v_trunc_f32_e32 v6, v3
	v_cmp_neq_f32_e64 s[4:5], v6, v3
	s_and_b64 s[4:5], vcc, s[4:5]
	s_nop 0
	v_cndmask_b32_e64 v3, 1.0, v18, s[4:5]
	v_bfi_b32 v2, s14, v2, v3
	v_cndmask_b32_e32 v3, v5, v2, vcc
	v_cmp_gt_f32_e32 vcc, 0, v18
	s_nop 1
	v_cndmask_b32_e32 v2, v2, v3, vcc
	v_cmp_eq_f32_e32 vcc, 0, v18
	s_xor_b64 s[6:7], s[6:7], vcc
	v_cndmask_b32_e64 v1, v4, 0, s[6:7]
	v_cndmask_b32_e64 v3, 0, v18, s[4:5]
	v_bfi_b32 v1, s14, v1, v3
	s_or_b64 vcc, vcc, s[30:31]
	v_cndmask_b32_e32 v1, v2, v1, vcc
	v_cmp_o_f32_e32 vcc, v18, v18
	s_nop 1
	v_cndmask_b32_e32 v23, v5, v1, vcc
.LBB62_4:
	s_load_dwordx4 s[44:47], s[0:1], 0x70
	s_ashr_i32 s35, s34, 31
	s_ashr_i32 s4, s43, 31
	s_lshl_b32 s14, s2, 3
	v_bfe_u32 v22, v0, 10, 10
	s_waitcnt lgkmcnt(0)
	s_mul_i32 s5, s33, s46
	s_ashr_i32 s7, s5, 31
	s_mul_i32 s6, s34, s45
	s_add_u32 s5, s8, s5
	s_addc_u32 s7, s9, s7
	s_ashr_i32 s8, s6, 31
	s_add_u32 s6, s5, s6
	v_lshlrev_b32_e32 v16, 1, v22
	v_and_b32_e32 v17, 0x3ff, v0
	s_addc_u32 s7, s7, s8
	v_lshlrev_b32_e32 v0, 3, v17
	v_mov_b32_e32 v1, 0
	v_add_u32_e32 v18, s14, v16
	v_lshl_add_u64 v[2:3], s[6:7], 0, v[0:1]
	v_mul_hi_u32 v0, v18, s24
	v_add_u32_e32 v0, v18, v0
	v_lshrrev_b32_e32 v0, s25, v0
	s_ashr_i32 s45, s44, 31
	v_mul_lo_u32 v0, v0, s26
	s_lshr_b64 s[8:9], s[44:45], 2
	v_sub_u32_e32 v24, v18, v0
	v_mad_u64_u32 v[4:5], s[6:7], s8, v24, 0
	v_or_b32_e32 v14, 1, v16
	v_mov_b32_e32 v0, v5
	s_lshr_b32 s5, s45, 2
	v_add_u32_e32 v15, s14, v14
	v_mad_u64_u32 v[6:7], s[6:7], s5, v24, v[0:1]
	v_mul_hi_u32 v0, v15, s24
	v_add_u32_e32 v0, v15, v0
	v_lshrrev_b32_e32 v0, s25, v0
	v_mul_lo_u32 v0, v0, s26
	v_sub_u32_e32 v8, v15, v0
	v_mov_b32_e32 v5, v6
	v_mad_u64_u32 v[6:7], s[6:7], s8, v8, 0
	v_mov_b32_e32 v0, v7
	v_mad_u64_u32 v[8:9], s[6:7], s5, v8, v[0:1]
	v_lshl_add_u64 v[4:5], v[4:5], 2, v[2:3]
	v_mov_b32_e32 v7, v8
	global_load_dwordx2 v[4:5], v[4:5], off
	v_lshl_add_u64 v[2:3], v[6:7], 2, v[2:3]
	global_load_dwordx2 v[2:3], v[2:3], off
	v_mov_b32_e32 v0, 0x1200
	v_lshl_add_u32 v0, v17, 2, v0
	v_lshlrev_b32_e32 v25, 8, v22
	v_add_u32_e32 v6, v0, v25
	s_cmp_eq_u64 s[18:19], 0
	v_lshl_add_u32 v0, v14, 7, v0
	s_waitcnt vmcnt(1)
	v_fma_mixlo_f16 v5, s28, v5, 0
	v_fma_mixlo_f16 v4, s28, v4, 0
	s_waitcnt vmcnt(0)
	v_fma_mixlo_f16 v3, s28, v3, 0
	v_lshlrev_b32_e32 v5, 16, v5
	v_fma_mixlo_f16 v2, s28, v2, 0
	v_lshlrev_b32_e32 v3, 16, v3
	v_or_b32_sdwa v4, v5, v4 dst_sel:DWORD dst_unused:UNUSED_PAD src0_sel:DWORD src1_sel:WORD_0
	v_or_b32_sdwa v2, v3, v2 dst_sel:DWORD dst_unused:UNUSED_PAD src0_sel:DWORD src1_sel:WORD_0
	ds_write_b32 v6, v4
	ds_write_b32 v0, v2
	s_waitcnt lgkmcnt(0)
	s_barrier
	s_cbranch_scc1 .LBB62_6
; %bb.5:
	s_load_dword s5, s[0:1], 0xd0
	s_mov_b32 s7, 0
	s_waitcnt lgkmcnt(0)
	s_mul_i32 s5, s5, s33
	s_add_i32 s6, s5, s2
	s_lshl_b64 s[6:7], s[6:7], 2
	s_add_u32 s6, s18, s6
	s_addc_u32 s7, s19, s7
	s_load_dword s38, s[6:7], 0x0
.LBB62_6:
	s_nop 0
	s_load_dwordx2 s[6:7], s[0:1], 0x8c
	s_load_dwordx4 s[44:47], s[0:1], 0x98
	s_load_dwordx2 s[18:19], s[0:1], 0xa8
	s_ashr_i32 s5, s33, 31
	s_ashr_i32 s28, s41, 1
	s_waitcnt lgkmcnt(0)
	s_ashr_i32 s8, s6, 2
	s_mul_hi_u32 s6, s44, s33
	s_mul_i32 s9, s44, s5
	s_add_i32 s6, s6, s9
	s_mul_i32 s9, s45, s33
	s_ashr_i32 s2, s46, 2
	s_add_i32 s6, s6, s9
	s_mul_i32 s9, s44, s33
	s_add_u32 s9, s10, s9
	s_mul_i32 s10, s15, s39
	s_addc_u32 s6, s11, s6
	s_sub_i32 s10, s42, s10
	s_xor_b32 s4, s35, s4
	s_add_i32 s11, s15, 1
	s_sub_i32 s29, s10, s39
	s_cmp_ge_u32 s10, s39
	s_cselect_b32 s11, s11, s15
	s_cselect_b32 s10, s29, s10
	s_add_i32 s15, s11, 1
	s_cmp_ge_u32 s10, s39
	s_cselect_b32 s10, s15, s11
	s_xor_b32 s10, s10, s4
	s_sub_i32 s4, s10, s4
	s_mul_i32 s7, s4, s7
	s_ashr_i32 s10, s7, 31
	s_add_u32 s9, s9, s7
	s_addc_u32 s10, s6, s10
	s_mul_hi_u32 s6, s18, s33
	s_mul_i32 s5, s18, s5
	s_add_i32 s5, s6, s5
	s_mul_i32 s6, s19, s33
	s_add_i32 s5, s5, s6
	s_mul_i32 s6, s18, s33
	s_add_u32 s6, s12, s6
	s_mul_i32 s4, s4, s47
	s_addc_u32 s5, s13, s5
	s_ashr_i32 s7, s4, 31
	s_add_u32 s15, s6, s4
	s_addc_u32 s18, s5, s7
	s_lshl_b32 s19, s3, 5
	s_sub_i32 s11, s38, 32
	s_cmp_ge_i32 s19, s11
	v_lshrrev_b32_e32 v27, 3, v17
	v_lshlrev_b32_e32 v20, 2, v17
	v_mbcnt_lo_u32_b32 v26, -1, 0
	s_cbranch_scc1 .LBB62_15
; %bb.7:
	v_or_b32_e32 v3, 1, v18
	v_mul_hi_u32 v4, s24, v3
	v_add_u32_e32 v4, v3, v4
	v_lshrrev_b32_e32 v4, s25, v4
	v_and_b32_e32 v0, 28, v20
	v_mul_lo_u32 v4, v4, s26
	v_lshl_add_u32 v1, v22, 2, v27
	v_lshlrev_b32_e32 v2, 2, v0
	s_movk_i32 s4, 0x90
	s_cmp_lg_u64 s[36:37], 0
	v_sub_u32_e32 v3, v3, v4
	v_mad_u32_u24 v28, v1, s4, v2
	v_mul_lo_u32 v6, s8, v1
	s_cselect_b64 s[4:5], -1, 0
	v_mul_lo_u32 v33, v3, s28
	v_mov_b32_e32 v3, 0x1600
	v_mul_lo_u32 v10, s2, v1
	v_mov_b32_e32 v5, 0
	v_lshl_add_u32 v8, s8, 4, v6
	v_lshl_add_u32 v34, v22, 7, v3
	v_lshl_or_b32 v35, v1, 7, v2
	v_lshl_add_u32 v12, s2, 4, v10
	s_add_u32 s6, s0, 0xd0
	v_lshlrev_b32_e32 v4, 2, v0
	v_cndmask_b32_e64 v0, 0, 1, s[4:5]
	v_ashrrev_i32_e32 v7, 31, v6
	v_add_u32_e32 v29, 0x900, v28
	v_ashrrev_i32_e32 v9, 31, v8
	v_mul_u32_u24_e32 v30, 0x90, v17
	v_add_u32_e32 v31, 0x1200, v25
	v_mul_lo_u32 v32, v24, s28
	v_ashrrev_i32_e32 v11, 31, v10
	v_add_u32_e32 v36, 0x800, v35
	v_ashrrev_i32_e32 v13, 31, v12
	s_addc_u32 s7, s1, 0
	v_mov_b32_e32 v41, 0xfeffffff
	s_mov_b32 s12, 0x3fb8aa3b
	s_mov_b32 s13, 0xc2ce8ed0
	;; [unrolled: 1-line block ×4, first 2 shown]
	v_add_u32_e32 v37, v34, v20
	v_cmp_ne_u32_e64 s[4:5], 1, v0
	v_mbcnt_hi_u32_b32 v38, -1, v26
	v_mov_b32_e32 v39, 0x7f800000
	v_mov_b32_e32 v19, v5
	;; [unrolled: 1-line block ×6, first 2 shown]
.LBB62_8:                               ; =>This Inner Loop Header: Depth=1
	s_mul_hi_i32 s41, s19, s8
	s_mul_i32 s40, s19, s8
	s_lshl_b64 s[40:41], s[40:41], 2
	s_add_u32 s40, s9, s40
	s_addc_u32 s41, s10, s41
	v_lshl_add_u64 v[2:3], v[6:7], 2, s[40:41]
	v_lshl_add_u64 v[2:3], v[2:3], 0, v[4:5]
	;; [unrolled: 1-line block ×4, first 2 shown]
	global_load_dwordx4 v[42:45], v[2:3], off
	global_load_dwordx4 v[46:49], v[50:51], off
	v_mov_b32_e32 v3, 0
	v_mov_b32_e32 v2, 0
	s_and_b64 vcc, exec, s[4:5]
	s_waitcnt vmcnt(1)
	ds_write_b128 v28, v[42:45]
	s_waitcnt vmcnt(0)
	ds_write_b128 v29, v[46:49]
	s_waitcnt lgkmcnt(0)
	s_barrier
	ds_read_b128 v[42:45], v30
	ds_read_b128 v[46:49], v31
	ds_read_b128 v[50:53], v31 offset:128
	s_waitcnt lgkmcnt(1)
	;;#ASMSTART
	v_dot2_f32_f16 v3, v42, v46, v3
	;;#ASMEND
	s_nop 0
	;;#ASMSTART
	v_dot2_f32_f16 v3, v43, v47, v3
	;;#ASMEND
	s_nop 0
	;;#ASMSTART
	v_dot2_f32_f16 v3, v44, v48, v3
	;;#ASMEND
	s_nop 0
	;;#ASMSTART
	v_dot2_f32_f16 v3, v45, v49, v3
	;;#ASMEND
	s_waitcnt lgkmcnt(0)
	;;#ASMSTART
	v_dot2_f32_f16 v2, v42, v50, v2
	;;#ASMEND
	s_nop 0
	;;#ASMSTART
	v_dot2_f32_f16 v2, v43, v51, v2
	;;#ASMEND
	s_nop 0
	;;#ASMSTART
	v_dot2_f32_f16 v2, v44, v52, v2
	;;#ASMEND
	s_nop 0
	;;#ASMSTART
	v_dot2_f32_f16 v2, v45, v53, v2
	;;#ASMEND
	ds_read_b128 v[42:45], v30 offset:16
	ds_read_b128 v[46:49], v31 offset:16
	ds_read_b128 v[50:53], v31 offset:144
	s_waitcnt lgkmcnt(1)
	;;#ASMSTART
	v_dot2_f32_f16 v3, v42, v46, v3
	;;#ASMEND
	s_nop 0
	;;#ASMSTART
	v_dot2_f32_f16 v3, v43, v47, v3
	;;#ASMEND
	s_nop 0
	;;#ASMSTART
	v_dot2_f32_f16 v3, v44, v48, v3
	;;#ASMEND
	s_nop 0
	;;#ASMSTART
	v_dot2_f32_f16 v3, v45, v49, v3
	;;#ASMEND
	s_waitcnt lgkmcnt(0)
	;;#ASMSTART
	v_dot2_f32_f16 v2, v42, v50, v2
	;;#ASMEND
	s_nop 0
	;;#ASMSTART
	v_dot2_f32_f16 v2, v43, v51, v2
	;;#ASMEND
	s_nop 0
	;;#ASMSTART
	v_dot2_f32_f16 v2, v44, v52, v2
	;;#ASMEND
	s_nop 0
	;;#ASMSTART
	v_dot2_f32_f16 v2, v45, v53, v2
	;;#ASMEND
	ds_read_b128 v[42:45], v30 offset:32
	ds_read_b128 v[46:49], v31 offset:32
	ds_read_b128 v[50:53], v31 offset:160
	s_waitcnt lgkmcnt(1)
	;;#ASMSTART
	v_dot2_f32_f16 v3, v42, v46, v3
	;;#ASMEND
	s_nop 0
	;;#ASMSTART
	v_dot2_f32_f16 v3, v43, v47, v3
	;;#ASMEND
	s_nop 0
	;;#ASMSTART
	v_dot2_f32_f16 v3, v44, v48, v3
	;;#ASMEND
	s_nop 0
	;;#ASMSTART
	v_dot2_f32_f16 v3, v45, v49, v3
	;;#ASMEND
	s_waitcnt lgkmcnt(0)
	;;#ASMSTART
	v_dot2_f32_f16 v2, v42, v50, v2
	;;#ASMEND
	s_nop 0
	;;#ASMSTART
	v_dot2_f32_f16 v2, v43, v51, v2
	;;#ASMEND
	s_nop 0
	;;#ASMSTART
	v_dot2_f32_f16 v2, v44, v52, v2
	;;#ASMEND
	s_nop 0
	;;#ASMSTART
	v_dot2_f32_f16 v2, v45, v53, v2
	;;#ASMEND
	ds_read_b128 v[42:45], v30 offset:48
	ds_read_b128 v[46:49], v31 offset:48
	ds_read_b128 v[50:53], v31 offset:176
	s_waitcnt lgkmcnt(1)
	;;#ASMSTART
	v_dot2_f32_f16 v3, v42, v46, v3
	;;#ASMEND
	s_nop 0
	;;#ASMSTART
	v_dot2_f32_f16 v3, v43, v47, v3
	;;#ASMEND
	s_nop 0
	;;#ASMSTART
	v_dot2_f32_f16 v3, v44, v48, v3
	;;#ASMEND
	s_nop 0
	;;#ASMSTART
	v_dot2_f32_f16 v3, v45, v49, v3
	;;#ASMEND
	s_waitcnt lgkmcnt(0)
	;;#ASMSTART
	v_dot2_f32_f16 v2, v42, v50, v2
	;;#ASMEND
	s_nop 0
	;;#ASMSTART
	v_dot2_f32_f16 v2, v43, v51, v2
	;;#ASMEND
	s_nop 0
	;;#ASMSTART
	v_dot2_f32_f16 v2, v44, v52, v2
	;;#ASMEND
	s_nop 0
	;;#ASMSTART
	v_dot2_f32_f16 v2, v45, v53, v2
	;;#ASMEND
	ds_read_b128 v[42:45], v30 offset:64
	ds_read_b128 v[46:49], v31 offset:64
	ds_read_b128 v[50:53], v31 offset:192
	s_waitcnt lgkmcnt(1)
	;;#ASMSTART
	v_dot2_f32_f16 v3, v42, v46, v3
	;;#ASMEND
	s_nop 0
	;;#ASMSTART
	v_dot2_f32_f16 v3, v43, v47, v3
	;;#ASMEND
	s_nop 0
	;;#ASMSTART
	v_dot2_f32_f16 v3, v44, v48, v3
	;;#ASMEND
	s_nop 0
	;;#ASMSTART
	v_dot2_f32_f16 v3, v45, v49, v3
	;;#ASMEND
	s_waitcnt lgkmcnt(0)
	;;#ASMSTART
	v_dot2_f32_f16 v2, v42, v50, v2
	;;#ASMEND
	s_nop 0
	;;#ASMSTART
	v_dot2_f32_f16 v2, v43, v51, v2
	;;#ASMEND
	s_nop 0
	;;#ASMSTART
	v_dot2_f32_f16 v2, v44, v52, v2
	;;#ASMEND
	s_nop 0
	;;#ASMSTART
	v_dot2_f32_f16 v2, v45, v53, v2
	;;#ASMEND
	ds_read_b128 v[42:45], v30 offset:80
	ds_read_b128 v[46:49], v31 offset:80
	ds_read_b128 v[50:53], v31 offset:208
	s_waitcnt lgkmcnt(1)
	;;#ASMSTART
	v_dot2_f32_f16 v3, v42, v46, v3
	;;#ASMEND
	s_nop 0
	;;#ASMSTART
	v_dot2_f32_f16 v3, v43, v47, v3
	;;#ASMEND
	s_nop 0
	;;#ASMSTART
	v_dot2_f32_f16 v3, v44, v48, v3
	;;#ASMEND
	s_nop 0
	;;#ASMSTART
	v_dot2_f32_f16 v3, v45, v49, v3
	;;#ASMEND
	s_waitcnt lgkmcnt(0)
	;;#ASMSTART
	v_dot2_f32_f16 v2, v42, v50, v2
	;;#ASMEND
	s_nop 0
	;;#ASMSTART
	v_dot2_f32_f16 v2, v43, v51, v2
	;;#ASMEND
	s_nop 0
	;;#ASMSTART
	v_dot2_f32_f16 v2, v44, v52, v2
	;;#ASMEND
	s_nop 0
	;;#ASMSTART
	v_dot2_f32_f16 v2, v45, v53, v2
	;;#ASMEND
	ds_read_b128 v[42:45], v30 offset:96
	ds_read_b128 v[46:49], v31 offset:96
	ds_read_b128 v[50:53], v31 offset:224
	s_waitcnt lgkmcnt(1)
	;;#ASMSTART
	v_dot2_f32_f16 v3, v42, v46, v3
	;;#ASMEND
	s_nop 0
	;;#ASMSTART
	v_dot2_f32_f16 v3, v43, v47, v3
	;;#ASMEND
	v_add_u32_e32 v47, s19, v17
	;;#ASMSTART
	v_dot2_f32_f16 v3, v44, v48, v3
	;;#ASMEND
	s_nop 0
	;;#ASMSTART
	v_dot2_f32_f16 v3, v45, v49, v3
	;;#ASMEND
	s_waitcnt lgkmcnt(0)
	;;#ASMSTART
	v_dot2_f32_f16 v2, v42, v50, v2
	;;#ASMEND
	s_nop 0
	;;#ASMSTART
	v_dot2_f32_f16 v2, v43, v51, v2
	;;#ASMEND
	s_nop 0
	;; [unrolled: 4-line block ×3, first 2 shown]
	;;#ASMSTART
	v_dot2_f32_f16 v2, v45, v53, v2
	;;#ASMEND
	ds_read_b128 v[42:45], v30 offset:112
	ds_read_b128 v[48:51], v31 offset:112
	;; [unrolled: 1-line block ×3, first 2 shown]
	s_waitcnt lgkmcnt(1)
	;;#ASMSTART
	v_dot2_f32_f16 v3, v42, v48, v3
	;;#ASMEND
	s_nop 0
	;;#ASMSTART
	v_dot2_f32_f16 v3, v43, v49, v3
	;;#ASMEND
	s_nop 0
	;; [unrolled: 4-line block ×3, first 2 shown]
	;;#ASMSTART
	v_dot2_f32_f16 v3, v45, v51, v3
	;;#ASMEND
	s_waitcnt lgkmcnt(0)
	;;#ASMSTART
	v_dot2_f32_f16 v2, v42, v52, v2
	;;#ASMEND
	v_mov_b32_e32 v42, 0
	;;#ASMSTART
	v_dot2_f32_f16 v2, v43, v53, v2
	;;#ASMEND
	s_nop 0
	;;#ASMSTART
	v_dot2_f32_f16 v2, v44, v54, v2
	;;#ASMEND
	s_nop 0
	;;#ASMSTART
	v_dot2_f32_f16 v2, v45, v55, v2
	;;#ASMEND
	s_cbranch_vccnz .LBB62_10
; %bb.9:                                ;   in Loop: Header=BB62_8 Depth=1
	v_add_u32_e32 v42, v47, v32
	v_ashrrev_i32_e32 v43, 31, v42
	v_lshl_add_u64 v[42:43], v[42:43], 1, s[36:37]
	global_load_ushort v42, v[42:43], off
	s_waitcnt vmcnt(0)
	v_cvt_f32_f16_e32 v42, v42
	v_mul_f32_e32 v42, v23, v42
.LBB62_10:                              ;   in Loop: Header=BB62_8 Depth=1
	v_and_b32_e32 v43, 0x60, v38
	v_add_u32_e32 v43, 32, v43
	v_xor_b32_e32 v44, 16, v38
	v_cmp_lt_i32_e32 vcc, v44, v43
	v_add_f32_e32 v42, v3, v42
	v_add_f32_e32 v3, 0x40051340, v42
	v_cndmask_b32_e32 v44, v38, v44, vcc
	v_lshlrev_b32_e32 v48, 2, v44
	v_max_f32_e32 v44, v41, v41
	v_max_f32_e32 v3, v44, v3
	ds_bpermute_b32 v44, v48, v3
	v_xor_b32_e32 v45, 8, v38
	v_cmp_lt_i32_e32 vcc, v45, v43
	v_xor_b32_e32 v50, 1, v38
	s_waitcnt lgkmcnt(0)
	v_max_f32_e32 v44, v44, v44
	v_cndmask_b32_e32 v45, v38, v45, vcc
	v_lshlrev_b32_e32 v49, 2, v45
	v_max_f32_e32 v3, v3, v44
	ds_bpermute_b32 v44, v49, v3
	v_xor_b32_e32 v45, 4, v38
	v_cmp_lt_i32_e32 vcc, v45, v43
	s_waitcnt lgkmcnt(0)
	v_max_f32_e32 v44, v44, v44
	v_cndmask_b32_e32 v45, v38, v45, vcc
	v_lshlrev_b32_e32 v46, 2, v45
	v_max_f32_e32 v44, v3, v44
	ds_bpermute_b32 v45, v46, v44
	v_xor_b32_e32 v3, 2, v38
	v_cmp_lt_i32_e32 vcc, v3, v43
	s_waitcnt lgkmcnt(0)
	v_max_f32_e32 v45, v45, v45
	v_cndmask_b32_e32 v3, v38, v3, vcc
	v_lshlrev_b32_e32 v3, 2, v3
	v_max_f32_e32 v44, v44, v45
	ds_bpermute_b32 v45, v3, v44
	v_cmp_lt_i32_e32 vcc, v50, v43
	s_waitcnt lgkmcnt(0)
	v_max_f32_e32 v45, v45, v45
	v_cndmask_b32_e32 v43, v38, v50, vcc
	v_lshlrev_b32_e32 v43, 2, v43
	v_max_f32_e32 v44, v44, v45
	ds_bpermute_b32 v45, v43, v44
	s_and_b64 vcc, exec, s[4:5]
	s_cbranch_vccnz .LBB62_12
; %bb.11:                               ;   in Loop: Header=BB62_8 Depth=1
	v_add_u32_e32 v50, v47, v33
	v_ashrrev_i32_e32 v51, 31, v50
	v_lshl_add_u64 v[50:51], v[50:51], 1, s[36:37]
	global_load_ushort v47, v[50:51], off
	s_waitcnt vmcnt(0)
	v_cvt_f32_f16_e32 v47, v47
	v_mul_f32_e32 v47, v23, v47
	s_branch .LBB62_13
.LBB62_12:                              ;   in Loop: Header=BB62_8 Depth=1
	v_mov_b32_e32 v47, 0
.LBB62_13:                              ;   in Loop: Header=BB62_8 Depth=1
	v_add_f32_e32 v58, v2, v47
	v_add_f32_e32 v2, 0x40051340, v58
	v_max_f32_e32 v47, v40, v40
	v_max_f32_e32 v2, v47, v2
	ds_bpermute_b32 v47, v48, v2
	s_mul_hi_i32 s41, s19, s2
	s_mul_i32 s40, s19, s2
	s_lshl_b64 s[40:41], s[40:41], 2
	s_add_u32 s40, s15, s40
	s_waitcnt lgkmcnt(0)
	v_max_f32_e32 v47, v47, v47
	v_max_f32_e32 v2, v2, v47
	ds_bpermute_b32 v47, v49, v2
	s_addc_u32 s41, s18, s41
	s_waitcnt lgkmcnt(0)
	s_barrier
	v_max_f32_e32 v47, v47, v47
	v_max_f32_e32 v2, v2, v47
	ds_bpermute_b32 v59, v46, v2
	v_lshl_add_u64 v[46:47], v[10:11], 2, s[40:41]
	v_lshl_add_u64 v[54:55], v[46:47], 0, v[4:5]
	;; [unrolled: 1-line block ×4, first 2 shown]
	global_load_dwordx4 v[46:49], v[54:55], off
	global_load_dwordx4 v[50:53], v[56:57], off
	s_waitcnt lgkmcnt(0)
	v_max_f32_e32 v54, v59, v59
	v_max_f32_e32 v54, v2, v54
	ds_bpermute_b32 v3, v3, v54
	v_max_f32_e32 v2, v45, v45
	v_max_f32_e32 v44, v44, v44
	;; [unrolled: 1-line block ×3, first 2 shown]
	v_sub_f32_e32 v41, v41, v2
	s_waitcnt lgkmcnt(0)
	v_max_f32_e32 v3, v3, v3
	v_mul_f32_e32 v44, 0x3fb8aa3b, v41
	v_max_f32_e32 v3, v54, v3
	v_fma_f32 v45, v41, s12, -v44
	v_rndne_f32_e32 v54, v44
	ds_bpermute_b32 v43, v43, v3
	v_fmac_f32_e32 v45, 0x32a5705f, v41
	v_sub_f32_e32 v44, v44, v54
	v_add_f32_e32 v44, v44, v45
	v_exp_f32_e32 v44, v44
	v_cvt_i32_f32_e32 v45, v54
	s_waitcnt lgkmcnt(0)
	v_max_f32_e32 v43, v43, v43
	v_max_f32_e32 v3, v3, v43
	v_cmp_ngt_f32_e32 vcc, s13, v41
	v_ldexp_f32 v43, v44, v45
	v_sub_f32_e32 v44, v42, v2
	v_mul_f32_e32 v42, 0x3fb8aa3b, v44
	v_fma_f32 v45, v44, s12, -v42
	v_rndne_f32_e32 v54, v42
	v_fmac_f32_e32 v45, 0x32a5705f, v44
	v_sub_f32_e32 v42, v42, v54
	v_add_f32_e32 v42, v42, v45
	v_exp_f32_e32 v45, v42
	v_cvt_i32_f32_e32 v54, v54
	v_cndmask_b32_e32 v42, 0, v43, vcc
	v_cmp_nlt_f32_e32 vcc, s29, v41
	v_ldexp_f32 v41, v45, v54
	v_sub_f32_e32 v45, v40, v3
	v_mul_f32_e32 v40, 0x3fb8aa3b, v45
	v_fma_f32 v54, v45, s12, -v40
	v_rndne_f32_e32 v55, v40
	v_cndmask_b32_e32 v42, v39, v42, vcc
	v_fmac_f32_e32 v54, 0x32a5705f, v45
	v_sub_f32_e32 v40, v40, v55
	v_cvt_f16_f32_e32 v43, v42
	v_add_f32_e32 v40, v40, v54
	v_exp_f32_e32 v54, v40
	v_cvt_i32_f32_e32 v55, v55
	v_cmp_ngt_f32_e32 vcc, s13, v44
	v_mul_u32_u24_e32 v59, 0x10001, v43
	s_nop 0
	v_cndmask_b32_e32 v41, 0, v41, vcc
	v_cmp_nlt_f32_e32 vcc, s29, v44
	v_sub_f32_e32 v44, v58, v3
	v_mul_f32_e32 v43, 0x3fb8aa3b, v44
	v_cndmask_b32_e32 v40, v39, v41, vcc
	v_ldexp_f32 v41, v54, v55
	v_fma_f32 v54, v44, s12, -v43
	v_rndne_f32_e32 v55, v43
	v_fmac_f32_e32 v54, 0x32a5705f, v44
	v_sub_f32_e32 v43, v43, v55
	v_add_f32_e32 v43, v43, v54
	v_exp_f32_e32 v54, v43
	v_cvt_i32_f32_e32 v55, v55
	v_cmp_ngt_f32_e32 vcc, s13, v45
	s_nop 1
	v_cndmask_b32_e32 v41, 0, v41, vcc
	v_cmp_nlt_f32_e32 vcc, s29, v45
	s_nop 1
	v_cndmask_b32_e32 v43, v39, v41, vcc
	v_ldexp_f32 v41, v54, v55
	v_cmp_ngt_f32_e32 vcc, s13, v44
	v_cvt_f16_f32_e32 v45, v43
	v_mul_u32_u24_e32 v58, 0x10001, v45
	v_cndmask_b32_e32 v41, 0, v41, vcc
	v_cmp_nlt_f32_e32 vcc, s29, v44
	s_nop 1
	v_cndmask_b32_e32 v41, v39, v41, vcc
	v_pk_fma_f32 v[0:1], v[0:1], v[42:43], v[40:41]
	v_cvt_pk_f16_f32 v40, v40, v41
	ds_write_b32 v37, v40
	s_waitcnt vmcnt(1)
	ds_write_b128 v35, v[46:49]
	s_waitcnt vmcnt(0)
	ds_write_b128 v36, v[50:53]
	s_waitcnt lgkmcnt(0)
	s_barrier
	ds_read_b128 v[40:43], v34
	ds_read2_b32 v[56:57], v20 offset1:32
	ds_read_b128 v[44:47], v34 offset:16
	ds_read_b128 v[48:51], v34 offset:32
	;; [unrolled: 1-line block ×3, first 2 shown]
	s_waitcnt lgkmcnt(4)
	v_mul_u32_u24_sdwa v60, v40, s30 dst_sel:DWORD dst_unused:UNUSED_PAD src0_sel:WORD_0 src1_sel:DWORD
	v_mul_u32_u24_sdwa v40, v40, s30 dst_sel:DWORD dst_unused:UNUSED_PAD src0_sel:WORD_1 src1_sel:DWORD
	s_waitcnt lgkmcnt(3)
	v_pk_mul_f16 v40, v56, v40
	v_pk_mul_f16 v60, v56, v60
	v_pk_fma_f16 v19, v19, v58, v40
	v_mul_u32_u24_sdwa v56, v41, s30 dst_sel:DWORD dst_unused:UNUSED_PAD src0_sel:WORD_0 src1_sel:DWORD
	v_mul_u32_u24_sdwa v58, v41, s30 dst_sel:DWORD dst_unused:UNUSED_PAD src0_sel:WORD_1 src1_sel:DWORD
	ds_read2_b32 v[40:41], v20 offset0:64 offset1:96
	v_pk_fma_f16 v21, v21, v59, v60
	v_pk_fma_f16 v19, v57, v58, v19
	;; [unrolled: 1-line block ×3, first 2 shown]
	v_mul_u32_u24_sdwa v56, v42, s30 dst_sel:DWORD dst_unused:UNUSED_PAD src0_sel:WORD_0 src1_sel:DWORD
	v_mul_u32_u24_sdwa v42, v42, s30 dst_sel:DWORD dst_unused:UNUSED_PAD src0_sel:WORD_1 src1_sel:DWORD
	s_waitcnt lgkmcnt(0)
	v_pk_fma_f16 v21, v40, v56, v21
	v_pk_fma_f16 v19, v40, v42, v19
	v_mul_u32_u24_sdwa v40, v43, s30 dst_sel:DWORD dst_unused:UNUSED_PAD src0_sel:WORD_0 src1_sel:DWORD
	v_mul_u32_u24_sdwa v56, v43, s30 dst_sel:DWORD dst_unused:UNUSED_PAD src0_sel:WORD_1 src1_sel:DWORD
	ds_read2_b32 v[42:43], v20 offset0:128 offset1:160
	v_pk_fma_f16 v21, v41, v40, v21
	v_pk_fma_f16 v19, v41, v56, v19
	v_mul_u32_u24_sdwa v40, v44, s30 dst_sel:DWORD dst_unused:UNUSED_PAD src0_sel:WORD_0 src1_sel:DWORD
	v_mul_u32_u24_sdwa v41, v44, s30 dst_sel:DWORD dst_unused:UNUSED_PAD src0_sel:WORD_1 src1_sel:DWORD
	s_waitcnt lgkmcnt(0)
	v_pk_fma_f16 v21, v42, v40, v21
	v_pk_fma_f16 v19, v42, v41, v19
	ds_read2_b32 v[40:41], v20 offset0:192 offset1:224
	v_mul_u32_u24_sdwa v42, v45, s30 dst_sel:DWORD dst_unused:UNUSED_PAD src0_sel:WORD_0 src1_sel:DWORD
	v_mul_u32_u24_sdwa v44, v45, s30 dst_sel:DWORD dst_unused:UNUSED_PAD src0_sel:WORD_1 src1_sel:DWORD
	v_pk_fma_f16 v21, v43, v42, v21
	v_pk_fma_f16 v19, v43, v44, v19
	v_mul_u32_u24_sdwa v42, v46, s30 dst_sel:DWORD dst_unused:UNUSED_PAD src0_sel:WORD_0 src1_sel:DWORD
	v_mul_u32_u24_sdwa v43, v46, s30 dst_sel:DWORD dst_unused:UNUSED_PAD src0_sel:WORD_1 src1_sel:DWORD
	v_add_u32_e32 v45, 0x400, v20
	s_waitcnt lgkmcnt(0)
	v_pk_fma_f16 v21, v40, v42, v21
	v_pk_fma_f16 v19, v40, v43, v19
	ds_read2_b32 v[42:43], v45 offset1:32
	v_mul_u32_u24_sdwa v40, v47, s30 dst_sel:DWORD dst_unused:UNUSED_PAD src0_sel:WORD_0 src1_sel:DWORD
	v_mul_u32_u24_sdwa v44, v47, s30 dst_sel:DWORD dst_unused:UNUSED_PAD src0_sel:WORD_1 src1_sel:DWORD
	v_pk_fma_f16 v21, v41, v40, v21
	v_pk_fma_f16 v19, v41, v44, v19
	v_mul_u32_u24_sdwa v40, v48, s30 dst_sel:DWORD dst_unused:UNUSED_PAD src0_sel:WORD_0 src1_sel:DWORD
	v_mul_u32_u24_sdwa v41, v48, s30 dst_sel:DWORD dst_unused:UNUSED_PAD src0_sel:WORD_1 src1_sel:DWORD
	s_waitcnt lgkmcnt(0)
	v_pk_fma_f16 v21, v42, v40, v21
	v_pk_fma_f16 v19, v42, v41, v19
	ds_read2_b32 v[40:41], v45 offset0:64 offset1:96
	v_mul_u32_u24_sdwa v42, v49, s30 dst_sel:DWORD dst_unused:UNUSED_PAD src0_sel:WORD_0 src1_sel:DWORD
	v_mul_u32_u24_sdwa v44, v49, s30 dst_sel:DWORD dst_unused:UNUSED_PAD src0_sel:WORD_1 src1_sel:DWORD
	v_pk_fma_f16 v21, v43, v42, v21
	v_pk_fma_f16 v19, v43, v44, v19
	v_mul_u32_u24_sdwa v42, v50, s30 dst_sel:DWORD dst_unused:UNUSED_PAD src0_sel:WORD_0 src1_sel:DWORD
	v_mul_u32_u24_sdwa v43, v50, s30 dst_sel:DWORD dst_unused:UNUSED_PAD src0_sel:WORD_1 src1_sel:DWORD
	s_waitcnt lgkmcnt(0)
	v_pk_fma_f16 v21, v40, v42, v21
	v_pk_fma_f16 v19, v40, v43, v19
	ds_read2_b32 v[42:43], v45 offset0:128 offset1:160
	v_mul_u32_u24_sdwa v44, v51, s30 dst_sel:DWORD dst_unused:UNUSED_PAD src0_sel:WORD_1 src1_sel:DWORD
	v_pk_fma_f16 v19, v41, v44, v19
	ds_read2_b32 v[44:45], v45 offset0:192 offset1:224
	v_mul_u32_u24_sdwa v40, v51, s30 dst_sel:DWORD dst_unused:UNUSED_PAD src0_sel:WORD_0 src1_sel:DWORD
	v_pk_fma_f16 v21, v41, v40, v21
	v_mul_u32_u24_sdwa v40, v52, s30 dst_sel:DWORD dst_unused:UNUSED_PAD src0_sel:WORD_0 src1_sel:DWORD
	v_mul_u32_u24_sdwa v41, v52, s30 dst_sel:DWORD dst_unused:UNUSED_PAD src0_sel:WORD_1 src1_sel:DWORD
	s_waitcnt lgkmcnt(1)
	v_pk_fma_f16 v21, v42, v40, v21
	v_mul_u32_u24_sdwa v40, v53, s30 dst_sel:DWORD dst_unused:UNUSED_PAD src0_sel:WORD_0 src1_sel:DWORD
	v_pk_fma_f16 v19, v42, v41, v19
	v_mul_u32_u24_sdwa v41, v53, s30 dst_sel:DWORD dst_unused:UNUSED_PAD src0_sel:WORD_1 src1_sel:DWORD
	v_pk_fma_f16 v21, v43, v40, v21
	v_mul_u32_u24_sdwa v40, v54, s30 dst_sel:DWORD dst_unused:UNUSED_PAD src0_sel:WORD_0 src1_sel:DWORD
	v_pk_fma_f16 v19, v43, v41, v19
	v_mul_u32_u24_sdwa v41, v54, s30 dst_sel:DWORD dst_unused:UNUSED_PAD src0_sel:WORD_1 src1_sel:DWORD
	s_waitcnt lgkmcnt(0)
	v_pk_fma_f16 v21, v44, v40, v21
	v_mul_u32_u24_sdwa v40, v55, s30 dst_sel:DWORD dst_unused:UNUSED_PAD src0_sel:WORD_0 src1_sel:DWORD
	v_pk_fma_f16 v19, v44, v41, v19
	v_pk_fma_f16 v21, v45, v40, v21
	ds_read_b128 v[40:43], v34 offset:64
	v_add_u32_e32 v50, 0x800, v20
	ds_read2_b32 v[48:49], v50 offset1:32
	v_mul_u32_u24_sdwa v44, v55, s30 dst_sel:DWORD dst_unused:UNUSED_PAD src0_sel:WORD_1 src1_sel:DWORD
	v_pk_fma_f16 v19, v45, v44, v19
	ds_read_b128 v[44:47], v34 offset:80
	s_waitcnt lgkmcnt(2)
	v_mul_u32_u24_sdwa v51, v40, s30 dst_sel:DWORD dst_unused:UNUSED_PAD src0_sel:WORD_0 src1_sel:DWORD
	v_mul_u32_u24_sdwa v40, v40, s30 dst_sel:DWORD dst_unused:UNUSED_PAD src0_sel:WORD_1 src1_sel:DWORD
	s_waitcnt lgkmcnt(1)
	v_pk_fma_f16 v21, v48, v51, v21
	v_pk_fma_f16 v19, v48, v40, v19
	v_mul_u32_u24_sdwa v48, v41, s30 dst_sel:DWORD dst_unused:UNUSED_PAD src0_sel:WORD_0 src1_sel:DWORD
	v_mul_u32_u24_sdwa v51, v41, s30 dst_sel:DWORD dst_unused:UNUSED_PAD src0_sel:WORD_1 src1_sel:DWORD
	ds_read2_b32 v[40:41], v50 offset0:64 offset1:96
	v_pk_fma_f16 v21, v49, v48, v21
	v_pk_fma_f16 v19, v49, v51, v19
	v_mul_u32_u24_sdwa v48, v42, s30 dst_sel:DWORD dst_unused:UNUSED_PAD src0_sel:WORD_0 src1_sel:DWORD
	v_mul_u32_u24_sdwa v42, v42, s30 dst_sel:DWORD dst_unused:UNUSED_PAD src0_sel:WORD_1 src1_sel:DWORD
	s_waitcnt lgkmcnt(0)
	v_pk_fma_f16 v21, v40, v48, v21
	v_pk_fma_f16 v19, v40, v42, v19
	v_mul_u32_u24_sdwa v40, v43, s30 dst_sel:DWORD dst_unused:UNUSED_PAD src0_sel:WORD_0 src1_sel:DWORD
	v_mul_u32_u24_sdwa v48, v43, s30 dst_sel:DWORD dst_unused:UNUSED_PAD src0_sel:WORD_1 src1_sel:DWORD
	ds_read2_b32 v[42:43], v50 offset0:128 offset1:160
	v_pk_fma_f16 v21, v41, v40, v21
	v_pk_fma_f16 v19, v41, v48, v19
	v_mul_u32_u24_sdwa v40, v44, s30 dst_sel:DWORD dst_unused:UNUSED_PAD src0_sel:WORD_0 src1_sel:DWORD
	v_mul_u32_u24_sdwa v41, v44, s30 dst_sel:DWORD dst_unused:UNUSED_PAD src0_sel:WORD_1 src1_sel:DWORD
	s_waitcnt lgkmcnt(0)
	v_pk_fma_f16 v21, v42, v40, v21
	v_pk_fma_f16 v19, v42, v41, v19
	v_mul_u32_u24_sdwa v40, v45, s30 dst_sel:DWORD dst_unused:UNUSED_PAD src0_sel:WORD_0 src1_sel:DWORD
	v_mul_u32_u24_sdwa v41, v45, s30 dst_sel:DWORD dst_unused:UNUSED_PAD src0_sel:WORD_1 src1_sel:DWORD
	ds_read2_b32 v[44:45], v50 offset0:192 offset1:224
	v_pk_fma_f16 v21, v43, v40, v21
	v_mul_u32_u24_sdwa v40, v46, s30 dst_sel:DWORD dst_unused:UNUSED_PAD src0_sel:WORD_0 src1_sel:DWORD
	v_pk_fma_f16 v19, v43, v41, v19
	v_mul_u32_u24_sdwa v41, v46, s30 dst_sel:DWORD dst_unused:UNUSED_PAD src0_sel:WORD_1 src1_sel:DWORD
	s_waitcnt lgkmcnt(0)
	v_pk_fma_f16 v21, v44, v40, v21
	v_mul_u32_u24_sdwa v40, v47, s30 dst_sel:DWORD dst_unused:UNUSED_PAD src0_sel:WORD_0 src1_sel:DWORD
	v_pk_fma_f16 v19, v44, v41, v19
	v_pk_fma_f16 v21, v45, v40, v21
	ds_read_b128 v[40:43], v34 offset:96
	v_add_u32_e32 v50, 0xc00, v20
	ds_read2_b32 v[48:49], v50 offset1:32
	v_mul_u32_u24_sdwa v44, v47, s30 dst_sel:DWORD dst_unused:UNUSED_PAD src0_sel:WORD_1 src1_sel:DWORD
	v_pk_fma_f16 v19, v45, v44, v19
	ds_read_b128 v[44:47], v34 offset:112
	s_waitcnt lgkmcnt(2)
	v_mul_u32_u24_sdwa v51, v40, s30 dst_sel:DWORD dst_unused:UNUSED_PAD src0_sel:WORD_0 src1_sel:DWORD
	v_mul_u32_u24_sdwa v40, v40, s30 dst_sel:DWORD dst_unused:UNUSED_PAD src0_sel:WORD_1 src1_sel:DWORD
	s_waitcnt lgkmcnt(1)
	v_pk_fma_f16 v21, v48, v51, v21
	v_pk_fma_f16 v19, v48, v40, v19
	v_mul_u32_u24_sdwa v48, v41, s30 dst_sel:DWORD dst_unused:UNUSED_PAD src0_sel:WORD_0 src1_sel:DWORD
	v_mul_u32_u24_sdwa v51, v41, s30 dst_sel:DWORD dst_unused:UNUSED_PAD src0_sel:WORD_1 src1_sel:DWORD
	ds_read2_b32 v[40:41], v50 offset0:64 offset1:96
	v_pk_fma_f16 v21, v49, v48, v21
	v_pk_fma_f16 v19, v49, v51, v19
	v_mul_u32_u24_sdwa v48, v42, s30 dst_sel:DWORD dst_unused:UNUSED_PAD src0_sel:WORD_0 src1_sel:DWORD
	v_mul_u32_u24_sdwa v42, v42, s30 dst_sel:DWORD dst_unused:UNUSED_PAD src0_sel:WORD_1 src1_sel:DWORD
	s_waitcnt lgkmcnt(0)
	v_pk_fma_f16 v21, v40, v48, v21
	v_pk_fma_f16 v19, v40, v42, v19
	v_mul_u32_u24_sdwa v40, v43, s30 dst_sel:DWORD dst_unused:UNUSED_PAD src0_sel:WORD_0 src1_sel:DWORD
	v_mul_u32_u24_sdwa v48, v43, s30 dst_sel:DWORD dst_unused:UNUSED_PAD src0_sel:WORD_1 src1_sel:DWORD
	ds_read2_b32 v[42:43], v50 offset0:128 offset1:160
	v_pk_fma_f16 v21, v41, v40, v21
	v_pk_fma_f16 v19, v41, v48, v19
	v_mul_u32_u24_sdwa v40, v44, s30 dst_sel:DWORD dst_unused:UNUSED_PAD src0_sel:WORD_0 src1_sel:DWORD
	v_mul_u32_u24_sdwa v41, v44, s30 dst_sel:DWORD dst_unused:UNUSED_PAD src0_sel:WORD_1 src1_sel:DWORD
	s_waitcnt lgkmcnt(0)
	v_pk_fma_f16 v21, v42, v40, v21
	v_pk_fma_f16 v19, v42, v41, v19
	ds_read2_b32 v[40:41], v50 offset0:192 offset1:224
	s_waitcnt lgkmcnt(0)
	s_barrier
	s_load_dword s31, s[6:7], 0x4
	v_mul_u32_u24_sdwa v42, v45, s30 dst_sel:DWORD dst_unused:UNUSED_PAD src0_sel:WORD_0 src1_sel:DWORD
	v_mul_u32_u24_sdwa v44, v45, s30 dst_sel:DWORD dst_unused:UNUSED_PAD src0_sel:WORD_1 src1_sel:DWORD
	v_pk_fma_f16 v21, v43, v42, v21
	v_pk_fma_f16 v19, v43, v44, v19
	v_mul_u32_u24_sdwa v42, v46, s30 dst_sel:DWORD dst_unused:UNUSED_PAD src0_sel:WORD_0 src1_sel:DWORD
	v_mul_u32_u24_sdwa v43, v46, s30 dst_sel:DWORD dst_unused:UNUSED_PAD src0_sel:WORD_1 src1_sel:DWORD
	s_waitcnt lgkmcnt(0)
	s_lshl_b32 s31, s31, 5
	v_pk_fma_f16 v21, v40, v42, v21
	v_pk_fma_f16 v19, v40, v43, v19
	v_mul_u32_u24_sdwa v40, v47, s30 dst_sel:DWORD dst_unused:UNUSED_PAD src0_sel:WORD_0 src1_sel:DWORD
	v_mul_u32_u24_sdwa v42, v47, s30 dst_sel:DWORD dst_unused:UNUSED_PAD src0_sel:WORD_1 src1_sel:DWORD
	s_add_i32 s19, s31, s19
	v_pk_fma_f16 v21, v41, v40, v21
	s_cmp_lt_i32 s19, s11
	v_pk_fma_f16 v19, v41, v42, v19
	s_cbranch_scc0 .LBB62_16
; %bb.14:                               ;   in Loop: Header=BB62_8 Depth=1
	v_mov_b32_e32 v41, v2
	v_mov_b32_e32 v40, v3
	s_branch .LBB62_8
.LBB62_15:
	v_mov_b32_e32 v2, 0xfeffffff
	v_mov_b32_e32 v3, v2
	;; [unrolled: 1-line block ×5, first 2 shown]
.LBB62_16:
	v_lshlrev_b32_e32 v11, 1, v17
	s_cmp_gt_i32 s38, s19
	s_cbranch_scc1 .LBB62_18
; %bb.17:
	v_mbcnt_hi_u32_b32 v12, -1, v26
	v_and_b32_e32 v4, 0x60, v12
	v_add_u32_e32 v13, 32, v4
	v_xor_b32_e32 v28, 16, v12
	v_xor_b32_e32 v29, 8, v12
	;; [unrolled: 1-line block ×5, first 2 shown]
	s_cbranch_execz .LBB62_19
	s_branch .LBB62_29
.LBB62_18:
                                        ; implicit-def: $vgpr12
                                        ; implicit-def: $vgpr13
                                        ; implicit-def: $vgpr28
                                        ; implicit-def: $vgpr29
                                        ; implicit-def: $vgpr30
                                        ; implicit-def: $vgpr31
                                        ; implicit-def: $vgpr32
.LBB62_19:
	s_mul_hi_i32 s5, s19, s8
	s_mul_i32 s4, s19, s8
	s_sub_i32 s29, s38, s19
	s_lshl_b64 s[4:5], s[4:5], 2
	v_lshl_add_u32 v33, v22, 2, v27
	s_mov_b64 s[6:7], src_private_base
	s_add_u32 s12, s9, s4
	v_mul_lo_u32 v12, s8, v33
	s_mov_b32 s4, 0
	s_addc_u32 s13, s10, s5
	v_and_b32_e32 v4, 28, v20
	v_ashrrev_i32_e32 v13, 31, v12
	s_mov_b32 s6, s4
	v_mov_b32_e32 v5, 0
	v_lshlrev_b32_e32 v4, 2, v4
	s_mov_b32 s5, s4
	v_mov_b32_e32 v32, s6
	v_lshl_add_u64 v[6:7], v[12:13], 2, s[12:13]
	v_mov_b32_e32 v31, s5
	v_mov_b32_e32 v30, s4
	v_lshl_add_u64 v[6:7], v[6:7], 0, v[4:5]
	v_mov_b32_e32 v10, s7
	v_cmp_gt_i32_e64 s[10:11], s29, v33
	v_mov_b32_e32 v28, 0
	scratch_store_dword off, v5, off
	scratch_store_dwordx3 off, v[30:32], off offset:4
	v_cndmask_b32_e64 v7, v10, v7, s[10:11]
	v_cndmask_b32_e64 v6, v28, v6, s[10:11]
	flat_load_dwordx4 v[6:9], v[6:7]
	v_lshl_add_u32 v12, s8, 4, v12
	v_ashrrev_i32_e32 v13, 31, v12
	s_movk_i32 s4, 0x90
	v_add_u32_e32 v27, 16, v33
	v_lshl_add_u64 v[12:13], v[12:13], 2, s[12:13]
	v_mad_u32_u24 v29, v33, s4, v4
	v_lshl_add_u64 v[12:13], v[12:13], 0, v[4:5]
	v_cmp_gt_i32_e64 s[4:5], s29, v27
	scratch_store_dword off, v5, off
	scratch_store_dwordx3 off, v[30:32], off offset:4
	v_cndmask_b32_e64 v13, v10, v13, s[4:5]
	v_cndmask_b32_e64 v12, v28, v12, s[4:5]
	s_cmp_lg_u64 s[36:37], 0
	s_cselect_b64 s[8:9], -1, 0
	v_add_u32_e32 v10, s19, v17
	v_cmp_gt_i32_e64 s[6:7], s29, v17
	s_waitcnt vmcnt(0) lgkmcnt(0)
	ds_write_b128 v29, v[6:9]
	flat_load_dwordx4 v[6:9], v[12:13]
	v_mul_u32_u24_e32 v12, 0x90, v17
	s_waitcnt vmcnt(0) lgkmcnt(0)
	ds_write_b128 v29, v[6:9] offset:2304
	s_waitcnt lgkmcnt(0)
	s_barrier
	ds_read_b128 v[28:31], v12
	ds_read_b128 v[34:37], v25 offset:4608
	v_mov_b32_e32 v8, v5
	ds_read_b128 v[38:41], v25 offset:4736
	s_waitcnt lgkmcnt(1)
	;;#ASMSTART
	v_dot2_f32_f16 v8, v28, v34, v8
	;;#ASMEND
	s_nop 0
	;;#ASMSTART
	v_dot2_f32_f16 v8, v29, v35, v8
	;;#ASMEND
	v_mov_b32_e32 v9, v5
	;;#ASMSTART
	v_dot2_f32_f16 v8, v30, v36, v8
	;;#ASMEND
	v_cndmask_b32_e64 v6, 0, 1, s[8:9]
	;;#ASMSTART
	v_dot2_f32_f16 v8, v31, v37, v8
	;;#ASMEND
	s_waitcnt lgkmcnt(0)
	;;#ASMSTART
	v_dot2_f32_f16 v9, v28, v38, v9
	;;#ASMEND
	v_cmp_ne_u32_e64 s[8:9], 1, v6
	;;#ASMSTART
	v_dot2_f32_f16 v9, v29, v39, v9
	;;#ASMEND
	v_mov_b32_e32 v6, v2
	;;#ASMSTART
	v_dot2_f32_f16 v9, v30, v40, v9
	;;#ASMEND
	s_nop 0
	;;#ASMSTART
	v_dot2_f32_f16 v9, v31, v41, v9
	;;#ASMEND
	ds_read_b128 v[28:31], v12 offset:16
	ds_read_b128 v[34:37], v25 offset:4624
	ds_read_b128 v[38:41], v25 offset:4752
	s_waitcnt lgkmcnt(1)
	;;#ASMSTART
	v_dot2_f32_f16 v8, v28, v34, v8
	;;#ASMEND
	s_nop 0
	;;#ASMSTART
	v_dot2_f32_f16 v8, v29, v35, v8
	;;#ASMEND
	s_nop 0
	;;#ASMSTART
	v_dot2_f32_f16 v8, v30, v36, v8
	;;#ASMEND
	s_nop 0
	;;#ASMSTART
	v_dot2_f32_f16 v8, v31, v37, v8
	;;#ASMEND
	s_waitcnt lgkmcnt(0)
	;;#ASMSTART
	v_dot2_f32_f16 v9, v28, v38, v9
	;;#ASMEND
	s_nop 0
	;;#ASMSTART
	v_dot2_f32_f16 v9, v29, v39, v9
	;;#ASMEND
	s_nop 0
	;;#ASMSTART
	v_dot2_f32_f16 v9, v30, v40, v9
	;;#ASMEND
	s_nop 0
	;;#ASMSTART
	v_dot2_f32_f16 v9, v31, v41, v9
	;;#ASMEND
	ds_read_b128 v[28:31], v12 offset:32
	ds_read_b128 v[34:37], v25 offset:4640
	ds_read_b128 v[38:41], v25 offset:4768
	s_waitcnt lgkmcnt(1)
	;;#ASMSTART
	v_dot2_f32_f16 v8, v28, v34, v8
	;;#ASMEND
	s_nop 0
	;;#ASMSTART
	v_dot2_f32_f16 v8, v29, v35, v8
	;;#ASMEND
	s_nop 0
	;;#ASMSTART
	v_dot2_f32_f16 v8, v30, v36, v8
	;;#ASMEND
	s_nop 0
	;;#ASMSTART
	v_dot2_f32_f16 v8, v31, v37, v8
	;;#ASMEND
	s_waitcnt lgkmcnt(0)
	;;#ASMSTART
	v_dot2_f32_f16 v9, v28, v38, v9
	;;#ASMEND
	s_nop 0
	;;#ASMSTART
	v_dot2_f32_f16 v9, v29, v39, v9
	;;#ASMEND
	s_nop 0
	;; [unrolled: 35-line block ×7, first 2 shown]
	;;#ASMSTART
	v_dot2_f32_f16 v9, v30, v40, v9
	;;#ASMEND
	s_nop 0
	;;#ASMSTART
	v_dot2_f32_f16 v9, v31, v41, v9
	;;#ASMEND
	s_and_saveexec_b64 s[12:13], s[6:7]
	s_cbranch_execz .LBB62_23
; %bb.20:
	s_and_b64 vcc, exec, s[8:9]
	s_cbranch_vccnz .LBB62_22
; %bb.21:
	v_mad_u64_u32 v[6:7], s[30:31], v24, s28, v[10:11]
	v_ashrrev_i32_e32 v7, 31, v6
	v_lshl_add_u64 v[6:7], v[6:7], 1, s[36:37]
	global_load_ushort v5, v[6:7], off
	s_waitcnt vmcnt(0)
	v_cvt_f32_f16_e32 v5, v5
	v_mul_f32_e32 v5, v23, v5
.LBB62_22:
	v_add_f32_e32 v8, v8, v5
	v_add_f32_e32 v5, 0x40051340, v8
	v_max_f32_e32 v6, v2, v2
	v_max_f32_e32 v6, v6, v5
.LBB62_23:
	s_or_b64 exec, exec, s[12:13]
	v_mbcnt_hi_u32_b32 v12, -1, v26
	v_and_b32_e32 v5, 0x60, v12
	v_add_u32_e32 v13, 32, v5
	v_xor_b32_e32 v28, 16, v12
	v_cmp_lt_i32_e32 vcc, v28, v13
	v_xor_b32_e32 v29, 8, v12
	v_xor_b32_e32 v30, 4, v12
	v_cndmask_b32_e32 v5, v12, v28, vcc
	v_lshlrev_b32_e32 v26, 2, v5
	ds_bpermute_b32 v5, v26, v6
	v_cmp_lt_i32_e32 vcc, v29, v13
	v_max_f32_e32 v6, v6, v6
	v_xor_b32_e32 v31, 2, v12
	v_cndmask_b32_e32 v7, v12, v29, vcc
	s_waitcnt lgkmcnt(0)
	v_max_f32_e32 v5, v5, v5
	v_lshlrev_b32_e32 v34, 2, v7
	v_max_f32_e32 v5, v6, v5
	ds_bpermute_b32 v6, v34, v5
	v_cmp_lt_i32_e32 vcc, v30, v13
	v_xor_b32_e32 v32, 1, v12
	s_waitcnt lgkmcnt(0)
	v_max_f32_e32 v6, v6, v6
	v_cndmask_b32_e32 v7, v12, v30, vcc
	v_lshlrev_b32_e32 v25, 2, v7
	v_max_f32_e32 v5, v5, v6
	ds_bpermute_b32 v6, v25, v5
	v_cmp_lt_i32_e32 vcc, v31, v13
	s_waitcnt lgkmcnt(0)
	v_max_f32_e32 v6, v6, v6
	v_cndmask_b32_e32 v7, v12, v31, vcc
	v_lshlrev_b32_e32 v24, 2, v7
	v_max_f32_e32 v5, v5, v6
	ds_bpermute_b32 v6, v24, v5
	v_cmp_lt_i32_e32 vcc, v32, v13
	s_waitcnt lgkmcnt(0)
	v_max_f32_e32 v6, v6, v6
	v_cndmask_b32_e32 v7, v12, v32, vcc
	v_lshlrev_b32_e32 v7, 2, v7
	v_max_f32_e32 v5, v5, v6
	ds_bpermute_b32 v6, v7, v5
	s_waitcnt lgkmcnt(0)
	v_max_f32_e32 v6, v6, v6
	v_max_f32_e32 v6, v5, v6
	v_mov_b32_e32 v5, v3
	s_and_saveexec_b64 s[12:13], s[6:7]
	s_cbranch_execz .LBB62_28
; %bb.24:
	s_and_b64 vcc, exec, s[8:9]
	s_cbranch_vccnz .LBB62_26
; %bb.25:
	v_or_b32_e32 v5, 1, v18
	v_mul_hi_u32 v35, s24, v5
	v_add_u32_e32 v35, v5, v35
	v_lshrrev_b32_e32 v35, s25, v35
	v_mul_lo_u32 v35, v35, s26
	v_sub_u32_e32 v5, v5, v35
	v_mad_u64_u32 v[36:37], s[6:7], v5, s28, v[10:11]
	v_ashrrev_i32_e32 v37, 31, v36
	v_lshl_add_u64 v[36:37], v[36:37], 1, s[36:37]
	global_load_ushort v5, v[36:37], off
	s_waitcnt vmcnt(0)
	v_cvt_f32_f16_e32 v5, v5
	v_mul_f32_e32 v5, v23, v5
	s_branch .LBB62_27
.LBB62_26:
	v_mov_b32_e32 v5, 0
.LBB62_27:
	v_add_f32_e32 v9, v9, v5
	v_add_f32_e32 v5, 0x40051340, v9
	v_max_f32_e32 v10, v3, v3
	v_max_f32_e32 v5, v10, v5
.LBB62_28:
	s_or_b64 exec, exec, s[12:13]
	ds_bpermute_b32 v10, v26, v5
	v_max_f32_e32 v5, v5, v5
	s_mov_b64 s[8:9], src_private_base
	v_sub_f32_e32 v8, v8, v6
	s_mov_b32 s8, 0x3fb8aa3b
	s_waitcnt lgkmcnt(0)
	v_max_f32_e32 v10, v10, v10
	v_max_f32_e32 v5, v5, v10
	ds_bpermute_b32 v23, v34, v5
	v_lshlrev_b32_e32 v10, 7, v22
	s_mov_b32 s13, 0xc2ce8ed0
	v_cmp_ngt_f32_e32 vcc, s13, v8
	s_mov_b32 s12, 0x42b17218
	s_waitcnt lgkmcnt(0)
	v_max_f32_e32 v22, v23, v23
	v_max_f32_e32 v5, v5, v22
	ds_bpermute_b32 v22, v25, v5
	v_mul_f32_e32 v23, 0x3fb8aa3b, v8
	v_fma_f32 v25, v8, s8, -v23
	v_rndne_f32_e32 v26, v23
	v_fmac_f32_e32 v25, 0x32a5705f, v8
	s_waitcnt lgkmcnt(0)
	v_max_f32_e32 v22, v22, v22
	v_max_f32_e32 v5, v5, v22
	ds_bpermute_b32 v22, v24, v5
	v_sub_f32_e32 v23, v23, v26
	v_add_f32_e32 v23, v23, v25
	v_cvt_i32_f32_e32 v24, v26
	v_exp_f32_e32 v23, v23
	s_waitcnt lgkmcnt(0)
	v_max_f32_e32 v22, v22, v22
	v_max_f32_e32 v5, v5, v22
	ds_bpermute_b32 v7, v7, v5
	v_ldexp_f32 v22, v23, v24
	v_mov_b32_e32 v26, 0x7f800000
	s_waitcnt lgkmcnt(0)
	s_barrier
	v_max_f32_e32 v7, v7, v7
	v_max_f32_e32 v7, v5, v7
	v_sub_f32_e32 v9, v9, v7
	v_cndmask_b32_e32 v5, 0, v22, vcc
	v_mul_f32_e32 v22, 0x3fb8aa3b, v9
	v_fma_f32 v23, v9, s8, -v22
	v_rndne_f32_e32 v24, v22
	v_fmac_f32_e32 v23, 0x32a5705f, v9
	v_sub_f32_e32 v22, v22, v24
	v_add_f32_e32 v22, v22, v23
	v_exp_f32_e32 v22, v22
	v_cvt_i32_f32_e32 v23, v24
	v_cmp_nlt_f32_e32 vcc, s12, v8
	v_cmp_ngt_f32_e64 s[6:7], s13, v9
	s_nop 0
	v_cndmask_b32_e32 v5, v26, v5, vcc
	v_cmp_gt_u32_e32 vcc, s29, v17
	s_mov_b32 s28, 0
	s_mov_b32 s30, s28
	v_cndmask_b32_e32 v34, 0, v5, vcc
	v_ldexp_f32 v5, v22, v23
	v_cndmask_b32_e64 v5, 0, v5, s[6:7]
	v_cmp_nlt_f32_e64 s[6:7], s12, v9
	s_mov_b32 s29, s28
	v_mov_b32_e32 v40, s30
	v_cndmask_b32_e64 v5, v26, v5, s[6:7]
	s_movk_i32 s6, 0x1600
	v_cndmask_b32_e32 v35, 0, v5, vcc
	v_add3_u32 v5, v10, s6, v20
	s_mul_hi_i32 s7, s19, s2
	s_mul_i32 s6, s19, s2
	v_cvt_pk_f16_f32 v8, v34, v35
	s_lshl_b64 s[6:7], s[6:7], 2
	ds_write_b32 v5, v8
	s_add_u32 s6, s15, s6
	v_mul_lo_u32 v8, s2, v33
	s_addc_u32 s7, s18, s7
	v_ashrrev_i32_e32 v9, 31, v8
	v_lshl_add_u64 v[22:23], v[8:9], 2, s[6:7]
	v_mov_b32_e32 v5, 0
	v_lshl_add_u64 v[22:23], v[22:23], 0, v[4:5]
	v_mov_b32_e32 v39, s29
	v_mov_b32_e32 v38, s28
	;; [unrolled: 1-line block ×4, first 2 shown]
	scratch_store_dword off, v5, off
	scratch_store_dwordx3 off, v[38:40], off offset:4
	v_cndmask_b32_e64 v23, v36, v23, s[10:11]
	v_cndmask_b32_e64 v22, v37, v22, s[10:11]
	flat_load_dwordx4 v[22:25], v[22:23]
	v_lshl_add_u32 v8, s2, 4, v8
	v_ashrrev_i32_e32 v9, 31, v8
	v_lshl_add_u64 v[8:9], v[8:9], 2, s[6:7]
	v_lshl_or_b32 v33, v33, 7, v4
	v_lshl_add_u64 v[8:9], v[8:9], 0, v[4:5]
	v_cndmask_b32_e64 v9, v36, v9, s[4:5]
	v_cndmask_b32_e64 v8, v37, v8, s[4:5]
	scratch_store_dword off, v5, off
	scratch_store_dwordx3 off, v[38:40], off offset:4
	v_sub_f32_e32 v2, v2, v6
	v_mul_f32_e32 v5, 0x3fb8aa3b, v2
	v_sub_f32_e32 v3, v3, v7
	v_lshl_or_b32 v4, v27, 7, v4
	v_cmp_ngt_f32_e32 vcc, s13, v2
	s_mov_b32 s2, 0x10001
	v_add_u32_e32 v62, 0x800, v20
	s_waitcnt vmcnt(0) lgkmcnt(0)
	ds_write_b128 v33, v[22:25]
	flat_load_dwordx4 v[22:25], v[8:9]
	v_fma_f32 v8, v2, s8, -v5
	v_rndne_f32_e32 v9, v5
	v_fmac_f32_e32 v8, 0x32a5705f, v2
	v_sub_f32_e32 v5, v5, v9
	v_add_f32_e32 v5, v5, v8
	v_cvt_i32_f32_e32 v9, v9
	v_exp_f32_e32 v5, v5
	v_mul_f32_e32 v8, 0x3fb8aa3b, v3
	v_rndne_f32_e32 v27, v8
	v_add_u32_e32 v33, 0x400, v20
	v_ldexp_f32 v5, v5, v9
	v_fma_f32 v9, v3, s8, -v8
	v_fmac_f32_e32 v9, 0x32a5705f, v3
	v_sub_f32_e32 v8, v8, v27
	v_add_f32_e32 v8, v8, v9
	v_cvt_i32_f32_e32 v27, v27
	v_exp_f32_e32 v8, v8
	v_cndmask_b32_e32 v5, 0, v5, vcc
	v_cmp_nlt_f32_e32 vcc, s12, v2
	v_ldexp_f32 v8, v8, v27
	s_nop 0
	v_cndmask_b32_e32 v2, v26, v5, vcc
	v_cmp_ngt_f32_e32 vcc, s13, v3
	v_cvt_f16_f32_e32 v5, v2
	v_fma_f32 v0, v0, v2, v34
	v_cndmask_b32_e32 v8, 0, v8, vcc
	v_cmp_nlt_f32_e32 vcc, s12, v3
	v_mul_u32_u24_e32 v63, 0x10001, v5
	s_waitcnt vmcnt(0) lgkmcnt(0)
	ds_write_b128 v4, v[22:25]
	v_cndmask_b32_e32 v3, v26, v8, vcc
	v_cvt_f16_f32_e32 v8, v3
	v_fma_f32 v1, v1, v3, v35
	s_waitcnt lgkmcnt(0)
	s_barrier
	v_mul_u32_u24_e32 v64, 0x10001, v8
	ds_read_b128 v[2:5], v10 offset:5632
	ds_read_b128 v[22:25], v10 offset:5648
	;; [unrolled: 1-line block ×4, first 2 shown]
	ds_read2_b32 v[8:9], v20 offset1:32
	ds_read_b128 v[42:45], v10 offset:5696
	ds_read_b128 v[46:49], v10 offset:5712
	ds_read2_b32 v[26:27], v20 offset0:64 offset1:96
	ds_read2_b32 v[50:51], v20 offset0:128 offset1:160
	;; [unrolled: 1-line block ×3, first 2 shown]
	ds_read2_b32 v[54:55], v33 offset1:32
	ds_read2_b32 v[56:57], v33 offset0:64 offset1:96
	ds_read2_b32 v[58:59], v33 offset0:128 offset1:160
	;; [unrolled: 1-line block ×3, first 2 shown]
	s_waitcnt lgkmcnt(13)
	v_mul_u32_u24_sdwa v33, v2, s2 dst_sel:DWORD dst_unused:UNUSED_PAD src0_sel:WORD_0 src1_sel:DWORD
	v_mul_u32_u24_sdwa v65, v2, s2 dst_sel:DWORD dst_unused:UNUSED_PAD src0_sel:WORD_1 src1_sel:DWORD
	s_waitcnt lgkmcnt(12)
	v_mul_u32_u24_sdwa v72, v22, s2 dst_sel:DWORD dst_unused:UNUSED_PAD src0_sel:WORD_0 src1_sel:DWORD
	v_mul_u32_u24_sdwa v73, v22, s2 dst_sel:DWORD dst_unused:UNUSED_PAD src0_sel:WORD_1 src1_sel:DWORD
	s_waitcnt lgkmcnt(9)
	v_pk_mul_f16 v22, v8, v33
	v_mul_u32_u24_sdwa v66, v3, s2 dst_sel:DWORD dst_unused:UNUSED_PAD src0_sel:WORD_0 src1_sel:DWORD
	v_pk_fma_f16 v21, v21, v63, v22
	v_pk_mul_f16 v8, v8, v65
	v_mul_u32_u24_sdwa v67, v3, s2 dst_sel:DWORD dst_unused:UNUSED_PAD src0_sel:WORD_1 src1_sel:DWORD
	v_mul_u32_u24_sdwa v68, v4, s2 dst_sel:DWORD dst_unused:UNUSED_PAD src0_sel:WORD_0 src1_sel:DWORD
	v_pk_fma_f16 v8, v19, v64, v8
	v_pk_fma_f16 v21, v9, v66, v21
	v_mul_u32_u24_sdwa v69, v4, s2 dst_sel:DWORD dst_unused:UNUSED_PAD src0_sel:WORD_1 src1_sel:DWORD
	v_mul_u32_u24_sdwa v70, v5, s2 dst_sel:DWORD dst_unused:UNUSED_PAD src0_sel:WORD_0 src1_sel:DWORD
	v_pk_fma_f16 v8, v9, v67, v8
	s_waitcnt lgkmcnt(6)
	v_pk_fma_f16 v9, v26, v68, v21
	v_mul_u32_u24_sdwa v71, v5, s2 dst_sel:DWORD dst_unused:UNUSED_PAD src0_sel:WORD_1 src1_sel:DWORD
	v_pk_fma_f16 v8, v26, v69, v8
	v_pk_fma_f16 v9, v27, v70, v9
	v_mul_u32_u24_sdwa v74, v23, s2 dst_sel:DWORD dst_unused:UNUSED_PAD src0_sel:WORD_0 src1_sel:DWORD
	v_pk_fma_f16 v8, v27, v71, v8
	s_waitcnt lgkmcnt(5)
	v_pk_fma_f16 v9, v50, v72, v9
	v_mul_u32_u24_sdwa v75, v23, s2 dst_sel:DWORD dst_unused:UNUSED_PAD src0_sel:WORD_1 src1_sel:DWORD
	v_mul_u32_u24_sdwa v76, v24, s2 dst_sel:DWORD dst_unused:UNUSED_PAD src0_sel:WORD_0 src1_sel:DWORD
	v_pk_fma_f16 v8, v50, v73, v8
	v_pk_fma_f16 v9, v51, v74, v9
	v_mul_u32_u24_sdwa v24, v24, s2 dst_sel:DWORD dst_unused:UNUSED_PAD src0_sel:WORD_1 src1_sel:DWORD
	v_mul_u32_u24_sdwa v77, v25, s2 dst_sel:DWORD dst_unused:UNUSED_PAD src0_sel:WORD_0 src1_sel:DWORD
	v_pk_fma_f16 v8, v51, v75, v8
	s_waitcnt lgkmcnt(4)
	v_pk_fma_f16 v9, v52, v76, v9
	v_mul_u32_u24_sdwa v25, v25, s2 dst_sel:DWORD dst_unused:UNUSED_PAD src0_sel:WORD_1 src1_sel:DWORD
	v_mul_u32_u24_sdwa v78, v34, s2 dst_sel:DWORD dst_unused:UNUSED_PAD src0_sel:WORD_0 src1_sel:DWORD
	v_pk_fma_f16 v8, v52, v24, v8
	v_pk_fma_f16 v9, v53, v77, v9
	v_mul_u32_u24_sdwa v34, v34, s2 dst_sel:DWORD dst_unused:UNUSED_PAD src0_sel:WORD_1 src1_sel:DWORD
	;; [unrolled: 9-line block ×4, first 2 shown]
	v_mul_u32_u24_sdwa v83, v39, s2 dst_sel:DWORD dst_unused:UNUSED_PAD src0_sel:WORD_0 src1_sel:DWORD
	ds_read2_b32 v[2:3], v62 offset1:32
	ds_read2_b32 v[4:5], v62 offset0:64 offset1:96
	v_pk_fma_f16 v8, v57, v37, v8
	s_waitcnt lgkmcnt(3)
	v_pk_fma_f16 v9, v58, v82, v9
	v_mul_u32_u24_sdwa v39, v39, s2 dst_sel:DWORD dst_unused:UNUSED_PAD src0_sel:WORD_1 src1_sel:DWORD
	v_mul_u32_u24_sdwa v84, v40, s2 dst_sel:DWORD dst_unused:UNUSED_PAD src0_sel:WORD_0 src1_sel:DWORD
	v_pk_fma_f16 v8, v58, v38, v8
	v_pk_fma_f16 v9, v59, v83, v9
	v_mul_u32_u24_sdwa v40, v40, s2 dst_sel:DWORD dst_unused:UNUSED_PAD src0_sel:WORD_1 src1_sel:DWORD
	v_mul_u32_u24_sdwa v85, v41, s2 dst_sel:DWORD dst_unused:UNUSED_PAD src0_sel:WORD_0 src1_sel:DWORD
	v_pk_fma_f16 v8, v59, v39, v8
	s_waitcnt lgkmcnt(2)
	v_pk_fma_f16 v9, v60, v84, v9
	v_mul_u32_u24_sdwa v41, v41, s2 dst_sel:DWORD dst_unused:UNUSED_PAD src0_sel:WORD_1 src1_sel:DWORD
	v_mul_u32_u24_sdwa v86, v42, s2 dst_sel:DWORD dst_unused:UNUSED_PAD src0_sel:WORD_0 src1_sel:DWORD
	v_pk_fma_f16 v8, v60, v40, v8
	v_pk_fma_f16 v9, v61, v85, v9
	v_mul_u32_u24_sdwa v42, v42, s2 dst_sel:DWORD dst_unused:UNUSED_PAD src0_sel:WORD_1 src1_sel:DWORD
	v_mul_u32_u24_sdwa v87, v43, s2 dst_sel:DWORD dst_unused:UNUSED_PAD src0_sel:WORD_0 src1_sel:DWORD
	ds_read2_b32 v[22:23], v62 offset0:128 offset1:160
	v_pk_fma_f16 v8, v61, v41, v8
	s_waitcnt lgkmcnt(2)
	v_pk_fma_f16 v9, v2, v86, v9
	v_mul_u32_u24_sdwa v43, v43, s2 dst_sel:DWORD dst_unused:UNUSED_PAD src0_sel:WORD_1 src1_sel:DWORD
	v_mul_u32_u24_sdwa v88, v44, s2 dst_sel:DWORD dst_unused:UNUSED_PAD src0_sel:WORD_0 src1_sel:DWORD
	v_pk_fma_f16 v2, v2, v42, v8
	v_pk_fma_f16 v8, v3, v87, v9
	v_mul_u32_u24_sdwa v44, v44, s2 dst_sel:DWORD dst_unused:UNUSED_PAD src0_sel:WORD_1 src1_sel:DWORD
	v_pk_fma_f16 v2, v3, v43, v2
	s_waitcnt lgkmcnt(1)
	v_pk_fma_f16 v3, v4, v88, v8
	ds_read2_b32 v[8:9], v62 offset0:192 offset1:224
	v_mul_u32_u24_sdwa v89, v45, s2 dst_sel:DWORD dst_unused:UNUSED_PAD src0_sel:WORD_0 src1_sel:DWORD
	v_mul_u32_u24_sdwa v45, v45, s2 dst_sel:DWORD dst_unused:UNUSED_PAD src0_sel:WORD_1 src1_sel:DWORD
	v_pk_fma_f16 v2, v4, v44, v2
	v_mul_u32_u24_sdwa v19, v46, s2 dst_sel:DWORD dst_unused:UNUSED_PAD src0_sel:WORD_0 src1_sel:DWORD
	v_mul_u32_u24_sdwa v33, v46, s2 dst_sel:DWORD dst_unused:UNUSED_PAD src0_sel:WORD_1 src1_sel:DWORD
	v_pk_fma_f16 v3, v5, v89, v3
	v_pk_fma_f16 v2, v5, v45, v2
	v_mul_u32_u24_sdwa v46, v47, s2 dst_sel:DWORD dst_unused:UNUSED_PAD src0_sel:WORD_0 src1_sel:DWORD
	v_mul_u32_u24_sdwa v47, v47, s2 dst_sel:DWORD dst_unused:UNUSED_PAD src0_sel:WORD_1 src1_sel:DWORD
	s_waitcnt lgkmcnt(1)
	v_pk_fma_f16 v3, v22, v19, v3
	v_pk_fma_f16 v2, v22, v33, v2
	;; [unrolled: 1-line block ×4, first 2 shown]
	v_mul_u32_u24_sdwa v4, v48, s2 dst_sel:DWORD dst_unused:UNUSED_PAD src0_sel:WORD_0 src1_sel:DWORD
	v_mul_u32_u24_sdwa v5, v48, s2 dst_sel:DWORD dst_unused:UNUSED_PAD src0_sel:WORD_1 src1_sel:DWORD
	s_waitcnt lgkmcnt(0)
	v_pk_fma_f16 v3, v8, v4, v3
	v_pk_fma_f16 v8, v8, v5, v2
	v_mul_u32_u24_sdwa v2, v49, s2 dst_sel:DWORD dst_unused:UNUSED_PAD src0_sel:WORD_0 src1_sel:DWORD
	v_pk_fma_f16 v26, v9, v2, v3
	ds_read_b128 v[2:5], v10 offset:5728
	v_add_u32_e32 v27, 0xc00, v20
	ds_read2_b32 v[24:25], v27 offset1:32
	v_mul_u32_u24_sdwa v19, v49, s2 dst_sel:DWORD dst_unused:UNUSED_PAD src0_sel:WORD_1 src1_sel:DWORD
	v_pk_fma_f16 v8, v9, v19, v8
	ds_read_b128 v[20:23], v10 offset:5744
	s_waitcnt lgkmcnt(2)
	v_mul_u32_u24_sdwa v9, v2, s2 dst_sel:DWORD dst_unused:UNUSED_PAD src0_sel:WORD_0 src1_sel:DWORD
	v_mul_u32_u24_sdwa v2, v2, s2 dst_sel:DWORD dst_unused:UNUSED_PAD src0_sel:WORD_1 src1_sel:DWORD
	s_waitcnt lgkmcnt(1)
	v_pk_fma_f16 v8, v24, v2, v8
	v_mul_u32_u24_sdwa v10, v3, s2 dst_sel:DWORD dst_unused:UNUSED_PAD src0_sel:WORD_0 src1_sel:DWORD
	v_mul_u32_u24_sdwa v19, v3, s2 dst_sel:DWORD dst_unused:UNUSED_PAD src0_sel:WORD_1 src1_sel:DWORD
	ds_read2_b32 v[2:3], v27 offset0:64 offset1:96
	v_pk_fma_f16 v9, v24, v9, v26
	v_pk_fma_f16 v8, v25, v19, v8
	;; [unrolled: 1-line block ×3, first 2 shown]
	v_mul_u32_u24_sdwa v10, v4, s2 dst_sel:DWORD dst_unused:UNUSED_PAD src0_sel:WORD_0 src1_sel:DWORD
	v_mul_u32_u24_sdwa v4, v4, s2 dst_sel:DWORD dst_unused:UNUSED_PAD src0_sel:WORD_1 src1_sel:DWORD
	s_waitcnt lgkmcnt(0)
	v_pk_fma_f16 v9, v2, v10, v9
	v_pk_fma_f16 v2, v2, v4, v8
	v_mul_u32_u24_sdwa v8, v5, s2 dst_sel:DWORD dst_unused:UNUSED_PAD src0_sel:WORD_0 src1_sel:DWORD
	v_mul_u32_u24_sdwa v10, v5, s2 dst_sel:DWORD dst_unused:UNUSED_PAD src0_sel:WORD_1 src1_sel:DWORD
	ds_read2_b32 v[4:5], v27 offset0:128 offset1:160
	v_pk_fma_f16 v8, v3, v8, v9
	v_pk_fma_f16 v2, v3, v10, v2
	v_mul_u32_u24_sdwa v3, v20, s2 dst_sel:DWORD dst_unused:UNUSED_PAD src0_sel:WORD_0 src1_sel:DWORD
	v_mul_u32_u24_sdwa v9, v20, s2 dst_sel:DWORD dst_unused:UNUSED_PAD src0_sel:WORD_1 src1_sel:DWORD
	s_waitcnt lgkmcnt(0)
	v_pk_fma_f16 v8, v4, v3, v8
	v_pk_fma_f16 v4, v4, v9, v2
	ds_read2_b32 v[2:3], v27 offset0:192 offset1:224
	v_mul_u32_u24_sdwa v9, v21, s2 dst_sel:DWORD dst_unused:UNUSED_PAD src0_sel:WORD_0 src1_sel:DWORD
	v_mul_u32_u24_sdwa v10, v21, s2 dst_sel:DWORD dst_unused:UNUSED_PAD src0_sel:WORD_1 src1_sel:DWORD
	v_pk_fma_f16 v8, v5, v9, v8
	v_pk_fma_f16 v4, v5, v10, v4
	v_mul_u32_u24_sdwa v5, v22, s2 dst_sel:DWORD dst_unused:UNUSED_PAD src0_sel:WORD_0 src1_sel:DWORD
	v_mul_u32_u24_sdwa v9, v22, s2 dst_sel:DWORD dst_unused:UNUSED_PAD src0_sel:WORD_1 src1_sel:DWORD
	s_waitcnt lgkmcnt(0)
	v_pk_fma_f16 v5, v2, v5, v8
	v_pk_fma_f16 v2, v2, v9, v4
	v_mul_u32_u24_sdwa v4, v23, s2 dst_sel:DWORD dst_unused:UNUSED_PAD src0_sel:WORD_0 src1_sel:DWORD
	v_mul_u32_u24_sdwa v8, v23, s2 dst_sel:DWORD dst_unused:UNUSED_PAD src0_sel:WORD_1 src1_sel:DWORD
	v_pk_fma_f16 v21, v3, v4, v5
	v_pk_fma_f16 v19, v3, v8, v2
	v_mov_b64_e32 v[2:3], v[6:7]
	s_barrier
.LBB62_29:
	v_cmp_lt_i32_e32 vcc, v28, v13
	s_cmp_eq_u64 s[16:17], 0
	s_cselect_b64 s[4:5], -1, 0
	v_cndmask_b32_e32 v4, v12, v28, vcc
	v_lshlrev_b32_e32 v5, 2, v4
	ds_bpermute_b32 v4, v5, v0
	ds_bpermute_b32 v5, v5, v1
	v_cmp_lt_i32_e32 vcc, v29, v13
	s_cmp_lg_u32 s3, 0
	s_cselect_b64 s[6:7], -1, 0
	v_cndmask_b32_e32 v6, v12, v29, vcc
	v_lshlrev_b32_e32 v6, 2, v6
	s_waitcnt lgkmcnt(0)
	v_pk_add_f32 v[0:1], v[0:1], v[4:5]
	ds_bpermute_b32 v4, v6, v0
	ds_bpermute_b32 v5, v6, v1
	v_cmp_lt_i32_e32 vcc, v30, v13
	s_or_b64 s[4:5], s[6:7], s[4:5]
	s_waitcnt lgkmcnt(0)
	v_pk_add_f32 v[0:1], v[0:1], v[4:5]
	v_cndmask_b32_e32 v6, v12, v30, vcc
	v_lshlrev_b32_e32 v6, 2, v6
	ds_bpermute_b32 v4, v6, v0
	ds_bpermute_b32 v5, v6, v1
	v_cmp_lt_i32_e32 vcc, v31, v13
	s_waitcnt lgkmcnt(0)
	v_pk_add_f32 v[0:1], v[0:1], v[4:5]
	v_cndmask_b32_e32 v6, v12, v31, vcc
	v_lshlrev_b32_e32 v6, 2, v6
	ds_bpermute_b32 v4, v6, v0
	ds_bpermute_b32 v5, v6, v1
	v_cmp_lt_i32_e32 vcc, v32, v13
	s_waitcnt lgkmcnt(0)
	v_pk_add_f32 v[0:1], v[0:1], v[4:5]
	v_cndmask_b32_e32 v6, v12, v32, vcc
	v_lshlrev_b32_e32 v6, 2, v6
	ds_bpermute_b32 v4, v6, v0
	ds_bpermute_b32 v5, v6, v1
	s_and_b64 vcc, exec, s[4:5]
	s_waitcnt lgkmcnt(0)
	v_pk_add_f32 v[0:1], v[0:1], v[4:5]
	s_cbranch_vccnz .LBB62_31
; %bb.30:
	s_lshl_b64 s[4:5], s[34:35], 2
	s_add_u32 s4, s16, s4
	s_addc_u32 s5, s17, s5
	v_mov_b32_e32 v4, 0
	global_load_dword v6, v4, s[4:5]
	v_max_f32_e32 v4, v2, v2
	v_max_f32_e32 v5, v3, v3
	s_mov_b32 s2, 0x3fb8aa3b
	s_mov_b32 s4, 0xc2ce8ed0
	;; [unrolled: 1-line block ×3, first 2 shown]
	v_mov_b32_e32 v7, 0x7f800000
	s_waitcnt vmcnt(0)
	v_max_f32_e32 v8, v6, v6
	v_max_f32_e32 v4, v4, v8
	;; [unrolled: 1-line block ×3, first 2 shown]
	v_sub_f32_e32 v2, v2, v4
	v_sub_f32_e32 v8, v6, v4
	;; [unrolled: 1-line block ×3, first 2 shown]
	v_mul_f32_e32 v6, 0x3fb8aa3b, v2
	v_sub_f32_e32 v3, v3, v5
	v_mul_f32_e32 v10, 0x3fb8aa3b, v8
	v_fma_f32 v20, v2, s2, -v6
	v_rndne_f32_e32 v22, v6
	v_mul_f32_e32 v12, 0x3fb8aa3b, v3
	v_fma_f32 v23, v8, s2, -v10
	v_rndne_f32_e32 v24, v10
	v_fmac_f32_e32 v20, 0x32a5705f, v2
	v_sub_f32_e32 v6, v6, v22
	v_mul_f32_e32 v13, 0x3fb8aa3b, v9
	v_fma_f32 v25, v3, s2, -v12
	v_rndne_f32_e32 v26, v12
	v_fmac_f32_e32 v23, 0x32a5705f, v8
	v_sub_f32_e32 v10, v10, v24
	v_add_f32_e32 v6, v6, v20
	v_fma_f32 v27, v9, s2, -v13
	v_rndne_f32_e32 v28, v13
	v_cvt_i32_f32_e32 v22, v22
	v_fmac_f32_e32 v25, 0x32a5705f, v3
	v_sub_f32_e32 v12, v12, v26
	v_add_f32_e32 v10, v10, v23
	v_exp_f32_e32 v6, v6
	v_cvt_i32_f32_e32 v24, v24
	v_fmac_f32_e32 v27, 0x32a5705f, v9
	v_sub_f32_e32 v13, v13, v28
	v_add_f32_e32 v12, v12, v25
	v_exp_f32_e32 v10, v10
	v_cvt_i32_f32_e32 v26, v26
	v_add_f32_e32 v13, v13, v27
	v_exp_f32_e32 v12, v12
	v_cvt_i32_f32_e32 v28, v28
	v_exp_f32_e32 v13, v13
	v_ldexp_f32 v6, v6, v22
	v_cmp_ngt_f32_e32 vcc, s4, v2
	v_ldexp_f32 v10, v10, v24
	v_ldexp_f32 v12, v12, v26
	v_cndmask_b32_e32 v6, 0, v6, vcc
	v_cmp_ngt_f32_e32 vcc, s4, v8
	v_ldexp_f32 v13, v13, v28
	s_nop 0
	v_cndmask_b32_e32 v10, 0, v10, vcc
	v_cmp_ngt_f32_e32 vcc, s4, v3
	s_nop 1
	v_cndmask_b32_e32 v12, 0, v12, vcc
	v_cmp_ngt_f32_e32 vcc, s4, v9
	s_nop 1
	v_cndmask_b32_e32 v13, 0, v13, vcc
	v_cmp_nlt_f32_e32 vcc, s5, v2
	s_nop 1
	v_cndmask_b32_e32 v2, v7, v6, vcc
	v_cmp_nlt_f32_e32 vcc, s5, v8
	v_cvt_f16_f32_e32 v8, v2
	s_nop 0
	v_cndmask_b32_e32 v6, v7, v10, vcc
	v_cmp_nlt_f32_e32 vcc, s5, v3
	s_nop 1
	v_cndmask_b32_e32 v3, v7, v12, vcc
	v_cvt_f16_f32_e32 v10, v3
	v_cmp_nlt_f32_e32 vcc, s5, v9
	s_nop 1
	v_cndmask_b32_e32 v7, v7, v13, vcc
	v_pk_fma_f32 v[0:1], v[0:1], v[2:3], v[6:7]
	v_mul_u32_u24_e32 v2, 0x10001, v8
	v_mul_u32_u24_e32 v3, 0x10001, v10
	v_pk_mul_f16 v21, v21, v2
	v_pk_mul_f16 v19, v19, v3
	v_mov_b64_e32 v[2:3], v[4:5]
.LBB62_31:
	v_cmp_gt_i32_e32 vcc, s26, v18
	s_and_saveexec_b64 s[4:5], vcc
	s_cbranch_execz .LBB62_41
; %bb.32:
	s_load_dword s2, s[0:1], 0xd4
	v_mov_b32_e32 v4, 1.0
	s_waitcnt lgkmcnt(0)
	s_cmp_lg_u32 s2, 1
	s_cselect_b64 s[4:5], -1, 0
	s_cmp_eq_u32 s2, 1
	s_cselect_b64 s[0:1], -1, 0
	s_and_b64 vcc, exec, s[4:5]
	s_cbranch_vccnz .LBB62_34
; %bb.33:
	v_div_scale_f32 v4, s[6:7], v0, v0, 1.0
	v_rcp_f32_e32 v5, v4
	v_div_scale_f32 v6, vcc, 1.0, v0, 1.0
	v_fma_f32 v7, -v4, v5, 1.0
	v_fmac_f32_e32 v5, v7, v5
	v_mul_f32_e32 v7, v6, v5
	v_fma_f32 v8, -v4, v7, v6
	v_fmac_f32_e32 v7, v8, v5
	v_fma_f32 v4, -v4, v7, v6
	v_div_fmas_f32 v4, v4, v5, v7
	v_div_fixup_f32 v4, v4, v0, 1.0
.LBB62_34:
	s_mul_i32 s8, s33, s26
	s_add_i32 s8, s8, s14
	v_add_u32_e32 v5, s8, v16
	v_mul_lo_u32 v5, v5, s27
	v_add_u32_e32 v5, s34, v5
	v_cvt_f32_f16_sdwa v9, v21 dst_sel:DWORD dst_unused:UNUSED_PAD src0_sel:WORD_1
	v_cvt_f32_f16_e32 v8, v21
	v_mul_lo_u32 v5, s2, v5
	v_add_u32_e32 v6, s3, v5
	v_cmp_eq_u32_e32 vcc, 0, v17
	v_lshl_add_u32 v12, v6, 6, v11
	v_mov_b32_e32 v13, 0
	v_lshl_add_u64 v[12:13], v[12:13], 2, s[20:21]
	v_pk_mul_f32 v[4:5], v[4:5], v[8:9] op_sel_hi:[0,1]
	s_and_b64 s[4:5], vcc, s[4:5]
	global_store_dwordx2 v[12:13], v[4:5], off
	s_and_saveexec_b64 s[6:7], s[4:5]
	s_cbranch_execz .LBB62_36
; %bb.35:
	v_ashrrev_i32_e32 v7, 31, v6
	v_lshl_add_u64 v[4:5], v[6:7], 3, s[22:23]
	v_mov_b32_e32 v6, v2
	v_mov_b32_e32 v7, v0
	global_store_dwordx2 v[4:5], v[6:7], off
.LBB62_36:
	s_or_b64 exec, exec, s[6:7]
	v_cmp_gt_i32_e32 vcc, s26, v15
	s_and_b64 exec, exec, vcc
	s_cbranch_execz .LBB62_41
; %bb.37:
	s_andn2_b64 vcc, exec, s[0:1]
	v_mov_b32_e32 v0, 1.0
	s_cbranch_vccnz .LBB62_39
; %bb.38:
	v_div_scale_f32 v0, s[0:1], v1, v1, 1.0
	v_rcp_f32_e32 v2, v0
	v_div_scale_f32 v4, vcc, 1.0, v1, 1.0
	v_fma_f32 v5, -v0, v2, 1.0
	v_fmac_f32_e32 v2, v5, v2
	v_mul_f32_e32 v5, v4, v2
	v_fma_f32 v6, -v0, v5, v4
	v_fmac_f32_e32 v5, v6, v2
	v_fma_f32 v0, -v0, v5, v4
	v_div_fmas_f32 v0, v0, v2, v5
	v_div_fixup_f32 v0, v0, v1, 1.0
.LBB62_39:
	v_add_u32_e32 v2, s8, v14
	v_mul_lo_u32 v2, v2, s27
	v_add_u32_e32 v2, s34, v2
	v_cvt_f32_f16_sdwa v7, v19 dst_sel:DWORD dst_unused:UNUSED_PAD src0_sel:WORD_1
	v_cvt_f32_f16_e32 v6, v19
	v_mul_lo_u32 v2, s2, v2
	v_add_u32_e32 v4, s3, v2
	v_lshl_add_u32 v8, v4, 6, v11
	v_mov_b32_e32 v9, 0
	v_lshl_add_u64 v[8:9], v[8:9], 2, s[20:21]
	v_pk_mul_f32 v[6:7], v[0:1], v[6:7] op_sel_hi:[0,1]
	global_store_dwordx2 v[8:9], v[6:7], off
	s_and_b64 exec, exec, s[4:5]
	s_cbranch_execz .LBB62_41
; %bb.40:
	v_ashrrev_i32_e32 v5, 31, v4
	v_lshl_add_u64 v[4:5], v[4:5], 3, s[22:23]
	v_mov_b32_e32 v0, v3
	global_store_dwordx2 v[4:5], v[0:1], off
.LBB62_41:
	s_endpgm
	.section	.rodata,"a",@progbits
	.p2align	6, 0x0
	.amdhsa_kernel _ZL15flash_attn_tileILi64ELi64ELi8ELi1ELb0EEvPKcS1_S1_S1_S1_PKiPfP15HIP_vector_typeIfLj2EEffffjfiS5_IjLj3EEiiiiiiiiiiiliiliiiiil
		.amdhsa_group_segment_fixed_size 6144
		.amdhsa_private_segment_fixed_size 32
		.amdhsa_kernarg_size 464
		.amdhsa_user_sgpr_count 2
		.amdhsa_user_sgpr_dispatch_ptr 0
		.amdhsa_user_sgpr_queue_ptr 0
		.amdhsa_user_sgpr_kernarg_segment_ptr 1
		.amdhsa_user_sgpr_dispatch_id 0
		.amdhsa_user_sgpr_kernarg_preload_length 0
		.amdhsa_user_sgpr_kernarg_preload_offset 0
		.amdhsa_user_sgpr_private_segment_size 0
		.amdhsa_uses_dynamic_stack 0
		.amdhsa_enable_private_segment 1
		.amdhsa_system_sgpr_workgroup_id_x 1
		.amdhsa_system_sgpr_workgroup_id_y 1
		.amdhsa_system_sgpr_workgroup_id_z 1
		.amdhsa_system_sgpr_workgroup_info 0
		.amdhsa_system_vgpr_workitem_id 1
		.amdhsa_next_free_vgpr 90
		.amdhsa_next_free_sgpr 48
		.amdhsa_accum_offset 92
		.amdhsa_reserve_vcc 1
		.amdhsa_float_round_mode_32 0
		.amdhsa_float_round_mode_16_64 0
		.amdhsa_float_denorm_mode_32 3
		.amdhsa_float_denorm_mode_16_64 3
		.amdhsa_dx10_clamp 1
		.amdhsa_ieee_mode 1
		.amdhsa_fp16_overflow 0
		.amdhsa_tg_split 0
		.amdhsa_exception_fp_ieee_invalid_op 0
		.amdhsa_exception_fp_denorm_src 0
		.amdhsa_exception_fp_ieee_div_zero 0
		.amdhsa_exception_fp_ieee_overflow 0
		.amdhsa_exception_fp_ieee_underflow 0
		.amdhsa_exception_fp_ieee_inexact 0
		.amdhsa_exception_int_div_zero 0
	.end_amdhsa_kernel
	.section	.text._ZL15flash_attn_tileILi64ELi64ELi8ELi1ELb0EEvPKcS1_S1_S1_S1_PKiPfP15HIP_vector_typeIfLj2EEffffjfiS5_IjLj3EEiiiiiiiiiiiliiliiiiil,"axG",@progbits,_ZL15flash_attn_tileILi64ELi64ELi8ELi1ELb0EEvPKcS1_S1_S1_S1_PKiPfP15HIP_vector_typeIfLj2EEffffjfiS5_IjLj3EEiiiiiiiiiiiliiliiiiil,comdat
.Lfunc_end62:
	.size	_ZL15flash_attn_tileILi64ELi64ELi8ELi1ELb0EEvPKcS1_S1_S1_S1_PKiPfP15HIP_vector_typeIfLj2EEffffjfiS5_IjLj3EEiiiiiiiiiiiliiliiiiil, .Lfunc_end62-_ZL15flash_attn_tileILi64ELi64ELi8ELi1ELb0EEvPKcS1_S1_S1_S1_PKiPfP15HIP_vector_typeIfLj2EEffffjfiS5_IjLj3EEiiiiiiiiiiiliiliiiiil
                                        ; -- End function
	.set _ZL15flash_attn_tileILi64ELi64ELi8ELi1ELb0EEvPKcS1_S1_S1_S1_PKiPfP15HIP_vector_typeIfLj2EEffffjfiS5_IjLj3EEiiiiiiiiiiiliiliiiiil.num_vgpr, 90
	.set _ZL15flash_attn_tileILi64ELi64ELi8ELi1ELb0EEvPKcS1_S1_S1_S1_PKiPfP15HIP_vector_typeIfLj2EEffffjfiS5_IjLj3EEiiiiiiiiiiiliiliiiiil.num_agpr, 0
	.set _ZL15flash_attn_tileILi64ELi64ELi8ELi1ELb0EEvPKcS1_S1_S1_S1_PKiPfP15HIP_vector_typeIfLj2EEffffjfiS5_IjLj3EEiiiiiiiiiiiliiliiiiil.numbered_sgpr, 48
	.set _ZL15flash_attn_tileILi64ELi64ELi8ELi1ELb0EEvPKcS1_S1_S1_S1_PKiPfP15HIP_vector_typeIfLj2EEffffjfiS5_IjLj3EEiiiiiiiiiiiliiliiiiil.num_named_barrier, 0
	.set _ZL15flash_attn_tileILi64ELi64ELi8ELi1ELb0EEvPKcS1_S1_S1_S1_PKiPfP15HIP_vector_typeIfLj2EEffffjfiS5_IjLj3EEiiiiiiiiiiiliiliiiiil.private_seg_size, 32
	.set _ZL15flash_attn_tileILi64ELi64ELi8ELi1ELb0EEvPKcS1_S1_S1_S1_PKiPfP15HIP_vector_typeIfLj2EEffffjfiS5_IjLj3EEiiiiiiiiiiiliiliiiiil.uses_vcc, 1
	.set _ZL15flash_attn_tileILi64ELi64ELi8ELi1ELb0EEvPKcS1_S1_S1_S1_PKiPfP15HIP_vector_typeIfLj2EEffffjfiS5_IjLj3EEiiiiiiiiiiiliiliiiiil.uses_flat_scratch, 0
	.set _ZL15flash_attn_tileILi64ELi64ELi8ELi1ELb0EEvPKcS1_S1_S1_S1_PKiPfP15HIP_vector_typeIfLj2EEffffjfiS5_IjLj3EEiiiiiiiiiiiliiliiiiil.has_dyn_sized_stack, 0
	.set _ZL15flash_attn_tileILi64ELi64ELi8ELi1ELb0EEvPKcS1_S1_S1_S1_PKiPfP15HIP_vector_typeIfLj2EEffffjfiS5_IjLj3EEiiiiiiiiiiiliiliiiiil.has_recursion, 0
	.set _ZL15flash_attn_tileILi64ELi64ELi8ELi1ELb0EEvPKcS1_S1_S1_S1_PKiPfP15HIP_vector_typeIfLj2EEffffjfiS5_IjLj3EEiiiiiiiiiiiliiliiiiil.has_indirect_call, 0
	.section	.AMDGPU.csdata,"",@progbits
; Kernel info:
; codeLenInByte = 11912
; TotalNumSgprs: 54
; NumVgprs: 90
; NumAgprs: 0
; TotalNumVgprs: 90
; ScratchSize: 32
; MemoryBound: 0
; FloatMode: 240
; IeeeMode: 1
; LDSByteSize: 6144 bytes/workgroup (compile time only)
; SGPRBlocks: 6
; VGPRBlocks: 11
; NumSGPRsForWavesPerEU: 54
; NumVGPRsForWavesPerEU: 90
; AccumOffset: 92
; Occupancy: 5
; WaveLimiterHint : 1
; COMPUTE_PGM_RSRC2:SCRATCH_EN: 1
; COMPUTE_PGM_RSRC2:USER_SGPR: 2
; COMPUTE_PGM_RSRC2:TRAP_HANDLER: 0
; COMPUTE_PGM_RSRC2:TGID_X_EN: 1
; COMPUTE_PGM_RSRC2:TGID_Y_EN: 1
; COMPUTE_PGM_RSRC2:TGID_Z_EN: 1
; COMPUTE_PGM_RSRC2:TIDIG_COMP_CNT: 1
; COMPUTE_PGM_RSRC3_GFX90A:ACCUM_OFFSET: 22
; COMPUTE_PGM_RSRC3_GFX90A:TG_SPLIT: 0
	.section	.text._ZL33flash_attn_stream_k_fixup_uniformILi64ELi8ELi1EEvPfPK15HIP_vector_typeIfLj2EEiiiiiiS1_IjLj3EES5_S5_,"axG",@progbits,_ZL33flash_attn_stream_k_fixup_uniformILi64ELi8ELi1EEvPfPK15HIP_vector_typeIfLj2EEiiiiiiS1_IjLj3EES5_S5_,comdat
	.globl	_ZL33flash_attn_stream_k_fixup_uniformILi64ELi8ELi1EEvPfPK15HIP_vector_typeIfLj2EEiiiiiiS1_IjLj3EES5_S5_ ; -- Begin function _ZL33flash_attn_stream_k_fixup_uniformILi64ELi8ELi1EEvPfPK15HIP_vector_typeIfLj2EEiiiiiiS1_IjLj3EES5_S5_
	.p2align	8
	.type	_ZL33flash_attn_stream_k_fixup_uniformILi64ELi8ELi1EEvPfPK15HIP_vector_typeIfLj2EEiiiiiiS1_IjLj3EES5_S5_,@function
_ZL33flash_attn_stream_k_fixup_uniformILi64ELi8ELi1EEvPfPK15HIP_vector_typeIfLj2EEiiiiiiS1_IjLj3EES5_S5_: ; @_ZL33flash_attn_stream_k_fixup_uniformILi64ELi8ELi1EEvPfPK15HIP_vector_typeIfLj2EEiiiiiiS1_IjLj3EES5_S5_
; %bb.0:
	s_load_dwordx8 s[8:15], s[0:1], 0x1c
	s_load_dwordx2 s[6:7], s[0:1], 0x10
	s_load_dwordx4 s[20:23], s[0:1], 0x3c
	s_waitcnt lgkmcnt(0)
	s_mul_hi_u32 s5, s11, s2
	s_add_i32 s5, s2, s5
	s_lshr_b32 s5, s5, s12
	s_mul_i32 s11, s5, s13
	s_sub_i32 s11, s2, s11
	s_mul_hi_u32 s12, s11, s14
	s_add_i32 s12, s11, s12
	s_lshr_b32 s16, s12, s15
	s_mul_i32 s12, s16, s20
	s_sub_i32 s12, s11, s12
	;; [unrolled: 5-line block ×3, first 2 shown]
	s_lshl_b32 s12, s17, 3
	s_add_i32 s12, s12, s3
	s_cmp_lt_i32 s12, s6
	s_cselect_b64 s[12:13], -1, 0
	s_add_i32 s14, s11, s4
	s_cmp_lt_i32 s14, s9
	s_cselect_b64 s[14:15], -1, 0
	s_and_b64 s[12:13], s[12:13], s[14:15]
	s_andn2_b64 vcc, exec, s[12:13]
	s_cbranch_vccnz .LBB63_6
; %bb.1:
	s_load_dwordx4 s[12:15], s[0:1], 0x0
	s_mul_i32 s0, s5, s6
	s_add_i32 s0, s0, s3
	s_mul_i32 s0, s0, s7
	s_mul_i32 s16, s16, s9
	s_add_i32 s0, s0, s4
	s_add_i32 s0, s0, s16
	s_mul_i32 s1, s7, s17
	s_add_i32 s0, s0, s11
	s_lshl_b32 s1, s1, 9
	s_lshl_b32 s0, s0, 6
	s_add_i32 s1, s1, s0
	v_or_b32_e32 v4, s1, v0
	s_waitcnt lgkmcnt(0)
	v_mov_b32_e32 v2, s12
	v_mov_b32_e32 v3, s13
	v_ashrrev_i32_e32 v5, 31, v4
	v_lshl_add_u64 v[2:3], v[4:5], 2, v[2:3]
	global_load_dword v5, v[2:3], off
	s_mul_i32 s6, s10, s2
	s_add_i32 s7, s6, s10
	s_add_i32 s3, s3, s4
	s_lshl_b32 s0, s7, 3
	s_add_i32 s0, s3, s0
	s_add_i32 s0, s0, -8
	s_ashr_i32 s1, s0, 31
	s_lshl_b64 s[0:1], s[0:1], 3
	s_add_u32 s0, s14, s0
	s_addc_u32 s1, s15, s1
	s_load_dword s9, s[0:1], 0x4
	s_add_i32 s4, s7, -2
	s_cmp_lt_i32 s4, s6
	s_cbranch_scc1 .LBB63_4
; %bb.2:
	s_lshl_b32 s4, s8, 5
	s_ashr_i32 s5, s4, 31
	s_lshl_b64 s[4:5], s[4:5], 2
	s_add_u32 s4, s14, s4
	s_addc_u32 s5, s15, s5
	s_add_i32 s2, s2, 1
	s_mul_i32 s2, s10, s2
	s_load_dword s0, s[0:1], 0x0
	s_lshl_b32 s1, s3, 6
	s_lshl_b32 s10, s2, 9
	s_add_i32 s1, s1, s10
	v_or_b32_e32 v0, s1, v0
	s_lshl_b32 s1, s2, 3
	s_add_i32 s1, s3, s1
	s_lshl_b32 s2, s8, 3
	s_add_i32 s1, s1, s2
	s_add_i32 s7, s7, -1
	v_add_u32_e32 v0, 0xfffffc00, v0
	s_add_i32 s2, s1, -16
	s_waitcnt lgkmcnt(0)
	v_mov_b32_e32 v7, s0
	v_mov_b32_e32 v4, s9
	s_mov_b32 s8, 0x3fb8aa3b
	s_mov_b32 s9, 0xc2ce8ed0
	;; [unrolled: 1-line block ×3, first 2 shown]
	v_mov_b32_e32 v6, 0x7f800000
	s_mov_b32 s11, 0xc1a00000
.LBB63_3:                               ; =>This Inner Loop Header: Depth=1
	v_ashrrev_i32_e32 v1, 31, v0
	v_lshl_add_u64 v[8:9], v[0:1], 2, s[4:5]
	global_load_dword v9, v[8:9], off
	s_ashr_i32 s3, s2, 31
	s_lshl_b64 s[0:1], s[2:3], 3
	s_add_u32 s0, s14, s0
	s_addc_u32 s1, s15, s1
	s_load_dwordx2 s[0:1], s[0:1], 0x0
	v_max_f32_e32 v1, v7, v7
	s_add_i32 s7, s7, -1
	s_add_i32 s2, s2, -8
	v_add_u32_e32 v0, 0xfffffe00, v0
	s_waitcnt lgkmcnt(0)
	v_max_f32_e64 v10, s0, s0
	v_max_f32_e32 v1, v1, v10
	v_sub_f32_e32 v11, s0, v1
	v_sub_f32_e32 v10, v7, v1
	v_mul_f32_e32 v12, 0x3fb8aa3b, v11
	v_mov_b32_e32 v7, v1
	v_mul_f32_e32 v1, 0x3fb8aa3b, v10
	v_fma_f32 v15, v11, s8, -v12
	v_rndne_f32_e32 v16, v12
	v_fma_f32 v13, v10, s8, -v1
	v_rndne_f32_e32 v14, v1
	v_fmac_f32_e32 v15, 0x32a5705f, v11
	v_sub_f32_e32 v12, v12, v16
	v_fmac_f32_e32 v13, 0x32a5705f, v10
	v_sub_f32_e32 v1, v1, v14
	v_add_f32_e32 v12, v12, v15
	v_cvt_i32_f32_e32 v16, v16
	v_add_f32_e32 v1, v1, v13
	v_exp_f32_e32 v12, v12
	v_cvt_i32_f32_e32 v14, v14
	v_exp_f32_e32 v1, v1
	v_cmp_ngt_f32_e32 vcc, s9, v11
	v_ldexp_f32 v12, v12, v16
	v_mov_b32_e32 v8, s1
	v_ldexp_f32 v1, v1, v14
	v_cmp_ngt_f32_e64 s[0:1], s9, v10
	v_cndmask_b32_e32 v12, 0, v12, vcc
	v_cmp_nlt_f32_e32 vcc, s10, v11
	v_cndmask_b32_e64 v1, 0, v1, s[0:1]
	v_cmp_nlt_f32_e64 s[0:1], s10, v10
	v_cndmask_b32_e32 v12, v6, v12, vcc
	v_cmp_le_f32_e32 vcc, s11, v11
	v_cndmask_b32_e64 v1, v6, v1, s[0:1]
	v_cmp_le_f32_e64 s[0:1], s11, v10
	v_cndmask_b32_e32 v12, 0, v12, vcc
	s_cmp_le_i32 s7, s6
	v_cndmask_b32_e64 v10, 0, v1, s[0:1]
	s_waitcnt vmcnt(0)
	v_pk_mul_f32 v[8:9], v[8:9], v[12:13] op_sel_hi:[1,0]
	s_nop 0
	v_pk_fma_f32 v[4:5], v[4:5], v[10:11], v[8:9] op_sel_hi:[1,0,1]
	s_cbranch_scc0 .LBB63_3
	s_branch .LBB63_5
.LBB63_4:
	s_waitcnt lgkmcnt(0)
	v_mov_b32_e32 v4, s9
.LBB63_5:
	s_waitcnt vmcnt(0)
	v_div_scale_f32 v0, s[0:1], v4, v4, v5
	v_rcp_f32_e32 v1, v0
	v_div_scale_f32 v6, vcc, v5, v4, v5
	v_fma_f32 v7, -v0, v1, 1.0
	v_fmac_f32_e32 v1, v7, v1
	v_mul_f32_e32 v7, v6, v1
	v_fma_f32 v8, -v0, v7, v6
	v_fmac_f32_e32 v7, v8, v1
	v_fma_f32 v0, -v0, v7, v6
	v_div_fmas_f32 v0, v0, v1, v7
	v_div_fixup_f32 v0, v0, v4, v5
	global_store_dword v[2:3], v0, off
.LBB63_6:
	s_endpgm
	.section	.rodata,"a",@progbits
	.p2align	6, 0x0
	.amdhsa_kernel _ZL33flash_attn_stream_k_fixup_uniformILi64ELi8ELi1EEvPfPK15HIP_vector_typeIfLj2EEiiiiiiS1_IjLj3EES5_S5_
		.amdhsa_group_segment_fixed_size 0
		.amdhsa_private_segment_fixed_size 0
		.amdhsa_kernarg_size 76
		.amdhsa_user_sgpr_count 2
		.amdhsa_user_sgpr_dispatch_ptr 0
		.amdhsa_user_sgpr_queue_ptr 0
		.amdhsa_user_sgpr_kernarg_segment_ptr 1
		.amdhsa_user_sgpr_dispatch_id 0
		.amdhsa_user_sgpr_kernarg_preload_length 0
		.amdhsa_user_sgpr_kernarg_preload_offset 0
		.amdhsa_user_sgpr_private_segment_size 0
		.amdhsa_uses_dynamic_stack 0
		.amdhsa_enable_private_segment 0
		.amdhsa_system_sgpr_workgroup_id_x 1
		.amdhsa_system_sgpr_workgroup_id_y 1
		.amdhsa_system_sgpr_workgroup_id_z 1
		.amdhsa_system_sgpr_workgroup_info 0
		.amdhsa_system_vgpr_workitem_id 0
		.amdhsa_next_free_vgpr 17
		.amdhsa_next_free_sgpr 24
		.amdhsa_accum_offset 20
		.amdhsa_reserve_vcc 1
		.amdhsa_float_round_mode_32 0
		.amdhsa_float_round_mode_16_64 0
		.amdhsa_float_denorm_mode_32 3
		.amdhsa_float_denorm_mode_16_64 3
		.amdhsa_dx10_clamp 1
		.amdhsa_ieee_mode 1
		.amdhsa_fp16_overflow 0
		.amdhsa_tg_split 0
		.amdhsa_exception_fp_ieee_invalid_op 0
		.amdhsa_exception_fp_denorm_src 0
		.amdhsa_exception_fp_ieee_div_zero 0
		.amdhsa_exception_fp_ieee_overflow 0
		.amdhsa_exception_fp_ieee_underflow 0
		.amdhsa_exception_fp_ieee_inexact 0
		.amdhsa_exception_int_div_zero 0
	.end_amdhsa_kernel
	.section	.text._ZL33flash_attn_stream_k_fixup_uniformILi64ELi8ELi1EEvPfPK15HIP_vector_typeIfLj2EEiiiiiiS1_IjLj3EES5_S5_,"axG",@progbits,_ZL33flash_attn_stream_k_fixup_uniformILi64ELi8ELi1EEvPfPK15HIP_vector_typeIfLj2EEiiiiiiS1_IjLj3EES5_S5_,comdat
.Lfunc_end63:
	.size	_ZL33flash_attn_stream_k_fixup_uniformILi64ELi8ELi1EEvPfPK15HIP_vector_typeIfLj2EEiiiiiiS1_IjLj3EES5_S5_, .Lfunc_end63-_ZL33flash_attn_stream_k_fixup_uniformILi64ELi8ELi1EEvPfPK15HIP_vector_typeIfLj2EEiiiiiiS1_IjLj3EES5_S5_
                                        ; -- End function
	.set _ZL33flash_attn_stream_k_fixup_uniformILi64ELi8ELi1EEvPfPK15HIP_vector_typeIfLj2EEiiiiiiS1_IjLj3EES5_S5_.num_vgpr, 17
	.set _ZL33flash_attn_stream_k_fixup_uniformILi64ELi8ELi1EEvPfPK15HIP_vector_typeIfLj2EEiiiiiiS1_IjLj3EES5_S5_.num_agpr, 0
	.set _ZL33flash_attn_stream_k_fixup_uniformILi64ELi8ELi1EEvPfPK15HIP_vector_typeIfLj2EEiiiiiiS1_IjLj3EES5_S5_.numbered_sgpr, 24
	.set _ZL33flash_attn_stream_k_fixup_uniformILi64ELi8ELi1EEvPfPK15HIP_vector_typeIfLj2EEiiiiiiS1_IjLj3EES5_S5_.num_named_barrier, 0
	.set _ZL33flash_attn_stream_k_fixup_uniformILi64ELi8ELi1EEvPfPK15HIP_vector_typeIfLj2EEiiiiiiS1_IjLj3EES5_S5_.private_seg_size, 0
	.set _ZL33flash_attn_stream_k_fixup_uniformILi64ELi8ELi1EEvPfPK15HIP_vector_typeIfLj2EEiiiiiiS1_IjLj3EES5_S5_.uses_vcc, 1
	.set _ZL33flash_attn_stream_k_fixup_uniformILi64ELi8ELi1EEvPfPK15HIP_vector_typeIfLj2EEiiiiiiS1_IjLj3EES5_S5_.uses_flat_scratch, 0
	.set _ZL33flash_attn_stream_k_fixup_uniformILi64ELi8ELi1EEvPfPK15HIP_vector_typeIfLj2EEiiiiiiS1_IjLj3EES5_S5_.has_dyn_sized_stack, 0
	.set _ZL33flash_attn_stream_k_fixup_uniformILi64ELi8ELi1EEvPfPK15HIP_vector_typeIfLj2EEiiiiiiS1_IjLj3EES5_S5_.has_recursion, 0
	.set _ZL33flash_attn_stream_k_fixup_uniformILi64ELi8ELi1EEvPfPK15HIP_vector_typeIfLj2EEiiiiiiS1_IjLj3EES5_S5_.has_indirect_call, 0
	.section	.AMDGPU.csdata,"",@progbits
; Kernel info:
; codeLenInByte = 816
; TotalNumSgprs: 30
; NumVgprs: 17
; NumAgprs: 0
; TotalNumVgprs: 17
; ScratchSize: 0
; MemoryBound: 0
; FloatMode: 240
; IeeeMode: 1
; LDSByteSize: 0 bytes/workgroup (compile time only)
; SGPRBlocks: 3
; VGPRBlocks: 2
; NumSGPRsForWavesPerEU: 30
; NumVGPRsForWavesPerEU: 17
; AccumOffset: 20
; Occupancy: 8
; WaveLimiterHint : 0
; COMPUTE_PGM_RSRC2:SCRATCH_EN: 0
; COMPUTE_PGM_RSRC2:USER_SGPR: 2
; COMPUTE_PGM_RSRC2:TRAP_HANDLER: 0
; COMPUTE_PGM_RSRC2:TGID_X_EN: 1
; COMPUTE_PGM_RSRC2:TGID_Y_EN: 1
; COMPUTE_PGM_RSRC2:TGID_Z_EN: 1
; COMPUTE_PGM_RSRC2:TIDIG_COMP_CNT: 0
; COMPUTE_PGM_RSRC3_GFX90A:ACCUM_OFFSET: 4
; COMPUTE_PGM_RSRC3_GFX90A:TG_SPLIT: 0
	.section	.text._ZL33flash_attn_stream_k_fixup_generalILi64ELi8ELi1EEvPfPK15HIP_vector_typeIfLj2EEiiiiS1_IjLj3EES5_S5_S5_,"axG",@progbits,_ZL33flash_attn_stream_k_fixup_generalILi64ELi8ELi1EEvPfPK15HIP_vector_typeIfLj2EEiiiiS1_IjLj3EES5_S5_S5_,comdat
	.globl	_ZL33flash_attn_stream_k_fixup_generalILi64ELi8ELi1EEvPfPK15HIP_vector_typeIfLj2EEiiiiS1_IjLj3EES5_S5_S5_ ; -- Begin function _ZL33flash_attn_stream_k_fixup_generalILi64ELi8ELi1EEvPfPK15HIP_vector_typeIfLj2EEiiiiS1_IjLj3EES5_S5_S5_
	.p2align	8
	.type	_ZL33flash_attn_stream_k_fixup_generalILi64ELi8ELi1EEvPfPK15HIP_vector_typeIfLj2EEiiiiS1_IjLj3EES5_S5_S5_,@function
_ZL33flash_attn_stream_k_fixup_generalILi64ELi8ELi1EEvPfPK15HIP_vector_typeIfLj2EEiiiiS1_IjLj3EES5_S5_S5_: ; @_ZL33flash_attn_stream_k_fixup_generalILi64ELi8ELi1EEvPfPK15HIP_vector_typeIfLj2EEiiiiS1_IjLj3EES5_S5_S5_
; %bb.0:
	s_load_dwordx4 s[8:11], s[0:1], 0x10
	s_load_dword s22, s[0:1], 0x50
	s_mov_b32 s12, 0
	s_waitcnt lgkmcnt(0)
	s_mul_hi_i32 s13, s11, s2
	s_cmp_lg_u64 s[12:13], 0
	s_mul_i32 s5, s11, s2
	s_cbranch_scc0 .LBB64_20
; %bb.1:
	s_add_u32 s6, s22, 0
	s_addc_u32 s7, 0, 0
	s_xor_b64 s[6:7], s[6:7], 0
	v_cvt_f32_u32_e32 v1, s6
	v_cvt_f32_u32_e32 v2, s7
	s_sub_u32 s12, 0, s6
	s_subb_u32 s18, 0, s7
	v_fmamk_f32 v1, v2, 0x4f800000, v1
	v_rcp_f32_e32 v1, v1
	s_nop 0
	v_mul_f32_e32 v1, 0x5f7ffffc, v1
	v_mul_f32_e32 v2, 0x2f800000, v1
	v_trunc_f32_e32 v2, v2
	v_fmamk_f32 v1, v2, 0xcf800000, v1
	v_cvt_u32_f32_e32 v2, v2
	v_cvt_u32_f32_e32 v1, v1
	v_readfirstlane_b32 s19, v2
	v_readfirstlane_b32 s14, v1
	s_mul_i32 s15, s12, s19
	s_mul_hi_u32 s21, s12, s14
	s_mul_i32 s20, s18, s14
	s_add_i32 s15, s21, s15
	s_add_i32 s15, s15, s20
	s_mul_i32 s23, s12, s14
	s_mul_i32 s21, s14, s15
	s_mul_hi_u32 s24, s14, s23
	s_mul_hi_u32 s20, s14, s15
	s_add_u32 s21, s24, s21
	s_addc_u32 s20, 0, s20
	s_mul_hi_u32 s25, s19, s23
	s_mul_i32 s23, s19, s23
	s_add_u32 s21, s21, s23
	s_mul_hi_u32 s24, s19, s15
	s_addc_u32 s20, s20, s25
	s_addc_u32 s21, s24, 0
	s_mul_i32 s15, s19, s15
	s_add_u32 s15, s20, s15
	s_addc_u32 s20, 0, s21
	s_add_u32 s21, s14, s15
	s_cselect_b64 s[14:15], -1, 0
	s_cmp_lg_u64 s[14:15], 0
	s_addc_u32 s19, s19, s20
	s_mul_i32 s14, s12, s19
	s_mul_hi_u32 s15, s12, s21
	s_add_i32 s14, s15, s14
	s_mul_i32 s18, s18, s21
	s_add_i32 s14, s14, s18
	s_mul_i32 s12, s12, s21
	s_mul_hi_u32 s18, s19, s12
	s_mul_i32 s20, s19, s12
	s_mul_i32 s24, s21, s14
	s_mul_hi_u32 s12, s21, s12
	s_mul_hi_u32 s23, s21, s14
	s_add_u32 s12, s12, s24
	s_addc_u32 s23, 0, s23
	s_add_u32 s12, s12, s20
	s_mul_hi_u32 s15, s19, s14
	s_addc_u32 s12, s23, s18
	s_addc_u32 s15, s15, 0
	s_mul_i32 s14, s19, s14
	s_add_u32 s12, s12, s14
	s_addc_u32 s18, 0, s15
	s_add_u32 s20, s21, s12
	s_cselect_b64 s[14:15], -1, 0
	s_cmp_lg_u64 s[14:15], 0
	s_addc_u32 s18, s19, s18
	s_ashr_i32 s14, s13, 31
	s_add_u32 s12, s5, s14
	s_mov_b32 s15, s14
	s_addc_u32 s13, s13, s14
	s_xor_b64 s[12:13], s[12:13], s[14:15]
	s_mul_i32 s21, s12, s18
	s_mul_hi_u32 s23, s12, s20
	s_mul_hi_u32 s19, s12, s18
	s_add_u32 s21, s23, s21
	s_addc_u32 s19, 0, s19
	s_mul_hi_u32 s24, s13, s20
	s_mul_i32 s20, s13, s20
	s_add_u32 s20, s21, s20
	s_mul_hi_u32 s23, s13, s18
	s_addc_u32 s19, s19, s24
	s_addc_u32 s20, s23, 0
	s_mul_i32 s18, s13, s18
	s_add_u32 s23, s19, s18
	s_addc_u32 s24, 0, s20
	s_mul_i32 s18, s6, s24
	s_mul_hi_u32 s19, s6, s23
	s_add_i32 s18, s19, s18
	s_mul_i32 s19, s7, s23
	s_add_i32 s25, s18, s19
	s_sub_i32 s20, s13, s25
	s_mul_i32 s18, s6, s23
	s_sub_u32 s12, s12, s18
	s_cselect_b64 s[18:19], -1, 0
	s_cmp_lg_u64 s[18:19], 0
	s_subb_u32 s26, s20, s7
	s_sub_u32 s27, s12, s6
	s_cselect_b64 s[20:21], -1, 0
	s_cmp_lg_u64 s[20:21], 0
	s_subb_u32 s20, s26, 0
	s_cmp_ge_u32 s20, s7
	s_cselect_b32 s21, -1, 0
	s_cmp_ge_u32 s27, s6
	s_cselect_b32 s26, -1, 0
	s_cmp_eq_u32 s20, s7
	s_cselect_b32 s20, s26, s21
	s_add_u32 s21, s23, 1
	s_addc_u32 s26, s24, 0
	s_add_u32 s27, s23, 2
	s_addc_u32 s28, s24, 0
	s_cmp_lg_u32 s20, 0
	s_cselect_b32 s20, s27, s21
	s_cselect_b32 s21, s28, s26
	s_cmp_lg_u64 s[18:19], 0
	s_subb_u32 s13, s13, s25
	s_cmp_ge_u32 s13, s7
	s_cselect_b32 s18, -1, 0
	s_cmp_ge_u32 s12, s6
	s_cselect_b32 s6, -1, 0
	s_cmp_eq_u32 s13, s7
	s_cselect_b32 s6, s6, s18
	s_cmp_lg_u32 s6, 0
	s_cselect_b32 s7, s21, s24
	s_cselect_b32 s6, s20, s23
	s_xor_b64 s[12:13], s[14:15], 0
	s_xor_b64 s[6:7], s[6:7], s[12:13]
	s_sub_u32 s6, s6, s12
	s_load_dwordx4 s[12:15], s[0:1], 0x44
	s_cbranch_execnz .LBB64_3
.LBB64_2:
	v_cvt_f32_u32_e32 v1, s22
	s_sub_i32 s6, 0, s22
	v_rcp_iflag_f32_e32 v1, v1
	s_nop 0
	v_mul_f32_e32 v1, 0x4f7ffffe, v1
	v_cvt_u32_f32_e32 v1, v1
	s_nop 0
	v_readfirstlane_b32 s7, v1
	s_mul_i32 s6, s6, s7
	s_mul_hi_u32 s6, s7, s6
	s_add_i32 s7, s7, s6
	s_mul_hi_u32 s6, s5, s7
	s_waitcnt lgkmcnt(0)
	s_mul_i32 s15, s6, s22
	s_sub_i32 s5, s5, s15
	s_add_i32 s7, s6, 1
	s_sub_i32 s15, s5, s22
	s_cmp_ge_u32 s5, s22
	s_cselect_b32 s6, s7, s6
	s_cselect_b32 s5, s15, s5
	s_add_i32 s7, s6, 1
	s_cmp_ge_u32 s5, s22
	s_cselect_b32 s6, s7, s6
.LBB64_3:
	s_add_i32 s5, s2, 1
	s_mul_hi_i32 s21, s11, s5
	s_mov_b32 s20, 0
	s_cmp_lg_u64 s[20:21], 0
	s_mul_i32 s5, s11, s5
	s_cbranch_scc0 .LBB64_21
; %bb.4:
	s_add_u32 s16, s22, 0
	s_addc_u32 s17, 0, 0
	s_xor_b64 s[18:19], s[16:17], 0
	v_cvt_f32_u32_e32 v1, s18
	v_cvt_f32_u32_e32 v2, s19
	s_sub_u32 s7, 0, s18
	s_waitcnt lgkmcnt(0)
	s_subb_u32 s15, 0, s19
	v_fmamk_f32 v1, v2, 0x4f800000, v1
	v_rcp_f32_e32 v1, v1
	s_nop 0
	v_mul_f32_e32 v1, 0x5f7ffffc, v1
	v_mul_f32_e32 v2, 0x2f800000, v1
	v_trunc_f32_e32 v2, v2
	v_fmamk_f32 v1, v2, 0xcf800000, v1
	v_cvt_u32_f32_e32 v2, v2
	v_cvt_u32_f32_e32 v1, v1
	v_readfirstlane_b32 s20, v2
	v_readfirstlane_b32 s23, v1
	s_mul_i32 s24, s7, s20
	s_mul_hi_u32 s26, s7, s23
	s_mul_i32 s25, s15, s23
	s_add_i32 s24, s26, s24
	s_add_i32 s24, s24, s25
	s_mul_i32 s27, s7, s23
	s_mul_i32 s26, s23, s24
	s_mul_hi_u32 s28, s23, s27
	s_mul_hi_u32 s25, s23, s24
	s_add_u32 s26, s28, s26
	s_addc_u32 s25, 0, s25
	s_mul_hi_u32 s29, s20, s27
	s_mul_i32 s27, s20, s27
	s_add_u32 s26, s26, s27
	s_mul_hi_u32 s28, s20, s24
	s_addc_u32 s25, s25, s29
	s_addc_u32 s26, s28, 0
	s_mul_i32 s24, s20, s24
	s_add_u32 s24, s25, s24
	s_addc_u32 s26, 0, s26
	s_add_u32 s23, s23, s24
	s_cselect_b64 s[24:25], -1, 0
	s_cmp_lg_u64 s[24:25], 0
	s_addc_u32 s20, s20, s26
	s_mul_i32 s24, s7, s20
	s_mul_hi_u32 s25, s7, s23
	s_add_i32 s24, s25, s24
	s_mul_i32 s15, s15, s23
	s_add_i32 s24, s24, s15
	s_mul_i32 s7, s7, s23
	s_mul_hi_u32 s25, s20, s7
	s_mul_i32 s26, s20, s7
	s_mul_i32 s28, s23, s24
	s_mul_hi_u32 s7, s23, s7
	s_mul_hi_u32 s27, s23, s24
	s_add_u32 s7, s7, s28
	s_addc_u32 s27, 0, s27
	s_add_u32 s7, s7, s26
	s_mul_hi_u32 s15, s20, s24
	s_addc_u32 s7, s27, s25
	s_addc_u32 s15, s15, 0
	s_mul_i32 s24, s20, s24
	s_add_u32 s7, s7, s24
	s_addc_u32 s15, 0, s15
	s_add_u32 s7, s23, s7
	s_cselect_b64 s[24:25], -1, 0
	s_cmp_lg_u64 s[24:25], 0
	s_addc_u32 s15, s20, s15
	s_ashr_i32 s24, s21, 31
	s_add_u32 s20, s5, s24
	s_mov_b32 s25, s24
	s_addc_u32 s21, s21, s24
	s_xor_b64 s[20:21], s[20:21], s[24:25]
	s_mul_i32 s26, s20, s15
	s_mul_hi_u32 s27, s20, s7
	s_mul_hi_u32 s23, s20, s15
	s_add_u32 s26, s27, s26
	s_addc_u32 s23, 0, s23
	s_mul_hi_u32 s28, s21, s7
	s_mul_i32 s7, s21, s7
	s_add_u32 s7, s26, s7
	s_mul_hi_u32 s27, s21, s15
	s_addc_u32 s7, s23, s28
	s_addc_u32 s23, s27, 0
	s_mul_i32 s15, s21, s15
	s_add_u32 s7, s7, s15
	s_addc_u32 s15, 0, s23
	s_mul_i32 s23, s18, s15
	s_mul_hi_u32 s26, s18, s7
	s_add_i32 s23, s26, s23
	s_mul_i32 s26, s19, s7
	s_add_i32 s23, s23, s26
	s_sub_i32 s28, s21, s23
	s_mul_i32 s26, s18, s7
	s_sub_u32 s20, s20, s26
	s_cselect_b64 s[26:27], -1, 0
	s_cmp_lg_u64 s[26:27], 0
	s_subb_u32 s30, s28, s19
	s_sub_u32 s31, s20, s18
	s_cselect_b64 s[28:29], -1, 0
	s_cmp_lg_u64 s[28:29], 0
	s_subb_u32 s28, s30, 0
	s_cmp_ge_u32 s28, s19
	s_cselect_b32 s29, -1, 0
	s_cmp_ge_u32 s31, s18
	s_cselect_b32 s30, -1, 0
	s_cmp_eq_u32 s28, s19
	s_cselect_b32 s28, s30, s29
	s_add_u32 s29, s7, 1
	s_addc_u32 s30, s15, 0
	s_add_u32 s31, s7, 2
	s_addc_u32 s33, s15, 0
	s_cmp_lg_u32 s28, 0
	s_cselect_b32 s28, s31, s29
	s_cselect_b32 s29, s33, s30
	s_cmp_lg_u64 s[26:27], 0
	s_subb_u32 s21, s21, s23
	s_cmp_ge_u32 s21, s19
	s_cselect_b32 s23, -1, 0
	s_cmp_ge_u32 s20, s18
	s_cselect_b32 s18, -1, 0
	s_cmp_eq_u32 s21, s19
	s_cselect_b32 s18, s18, s23
	s_cmp_lg_u32 s18, 0
	s_cselect_b32 s19, s29, s15
	s_cselect_b32 s18, s28, s7
	s_xor_b64 s[20:21], s[24:25], 0
	s_xor_b64 s[18:19], s[18:19], s[20:21]
	s_sub_u32 s18, s18, s20
	s_cbranch_execnz .LBB64_6
.LBB64_5:
	v_cvt_f32_u32_e32 v1, s22
	s_sub_i32 s7, 0, s22
	v_rcp_iflag_f32_e32 v1, v1
	s_nop 0
	v_mul_f32_e32 v1, 0x4f7ffffe, v1
	v_cvt_u32_f32_e32 v1, v1
	s_waitcnt lgkmcnt(0)
	v_readfirstlane_b32 s15, v1
	s_mul_i32 s7, s7, s15
	s_mul_hi_u32 s7, s15, s7
	s_add_i32 s15, s15, s7
	s_mul_hi_u32 s7, s5, s15
	s_mul_i32 s16, s7, s22
	s_sub_i32 s5, s5, s16
	s_add_i32 s15, s7, 1
	s_sub_i32 s16, s5, s22
	s_cmp_ge_u32 s5, s22
	s_cselect_b32 s7, s15, s7
	s_cselect_b32 s5, s16, s5
	s_add_i32 s15, s7, 1
	s_cmp_ge_u32 s5, s22
	s_cselect_b32 s18, s15, s7
.LBB64_6:
	s_cmp_eq_u32 s6, s18
	s_waitcnt lgkmcnt(0)
	s_mul_hi_u32 s5, s6, s12
	s_cselect_b64 s[16:17], -1, 0
	s_add_i32 s5, s5, s6
	s_lshr_b32 s7, s5, s13
	s_mul_i32 s5, s7, s14
	s_cmp_eq_u32 s5, s6
	s_mul_hi_u32 s5, s18, s12
	s_cselect_b64 s[20:21], -1, 0
	s_add_i32 s5, s5, s18
	s_lshr_b32 s5, s5, s13
	s_cmp_eq_u32 s7, s5
	s_mul_i32 s5, s5, s14
	s_cselect_b64 s[24:25], -1, 0
	s_cmp_lg_u32 s5, s18
	s_cselect_b64 s[18:19], -1, 0
	s_and_b64 s[18:19], s[24:25], s[18:19]
	s_or_b64 s[16:17], s[16:17], s[20:21]
	s_or_b64 s[16:17], s[16:17], s[18:19]
	s_and_b64 vcc, exec, s[16:17]
	s_cbranch_vccnz .LBB64_23
; %bb.7:
	s_load_dwordx8 s[24:31], s[0:1], 0x20
	s_load_dword s15, s[0:1], 0x40
	s_waitcnt lgkmcnt(0)
	s_mul_hi_u32 s5, s6, s24
	s_add_i32 s5, s5, s6
	s_lshr_b32 s5, s5, s25
	s_mul_i32 s16, s5, s26
	s_sub_i32 s16, s6, s16
	s_mul_hi_u32 s17, s16, s27
	s_add_i32 s17, s16, s17
	s_lshr_b32 s21, s17, s28
	s_mul_i32 s17, s21, s29
	s_sub_i32 s16, s16, s17
	;; [unrolled: 5-line block ×3, first 2 shown]
	s_mul_hi_u32 s16, s15, s12
	s_add_i32 s15, s15, s16
	s_lshr_b32 s23, s15, s13
	s_lshl_b32 s15, s23, 3
	s_add_i32 s15, s15, s3
	s_cmp_lt_i32 s15, s8
	s_cselect_b64 s[16:17], -1, 0
	s_add_i32 s15, s20, s4
	s_cmp_lt_i32 s15, s10
	s_cselect_b64 s[18:19], -1, 0
	s_and_b64 s[16:17], s[16:17], s[18:19]
	s_andn2_b64 vcc, exec, s[16:17]
	s_cbranch_vccnz .LBB64_23
; %bb.8:
	s_load_dwordx4 s[16:19], s[0:1], 0x0
	s_mov_b32 s0, 0
	s_lshl_b32 s24, s22, 5
	s_mov_b32 s25, s0
	s_add_i32 s15, s3, s4
	s_waitcnt lgkmcnt(0)
	v_mov_b32_e32 v2, s16
	v_mov_b32_e32 v3, s17
	s_lshl_b64 s[16:17], s[24:25], 2
	s_add_u32 s16, s18, s16
	s_mul_i32 s1, s5, s8
	s_addc_u32 s17, s19, s17
	s_add_i32 s1, s1, s3
	s_mul_i32 s1, s1, s9
	s_mul_i32 s21, s21, s10
	s_add_i32 s1, s1, s4
	s_add_i32 s1, s1, s21
	s_mul_i32 s5, s9, s23
	s_add_i32 s1, s1, s20
	s_lshl_b32 s5, s5, 9
	s_lshl_b32 s1, s1, 6
	s_add_i32 s5, s5, s1
	v_or_b32_e32 v4, s5, v0
	v_ashrrev_i32_e32 v5, 31, v4
	v_lshl_add_u64 v[2:3], v[4:5], 2, v[2:3]
	global_load_dword v1, v[2:3], off
	v_cvt_f32_u32_e32 v4, s22
	s_lshl_b32 s1, s2, 3
	s_add_i32 s4, s1, s15
	s_ashr_i32 s5, s4, 31
	s_lshl_b64 s[4:5], s[4:5], 3
	v_rcp_iflag_f32_e32 v4, v4
	s_add_u32 s4, s18, s4
	s_addc_u32 s5, s19, s5
	s_load_dwordx2 s[4:5], s[4:5], 0x0
	v_mul_f32_e32 v4, 0x4f7ffffe, v4
	v_cvt_u32_f32_e32 v7, v4
	s_add_i32 s24, s2, -1
	v_lshl_or_b32 v6, s15, 6, v0
	s_waitcnt lgkmcnt(0)
	v_mov_b32_e32 v0, s5
	v_mov_b32_e32 v9, s4
	s_mov_b32 s10, 0x3fb8aa3b
	s_mov_b32 s20, 0xc2ce8ed0
	;; [unrolled: 1-line block ×4, first 2 shown]
	v_mov_b32_e32 v8, 0x7f800000
	s_mul_hi_i32 s1, s24, s11
	s_cmp_lg_u64 s[0:1], 0
	s_mul_i32 s8, s24, s11
	s_cbranch_scc0 .LBB64_19
.LBB64_9:
	s_add_u32 s2, s22, 0
	s_addc_u32 s3, 0, 0
	s_xor_b64 s[2:3], s[2:3], 0
	v_cvt_f32_u32_e32 v4, s2
	v_cvt_f32_u32_e32 v5, s3
	s_sub_u32 s9, 0, s2
	s_subb_u32 s25, 0, s3
	v_fmac_f32_e32 v4, 0x4f800000, v5
	v_rcp_f32_e32 v4, v4
	s_nop 0
	v_mul_f32_e32 v4, 0x5f7ffffc, v4
	v_mul_f32_e32 v5, 0x2f800000, v4
	v_trunc_f32_e32 v5, v5
	v_fmac_f32_e32 v4, 0xcf800000, v5
	v_cvt_u32_f32_e32 v5, v5
	v_cvt_u32_f32_e32 v4, v4
	v_readfirstlane_b32 s26, v5
	v_readfirstlane_b32 s4, v4
	s_mul_i32 s5, s9, s26
	s_mul_hi_u32 s28, s9, s4
	s_mul_i32 s27, s25, s4
	s_add_i32 s5, s28, s5
	s_mul_i32 s29, s9, s4
	s_add_i32 s5, s5, s27
	s_mul_i32 s28, s4, s5
	s_mul_hi_u32 s30, s4, s29
	s_mul_hi_u32 s27, s4, s5
	s_add_u32 s28, s30, s28
	s_addc_u32 s27, 0, s27
	s_mul_hi_u32 s31, s26, s29
	s_mul_i32 s29, s26, s29
	s_add_u32 s28, s28, s29
	s_mul_hi_u32 s30, s26, s5
	s_addc_u32 s27, s27, s31
	s_addc_u32 s28, s30, 0
	s_mul_i32 s5, s26, s5
	s_add_u32 s5, s27, s5
	s_addc_u32 s27, 0, s28
	s_add_u32 s28, s4, s5
	s_cselect_b64 s[4:5], -1, 0
	s_cmp_lg_u64 s[4:5], 0
	s_addc_u32 s26, s26, s27
	s_mul_i32 s4, s9, s26
	s_mul_hi_u32 s5, s9, s28
	s_add_i32 s4, s5, s4
	s_mul_i32 s25, s25, s28
	s_add_i32 s4, s4, s25
	s_mul_i32 s9, s9, s28
	s_mul_hi_u32 s25, s26, s9
	s_mul_i32 s27, s26, s9
	s_mul_i32 s30, s28, s4
	s_mul_hi_u32 s9, s28, s9
	s_mul_hi_u32 s29, s28, s4
	s_add_u32 s9, s9, s30
	s_addc_u32 s29, 0, s29
	s_add_u32 s9, s9, s27
	s_mul_hi_u32 s5, s26, s4
	s_addc_u32 s9, s29, s25
	s_addc_u32 s5, s5, 0
	s_mul_i32 s4, s26, s4
	s_add_u32 s4, s9, s4
	s_addc_u32 s9, 0, s5
	s_add_u32 s25, s28, s4
	s_cselect_b64 s[4:5], -1, 0
	s_cmp_lg_u64 s[4:5], 0
	s_addc_u32 s9, s26, s9
	s_ashr_i32 s4, s1, 31
	s_add_u32 s26, s8, s4
	s_mov_b32 s5, s4
	s_addc_u32 s27, s1, s4
	s_xor_b64 s[26:27], s[26:27], s[4:5]
	s_mul_i32 s28, s26, s9
	s_mul_hi_u32 s29, s26, s25
	s_mul_hi_u32 s1, s26, s9
	s_add_u32 s28, s29, s28
	s_addc_u32 s1, 0, s1
	s_mul_hi_u32 s30, s27, s25
	s_mul_i32 s25, s27, s25
	s_add_u32 s25, s28, s25
	s_mul_hi_u32 s29, s27, s9
	s_addc_u32 s1, s1, s30
	s_addc_u32 s25, s29, 0
	s_mul_i32 s9, s27, s9
	s_add_u32 s1, s1, s9
	s_addc_u32 s9, 0, s25
	s_mul_i32 s25, s2, s9
	s_mul_hi_u32 s28, s2, s1
	s_add_i32 s25, s28, s25
	s_mul_i32 s28, s3, s1
	s_add_i32 s25, s25, s28
	s_sub_i32 s30, s27, s25
	s_mul_i32 s28, s2, s1
	s_sub_u32 s26, s26, s28
	s_cselect_b64 s[28:29], -1, 0
	s_cmp_lg_u64 s[28:29], 0
	s_subb_u32 s33, s30, s3
	s_sub_u32 s34, s26, s2
	s_cselect_b64 s[30:31], -1, 0
	s_cmp_lg_u64 s[30:31], 0
	s_subb_u32 s30, s33, 0
	s_cmp_ge_u32 s30, s3
	s_cselect_b32 s31, -1, 0
	s_cmp_ge_u32 s34, s2
	s_cselect_b32 s33, -1, 0
	s_cmp_eq_u32 s30, s3
	s_cselect_b32 s30, s33, s31
	s_add_u32 s31, s1, 1
	s_addc_u32 s33, s9, 0
	s_add_u32 s34, s1, 2
	s_addc_u32 s35, s9, 0
	s_cmp_lg_u32 s30, 0
	s_cselect_b32 s30, s34, s31
	s_cselect_b32 s31, s35, s33
	s_cmp_lg_u64 s[28:29], 0
	s_subb_u32 s25, s27, s25
	s_cmp_ge_u32 s25, s3
	s_cselect_b32 s27, -1, 0
	s_cmp_ge_u32 s26, s2
	s_cselect_b32 s2, -1, 0
	s_cmp_eq_u32 s25, s3
	s_cselect_b32 s2, s2, s27
	s_cmp_lg_u32 s2, 0
	s_cselect_b32 s3, s31, s9
	s_cselect_b32 s2, s30, s1
	s_xor_b64 s[4:5], s[4:5], 0
	s_xor_b64 s[2:3], s[2:3], s[4:5]
	s_sub_u32 s4, s2, s4
	s_cbranch_execnz .LBB64_11
.LBB64_10:
	s_sub_i32 s1, 0, s22
	v_readfirstlane_b32 s2, v7
	s_mul_i32 s1, s1, s2
	s_mul_hi_u32 s1, s2, s1
	s_add_i32 s2, s2, s1
	s_mul_hi_u32 s1, s8, s2
	s_mul_i32 s3, s1, s22
	s_sub_i32 s3, s8, s3
	s_add_i32 s2, s1, 1
	s_sub_i32 s4, s3, s22
	s_cmp_ge_u32 s3, s22
	s_cselect_b32 s1, s2, s1
	s_cselect_b32 s3, s4, s3
	s_add_i32 s2, s1, 1
	s_cmp_ge_u32 s3, s22
	s_cselect_b32 s4, s2, s1
.LBB64_11:
	s_cmp_lg_u32 s6, s4
	s_cbranch_scc0 .LBB64_15
; %bb.12:
	s_add_i32 s1, s24, s22
	s_lshl_b32 s1, s1, 3
	s_add_i32 s2, s1, s15
	s_mov_b32 s3, s0
	s_lshl_b64 s[2:3], s[2:3], 3
	s_add_u32 s8, s18, s2
	s_mul_hi_u32 s1, s4, s12
	s_addc_u32 s9, s19, s3
	s_add_i32 s1, s1, s4
	s_lshr_b32 s1, s1, s13
	s_mul_i32 s2, s1, s14
	s_cmp_eq_u32 s2, s4
	s_cselect_b64 s[2:3], -1, 0
	s_cmp_lt_u32 s1, s7
	s_cselect_b64 s[26:27], -1, 0
	s_or_b64 s[26:27], s[26:27], s[2:3]
	s_mov_b64 s[2:3], -1
	s_and_b64 vcc, exec, s[26:27]
	s_mov_b32 s1, s24
	s_mov_b32 s25, s6
	s_cbranch_vccnz .LBB64_14
; %bb.13:
	s_add_i32 s1, s24, -1
	s_mov_b64 s[2:3], 0
	s_mov_b32 s25, s4
.LBB64_14:
	v_lshl_add_u32 v4, s24, 9, v6
	v_ashrrev_i32_e32 v5, 31, v4
	v_lshl_add_u64 v[4:5], v[4:5], 2, s[16:17]
	global_load_dword v5, v[4:5], off
	s_load_dwordx2 s[4:5], s[8:9], 0x0
	v_max_f32_e32 v4, v9, v9
	s_waitcnt lgkmcnt(0)
	v_max_f32_e64 v10, s4, s4
	v_max_f32_e32 v10, v4, v10
	v_sub_f32_e32 v11, v9, v10
	v_sub_f32_e32 v13, s4, v10
	v_mul_f32_e32 v4, 0x3fb8aa3b, v11
	v_mul_f32_e32 v12, 0x3fb8aa3b, v13
	v_fma_f32 v14, v11, s10, -v4
	v_rndne_f32_e32 v15, v4
	v_fma_f32 v16, v13, s10, -v12
	v_rndne_f32_e32 v17, v12
	v_fmac_f32_e32 v14, 0x32a5705f, v11
	v_sub_f32_e32 v4, v4, v15
	v_fmac_f32_e32 v16, 0x32a5705f, v13
	v_sub_f32_e32 v12, v12, v17
	v_add_f32_e32 v4, v4, v14
	v_cvt_i32_f32_e32 v15, v15
	v_add_f32_e32 v12, v12, v16
	v_exp_f32_e32 v14, v4
	v_cvt_i32_f32_e32 v17, v17
	v_exp_f32_e32 v12, v12
	v_cmp_ngt_f32_e32 vcc, s20, v11
	v_ldexp_f32 v14, v14, v15
	v_mov_b32_e32 v4, s5
	v_ldexp_f32 v12, v12, v17
	v_cndmask_b32_e32 v14, 0, v14, vcc
	v_cmp_ngt_f32_e32 vcc, s20, v13
	s_nop 1
	v_cndmask_b32_e32 v12, 0, v12, vcc
	v_cmp_nlt_f32_e32 vcc, s21, v11
	s_nop 1
	v_cndmask_b32_e32 v14, v8, v14, vcc
	v_cmp_nlt_f32_e32 vcc, s21, v13
	s_nop 1
	v_cndmask_b32_e32 v15, v8, v12, vcc
	v_cmp_le_f32_e32 vcc, s23, v11
	s_nop 1
	v_cndmask_b32_e32 v12, 0, v14, vcc
	v_cmp_le_f32_e32 vcc, s23, v13
	s_nop 1
	v_cndmask_b32_e32 v14, 0, v15, vcc
	s_waitcnt vmcnt(0)
	v_pk_mul_f32 v[4:5], v[4:5], v[14:15] op_sel_hi:[1,0]
	s_nop 0
	v_pk_fma_f32 v[4:5], v[0:1], v[12:13], v[4:5] op_sel_hi:[1,0,1]
	s_cbranch_execz .LBB64_16
	s_branch .LBB64_17
.LBB64_15:
                                        ; implicit-def: $vgpr4_vgpr5
                                        ; implicit-def: $sgpr2_sgpr3
                                        ; implicit-def: $vgpr10
                                        ; implicit-def: $sgpr1
                                        ; implicit-def: $sgpr25
.LBB64_16:
	s_add_i32 s1, s24, -1
	s_mov_b64 s[2:3], 0
	s_mov_b32 s25, s6
	v_mov_b32_e32 v10, v9
	s_waitcnt vmcnt(0)
	v_mov_b64_e32 v[4:5], v[0:1]
.LBB64_17:
	s_andn2_b64 vcc, exec, s[2:3]
	s_cbranch_vccz .LBB64_22
; %bb.18:
	s_mov_b32 s6, s25
	s_mov_b32 s24, s1
	v_mov_b32_e32 v9, v10
	s_waitcnt vmcnt(0)
	v_mov_b64_e32 v[0:1], v[4:5]
	s_mul_hi_i32 s1, s24, s11
	s_cmp_lg_u64 s[0:1], 0
	s_mul_i32 s8, s24, s11
	s_cbranch_scc1 .LBB64_9
.LBB64_19:
                                        ; implicit-def: $sgpr4_sgpr5
	s_branch .LBB64_10
.LBB64_20:
                                        ; implicit-def: $sgpr6_sgpr7
	s_load_dwordx4 s[12:15], s[0:1], 0x44
	s_branch .LBB64_2
.LBB64_21:
                                        ; implicit-def: $sgpr18_sgpr19
	s_branch .LBB64_5
.LBB64_22:
	v_div_scale_f32 v0, s[0:1], v4, v4, v5
	s_waitcnt vmcnt(0)
	v_rcp_f32_e32 v1, v0
	v_div_scale_f32 v6, vcc, v5, v4, v5
	v_fma_f32 v7, -v0, v1, 1.0
	v_fmac_f32_e32 v1, v7, v1
	v_mul_f32_e32 v7, v6, v1
	v_fma_f32 v8, -v0, v7, v6
	v_fmac_f32_e32 v7, v8, v1
	v_fma_f32 v0, -v0, v7, v6
	v_div_fmas_f32 v0, v0, v1, v7
	v_div_fixup_f32 v0, v0, v4, v5
	global_store_dword v[2:3], v0, off
.LBB64_23:
	s_endpgm
	.section	.rodata,"a",@progbits
	.p2align	6, 0x0
	.amdhsa_kernel _ZL33flash_attn_stream_k_fixup_generalILi64ELi8ELi1EEvPfPK15HIP_vector_typeIfLj2EEiiiiS1_IjLj3EES5_S5_S5_
		.amdhsa_group_segment_fixed_size 0
		.amdhsa_private_segment_fixed_size 0
		.amdhsa_kernarg_size 336
		.amdhsa_user_sgpr_count 2
		.amdhsa_user_sgpr_dispatch_ptr 0
		.amdhsa_user_sgpr_queue_ptr 0
		.amdhsa_user_sgpr_kernarg_segment_ptr 1
		.amdhsa_user_sgpr_dispatch_id 0
		.amdhsa_user_sgpr_kernarg_preload_length 0
		.amdhsa_user_sgpr_kernarg_preload_offset 0
		.amdhsa_user_sgpr_private_segment_size 0
		.amdhsa_uses_dynamic_stack 0
		.amdhsa_enable_private_segment 0
		.amdhsa_system_sgpr_workgroup_id_x 1
		.amdhsa_system_sgpr_workgroup_id_y 1
		.amdhsa_system_sgpr_workgroup_id_z 1
		.amdhsa_system_sgpr_workgroup_info 0
		.amdhsa_system_vgpr_workitem_id 0
		.amdhsa_next_free_vgpr 18
		.amdhsa_next_free_sgpr 36
		.amdhsa_accum_offset 20
		.amdhsa_reserve_vcc 1
		.amdhsa_float_round_mode_32 0
		.amdhsa_float_round_mode_16_64 0
		.amdhsa_float_denorm_mode_32 3
		.amdhsa_float_denorm_mode_16_64 3
		.amdhsa_dx10_clamp 1
		.amdhsa_ieee_mode 1
		.amdhsa_fp16_overflow 0
		.amdhsa_tg_split 0
		.amdhsa_exception_fp_ieee_invalid_op 0
		.amdhsa_exception_fp_denorm_src 0
		.amdhsa_exception_fp_ieee_div_zero 0
		.amdhsa_exception_fp_ieee_overflow 0
		.amdhsa_exception_fp_ieee_underflow 0
		.amdhsa_exception_fp_ieee_inexact 0
		.amdhsa_exception_int_div_zero 0
	.end_amdhsa_kernel
	.section	.text._ZL33flash_attn_stream_k_fixup_generalILi64ELi8ELi1EEvPfPK15HIP_vector_typeIfLj2EEiiiiS1_IjLj3EES5_S5_S5_,"axG",@progbits,_ZL33flash_attn_stream_k_fixup_generalILi64ELi8ELi1EEvPfPK15HIP_vector_typeIfLj2EEiiiiS1_IjLj3EES5_S5_S5_,comdat
.Lfunc_end64:
	.size	_ZL33flash_attn_stream_k_fixup_generalILi64ELi8ELi1EEvPfPK15HIP_vector_typeIfLj2EEiiiiS1_IjLj3EES5_S5_S5_, .Lfunc_end64-_ZL33flash_attn_stream_k_fixup_generalILi64ELi8ELi1EEvPfPK15HIP_vector_typeIfLj2EEiiiiS1_IjLj3EES5_S5_S5_
                                        ; -- End function
	.set _ZL33flash_attn_stream_k_fixup_generalILi64ELi8ELi1EEvPfPK15HIP_vector_typeIfLj2EEiiiiS1_IjLj3EES5_S5_S5_.num_vgpr, 18
	.set _ZL33flash_attn_stream_k_fixup_generalILi64ELi8ELi1EEvPfPK15HIP_vector_typeIfLj2EEiiiiS1_IjLj3EES5_S5_S5_.num_agpr, 0
	.set _ZL33flash_attn_stream_k_fixup_generalILi64ELi8ELi1EEvPfPK15HIP_vector_typeIfLj2EEiiiiS1_IjLj3EES5_S5_S5_.numbered_sgpr, 36
	.set _ZL33flash_attn_stream_k_fixup_generalILi64ELi8ELi1EEvPfPK15HIP_vector_typeIfLj2EEiiiiS1_IjLj3EES5_S5_S5_.num_named_barrier, 0
	.set _ZL33flash_attn_stream_k_fixup_generalILi64ELi8ELi1EEvPfPK15HIP_vector_typeIfLj2EEiiiiS1_IjLj3EES5_S5_S5_.private_seg_size, 0
	.set _ZL33flash_attn_stream_k_fixup_generalILi64ELi8ELi1EEvPfPK15HIP_vector_typeIfLj2EEiiiiS1_IjLj3EES5_S5_S5_.uses_vcc, 1
	.set _ZL33flash_attn_stream_k_fixup_generalILi64ELi8ELi1EEvPfPK15HIP_vector_typeIfLj2EEiiiiS1_IjLj3EES5_S5_S5_.uses_flat_scratch, 0
	.set _ZL33flash_attn_stream_k_fixup_generalILi64ELi8ELi1EEvPfPK15HIP_vector_typeIfLj2EEiiiiS1_IjLj3EES5_S5_S5_.has_dyn_sized_stack, 0
	.set _ZL33flash_attn_stream_k_fixup_generalILi64ELi8ELi1EEvPfPK15HIP_vector_typeIfLj2EEiiiiS1_IjLj3EES5_S5_S5_.has_recursion, 0
	.set _ZL33flash_attn_stream_k_fixup_generalILi64ELi8ELi1EEvPfPK15HIP_vector_typeIfLj2EEiiiiS1_IjLj3EES5_S5_S5_.has_indirect_call, 0
	.section	.AMDGPU.csdata,"",@progbits
; Kernel info:
; codeLenInByte = 2932
; TotalNumSgprs: 42
; NumVgprs: 18
; NumAgprs: 0
; TotalNumVgprs: 18
; ScratchSize: 0
; MemoryBound: 0
; FloatMode: 240
; IeeeMode: 1
; LDSByteSize: 0 bytes/workgroup (compile time only)
; SGPRBlocks: 5
; VGPRBlocks: 2
; NumSGPRsForWavesPerEU: 42
; NumVGPRsForWavesPerEU: 18
; AccumOffset: 20
; Occupancy: 8
; WaveLimiterHint : 0
; COMPUTE_PGM_RSRC2:SCRATCH_EN: 0
; COMPUTE_PGM_RSRC2:USER_SGPR: 2
; COMPUTE_PGM_RSRC2:TRAP_HANDLER: 0
; COMPUTE_PGM_RSRC2:TGID_X_EN: 1
; COMPUTE_PGM_RSRC2:TGID_Y_EN: 1
; COMPUTE_PGM_RSRC2:TGID_Z_EN: 1
; COMPUTE_PGM_RSRC2:TIDIG_COMP_CNT: 0
; COMPUTE_PGM_RSRC3_GFX90A:ACCUM_OFFSET: 4
; COMPUTE_PGM_RSRC3_GFX90A:TG_SPLIT: 0
	.section	.text._ZL15flash_attn_tileILi64ELi64ELi4ELi1ELb0EEvPKcS1_S1_S1_S1_PKiPfP15HIP_vector_typeIfLj2EEffffjfiS5_IjLj3EEiiiiiiiiiiiliiliiiiil,"axG",@progbits,_ZL15flash_attn_tileILi64ELi64ELi4ELi1ELb0EEvPKcS1_S1_S1_S1_PKiPfP15HIP_vector_typeIfLj2EEffffjfiS5_IjLj3EEiiiiiiiiiiiliiliiiiil,comdat
	.globl	_ZL15flash_attn_tileILi64ELi64ELi4ELi1ELb0EEvPKcS1_S1_S1_S1_PKiPfP15HIP_vector_typeIfLj2EEffffjfiS5_IjLj3EEiiiiiiiiiiiliiliiiiil ; -- Begin function _ZL15flash_attn_tileILi64ELi64ELi4ELi1ELb0EEvPKcS1_S1_S1_S1_PKiPfP15HIP_vector_typeIfLj2EEffffjfiS5_IjLj3EEiiiiiiiiiiiliiliiiiil
	.p2align	8
	.type	_ZL15flash_attn_tileILi64ELi64ELi4ELi1ELb0EEvPKcS1_S1_S1_S1_PKiPfP15HIP_vector_typeIfLj2EEffffjfiS5_IjLj3EEiiiiiiiiiiiliiliiiiil,@function
_ZL15flash_attn_tileILi64ELi64ELi4ELi1ELb0EEvPKcS1_S1_S1_S1_PKiPfP15HIP_vector_typeIfLj2EEffffjfiS5_IjLj3EEiiiiiiiiiiiliiliiiiil: ; @_ZL15flash_attn_tileILi64ELi64ELi4ELi1ELb0EEvPKcS1_S1_S1_S1_PKiPfP15HIP_vector_typeIfLj2EEffffjfiS5_IjLj3EEiiiiiiiiiiiliiliiiiil
; %bb.0:
	s_load_dwordx4 s[24:27], s[0:1], 0x5c
	s_load_dwordx2 s[38:39], s[0:1], 0x80
	s_load_dwordx2 s[40:41], s[0:1], 0xb8
	s_mov_b64 s[36:37], 0
	s_waitcnt lgkmcnt(0)
	v_cvt_f32_u32_e32 v1, s27
	s_sub_i32 s5, 0, s27
	v_rcp_iflag_f32_e32 v1, v1
	s_nop 0
	v_mul_f32_e32 v1, 0x4f7ffffe, v1
	v_cvt_u32_f32_e32 v1, v1
	s_nop 0
	v_readfirstlane_b32 s6, v1
	s_mul_i32 s5, s5, s6
	s_mul_hi_u32 s5, s6, s5
	s_add_i32 s6, s6, s5
	s_mul_hi_u32 s5, s4, s6
	s_mul_i32 s6, s5, s27
	s_sub_i32 s6, s4, s6
	s_add_i32 s7, s5, 1
	s_sub_i32 s8, s6, s27
	s_cmp_ge_u32 s6, s27
	s_cselect_b32 s5, s7, s5
	s_cselect_b32 s6, s8, s6
	s_add_i32 s7, s5, 1
	s_cmp_ge_u32 s6, s27
	s_cselect_b32 s33, s7, s5
	s_abs_i32 s5, s39
	v_cvt_f32_u32_e32 v1, s5
	s_mul_i32 s8, s33, s27
	s_sub_i32 s9, 0, s5
	s_sub_i32 s34, s4, s8
	v_rcp_iflag_f32_e32 v1, v1
	s_abs_i32 s7, s27
	s_xor_b32 s6, s27, s39
	s_ashr_i32 s6, s6, 31
	v_mul_f32_e32 v1, 0x4f7ffffe, v1
	v_cvt_u32_f32_e32 v1, v1
	s_nop 0
	v_readfirstlane_b32 s4, v1
	s_mul_i32 s9, s9, s4
	s_mul_hi_u32 s8, s4, s9
	s_add_i32 s4, s4, s8
	s_mul_hi_u32 s4, s7, s4
	s_mul_i32 s8, s4, s5
	s_sub_i32 s7, s7, s8
	s_add_i32 s9, s4, 1
	s_sub_i32 s8, s7, s5
	s_cmp_ge_u32 s7, s5
	s_cselect_b32 s4, s9, s4
	s_cselect_b32 s7, s8, s7
	s_add_i32 s8, s4, 1
	s_cmp_ge_u32 s7, s5
	s_cselect_b32 s4, s8, s4
	s_xor_b32 s4, s4, s6
	s_sub_i32 s43, s4, s6
	s_abs_i32 s39, s43
	v_cvt_f32_u32_e32 v1, s39
	s_load_dwordx16 s[8:23], s[0:1], 0x0
	s_sub_i32 s4, 0, s39
	s_abs_i32 s42, s34
	v_rcp_iflag_f32_e32 v1, v1
	s_nop 0
	v_mul_f32_e32 v1, 0x4f7ffffe, v1
	v_cvt_u32_f32_e32 v1, v1
	s_nop 0
	v_readfirstlane_b32 s5, v1
	s_mul_i32 s4, s4, s5
	s_mul_hi_u32 s4, s5, s4
	s_add_i32 s4, s5, s4
	s_waitcnt lgkmcnt(0)
	s_cmp_eq_u64 s[14:15], 0
	s_cbranch_scc1 .LBB65_2
; %bb.1:
	s_abs_i32 s5, s40
	v_cvt_f32_u32_e32 v1, s5
	s_sub_i32 s30, 0, s5
	s_abs_i32 s29, s33
	s_ashr_i32 s28, s33, 31
	v_rcp_iflag_f32_e32 v1, v1
	s_load_dwordx2 s[6:7], s[0:1], 0xc8
	v_mul_f32_e32 v1, 0x4f7ffffe, v1
	v_cvt_u32_f32_e32 v1, v1
	s_nop 0
	v_readfirstlane_b32 s31, v1
	s_mul_i32 s30, s30, s31
	s_mul_hi_u32 s30, s31, s30
	s_add_i32 s31, s31, s30
	s_mul_hi_u32 s30, s29, s31
	s_mul_i32 s30, s30, s5
	s_sub_i32 s29, s29, s30
	s_sub_i32 s30, s29, s5
	s_cmp_ge_u32 s29, s5
	s_cselect_b32 s29, s30, s29
	s_sub_i32 s30, s29, s5
	s_cmp_ge_u32 s29, s5
	s_cselect_b32 s5, s30, s29
	s_xor_b32 s5, s5, s28
	s_sub_i32 s5, s5, s28
	s_ashr_i32 s28, s5, 31
	s_waitcnt lgkmcnt(0)
	s_mul_hi_u32 s29, s6, s5
	s_mul_i32 s28, s6, s28
	s_mul_i32 s7, s7, s5
	s_add_i32 s28, s29, s28
	s_add_i32 s28, s28, s7
	s_mul_i32 s5, s6, s5
	s_add_u32 s36, s14, s5
	s_addc_u32 s37, s15, s28
.LBB65_2:
	s_load_dwordx4 s[28:31], s[0:1], 0x40
	s_mul_hi_u32 s15, s42, s4
	s_load_dword s4, s[0:1], 0x50
	v_mov_b32_e32 v27, 1.0
	s_waitcnt lgkmcnt(0)
	v_cmp_le_f32_e64 s[6:7], s29, 0
	s_and_b64 vcc, exec, s[6:7]
	s_cbranch_vccnz .LBB65_4
; %bb.3:
	v_mov_b32_e32 v1, s4
	v_sub_co_u32_e32 v1, vcc, s34, v1
	v_mov_b32_e32 v2, s31
	v_mov_b32_e32 v3, s30
	s_add_i32 s4, s34, 1
	v_lshlrev_b32_e32 v1, 1, v1
	v_cndmask_b32_e32 v2, v2, v3, vcc
	v_or_b32_e32 v1, 1, v1
	v_mov_b32_e32 v3, s4
	v_cndmask_b32_e32 v1, v1, v3, vcc
	v_cvt_f32_i32_e32 v1, v1
	v_cmp_neq_f32_e32 vcc, 1.0, v2
	s_mov_b32 s4, 0x3f2aaaab
	s_movk_i32 s6, 0x204
	v_cndmask_b32_e32 v1, 1.0, v1, vcc
	v_cmp_neq_f32_e32 vcc, 0, v1
	s_mov_b32 s5, 0x42b17218
	s_mov_b32 s7, 0x3fb8aa3b
	v_cndmask_b32_e32 v18, 1.0, v2, vcc
	v_frexp_mant_f32_e64 v2, |v18|
	v_cmp_gt_f32_e32 vcc, s4, v2
	s_mov_b32 s4, 0x3f317218
	s_brev_b32 s14, -2
	v_cndmask_b32_e64 v3, 1.0, 2.0, vcc
	v_mul_f32_e32 v2, v2, v3
	v_add_f32_e32 v5, 1.0, v2
	v_rcp_f32_e32 v10, v5
	v_add_f32_e32 v3, -1.0, v5
	v_sub_f32_e32 v7, v2, v3
	v_add_f32_e32 v3, -1.0, v2
	v_mul_f32_e32 v11, v3, v10
	v_mul_f32_e32 v4, v5, v11
	v_fma_f32 v6, v11, v5, -v4
	v_fmac_f32_e32 v6, v11, v7
	v_add_f32_e32 v2, v4, v6
	v_sub_f32_e32 v5, v3, v2
	v_pk_add_f32 v[8:9], v[2:3], v[4:5] neg_lo:[0,1] neg_hi:[0,1]
	v_mov_b32_e32 v7, v2
	v_pk_add_f32 v[2:3], v[8:9], v[6:7] neg_lo:[0,1] neg_hi:[0,1]
	v_mov_b32_e32 v6, 0x3e91f4c4
	v_add_f32_e32 v2, v2, v3
	v_add_f32_e32 v2, v5, v2
	v_mul_f32_e32 v3, v10, v2
	v_add_f32_e32 v2, v11, v3
	v_sub_f32_e32 v4, v2, v11
	v_sub_f32_e32 v12, v3, v4
	v_mul_f32_e32 v3, v2, v2
	v_fma_f32 v5, v2, v2, -v3
	v_add_f32_e32 v4, v12, v12
	v_fmac_f32_e32 v5, v2, v4
	v_add_f32_e32 v4, v3, v5
	v_fmac_f32_e32 v6, 0x3e76c4e1, v4
	v_fmaak_f32 v6, v4, v6, 0x3ecccdef
	v_sub_f32_e32 v3, v4, v3
	v_sub_f32_e32 v13, v5, v3
	v_mul_f32_e32 v3, v4, v6
	v_fma_f32 v5, v4, v6, -v3
	v_fmac_f32_e32 v5, v13, v6
	v_add_f32_e32 v6, v3, v5
	v_add_f32_e32 v7, 0x3f2aaaaa, v6
	v_sub_f32_e32 v3, v6, v3
	v_sub_f32_e32 v3, v5, v3
	v_add_f32_e32 v5, 0xbf2aaaaa, v7
	v_add_f32_e32 v3, 0x31739010, v3
	v_sub_f32_e32 v5, v6, v5
	v_pk_mul_f32 v[8:9], v[2:3], v[4:5]
	v_pk_add_f32 v[10:11], v[2:3], v[4:5]
	v_fma_f32 v6, v4, v2, -v8
	v_fmac_f32_e32 v6, v4, v12
	v_mov_b32_e32 v9, v11
	v_fmac_f32_e32 v6, v13, v2
	v_pk_add_f32 v[4:5], v[8:9], v[6:7]
	v_ldexp_f32 v14, v12, 1
	v_sub_f32_e32 v3, v4, v8
	v_sub_f32_e32 v3, v6, v3
	;; [unrolled: 1-line block ×3, first 2 shown]
	v_add_f32_e32 v9, v11, v6
	v_pk_mul_f32 v[6:7], v[4:5], v[4:5] op_sel:[0,1] op_sel_hi:[1,0]
	v_cvt_f64_f32_e64 v[10:11], |v18|
	v_frexp_exp_i32_f64_e32 v7, v[10:11]
	v_subbrev_co_u32_e32 v7, vcc, 0, v7, vcc
	v_cvt_f32_i32_e32 v7, v7
	v_fma_f32 v8, v4, v5, -v6
	v_fmac_f32_e32 v8, v4, v9
	v_fmac_f32_e32 v8, v3, v5
	v_mul_f32_e32 v4, 0x3f317218, v7
	v_fma_f32 v3, v7, s4, -v4
	v_fmamk_f32 v10, v7, 0xb102e308, v3
	v_ldexp_f32 v11, v2, 1
	v_add_f32_e32 v5, v6, v8
	v_pk_add_f32 v[2:3], v[4:5], v[10:11]
	v_mov_b32_e32 v12, v5
	v_mov_b32_e32 v13, v3
	;; [unrolled: 1-line block ×3, first 2 shown]
	v_pk_add_f32 v[6:7], v[12:13], v[6:7] neg_lo:[0,1] neg_hi:[0,1]
	v_mov_b32_e32 v9, v5
	v_pk_add_f32 v[6:7], v[8:9], v[6:7] neg_lo:[0,1] neg_hi:[0,1]
	v_mov_b32_e32 v11, v2
	v_add_f32_e32 v5, v14, v6
	v_add_f32_e32 v5, v5, v7
	v_pk_add_f32 v[6:7], v[2:3], v[4:5] neg_lo:[0,1] neg_hi:[0,1]
	v_pk_add_f32 v[8:9], v[2:3], v[4:5]
	v_mov_b32_e32 v16, v3
	v_mov_b32_e32 v7, v9
	v_pk_add_f32 v[12:13], v[10:11], v[6:7] neg_lo:[0,1] neg_hi:[0,1]
	v_pk_add_f32 v[6:7], v[10:11], v[6:7]
	v_mov_b32_e32 v4, v5
	v_pk_add_f32 v[10:11], v[6:7], v[2:3] op_sel:[1,0] op_sel_hi:[0,1] neg_lo:[0,1] neg_hi:[0,1]
	v_pk_add_f32 v[14:15], v[8:9], v[10:11] op_sel_hi:[1,0] neg_lo:[0,1] neg_hi:[0,1]
	v_mov_b32_e32 v8, v9
	v_mov_b32_e32 v9, v7
	;; [unrolled: 1-line block ×3, first 2 shown]
	v_pk_add_f32 v[8:9], v[8:9], v[16:17] neg_lo:[0,1] neg_hi:[0,1]
	v_mov_b32_e32 v5, v2
	v_pk_add_f32 v[2:3], v[4:5], v[8:9] neg_lo:[0,1] neg_hi:[0,1]
	v_mov_b32_e32 v14, v12
	v_pk_add_f32 v[4:5], v[14:15], v[2:3]
	v_mov_b32_e32 v13, v7
	v_pk_add_f32 v[8:9], v[4:5], v[4:5] op_sel:[0,1] op_sel_hi:[1,0]
	s_mov_b32 s4, 0x7f800000
	v_pk_add_f32 v[6:7], v[6:7], v[8:9] op_sel:[1,0] op_sel_hi:[0,1]
	v_mov_b32_e32 v5, v6
	v_pk_add_f32 v[10:11], v[4:5], v[12:13] neg_lo:[0,1] neg_hi:[0,1]
	v_mov_b32_e32 v3, v8
	v_sub_f32_e32 v4, v4, v10
	v_pk_add_f32 v[2:3], v[2:3], v[10:11] neg_lo:[0,1] neg_hi:[0,1]
	v_sub_f32_e32 v4, v12, v4
	v_add_f32_e32 v2, v2, v4
	v_add_f32_e32 v2, v2, v3
	;; [unrolled: 1-line block ×3, first 2 shown]
	v_sub_f32_e32 v4, v3, v6
	v_sub_f32_e32 v2, v2, v4
	v_mul_f32_e32 v4, v1, v3
	v_fma_f32 v3, v1, v3, -v4
	v_fmac_f32_e32 v3, v1, v2
	v_add_f32_e32 v2, v4, v3
	v_cmp_class_f32_e64 vcc, v4, s6
	v_sub_f32_e32 v5, v2, v4
	v_sub_f32_e32 v3, v3, v5
	v_cndmask_b32_e32 v2, v2, v4, vcc
	v_mov_b32_e32 v4, 0x37000000
	v_cmp_eq_f32_e32 vcc, s5, v2
	v_cmp_class_f32_e64 s[30:31], v18, s6
	s_nop 0
	v_cndmask_b32_e32 v4, 0, v4, vcc
	v_sub_f32_e32 v5, v2, v4
	v_mul_f32_e32 v6, 0x3fb8aa3b, v5
	v_fma_f32 v7, v5, s7, -v6
	v_rndne_f32_e32 v8, v6
	v_fmamk_f32 v7, v5, 0x32a5705f, v7
	v_sub_f32_e32 v6, v6, v8
	v_add_f32_e32 v6, v6, v7
	v_exp_f32_e32 v6, v6
	v_cvt_i32_f32_e32 v7, v8
	v_cmp_neq_f32_e64 vcc, |v2|, s4
	s_mov_b32 s4, 0xc2ce8ed0
	s_nop 0
	v_cndmask_b32_e32 v2, 0, v3, vcc
	v_ldexp_f32 v3, v6, v7
	v_cmp_ngt_f32_e32 vcc, s4, v5
	v_add_f32_e32 v2, v4, v2
	v_mov_b32_e32 v4, 0x7f800000
	v_cndmask_b32_e32 v3, 0, v3, vcc
	v_cmp_nlt_f32_e32 vcc, s5, v5
	v_mov_b32_e32 v5, 0x7fc00000
	s_nop 0
	v_cndmask_b32_e32 v3, v4, v3, vcc
	v_fma_f32 v2, v3, v2, v3
	v_cmp_class_f32_e64 vcc, v3, s6
	v_cmp_gt_f32_e64 s[6:7], 0, v1
	s_nop 0
	v_cndmask_b32_e32 v2, v2, v3, vcc
	v_trunc_f32_e32 v3, v1
	v_cmp_eq_f32_e32 vcc, v3, v1
	v_mul_f32_e32 v3, 0.5, v1
	v_trunc_f32_e32 v6, v3
	v_cmp_neq_f32_e64 s[4:5], v6, v3
	s_and_b64 s[4:5], vcc, s[4:5]
	s_nop 0
	v_cndmask_b32_e64 v3, 1.0, v18, s[4:5]
	v_bfi_b32 v2, s14, v2, v3
	v_cndmask_b32_e32 v3, v5, v2, vcc
	v_cmp_gt_f32_e32 vcc, 0, v18
	s_nop 1
	v_cndmask_b32_e32 v2, v2, v3, vcc
	v_cmp_eq_f32_e32 vcc, 0, v18
	s_xor_b64 s[6:7], s[6:7], vcc
	v_cndmask_b32_e64 v1, v4, 0, s[6:7]
	v_cndmask_b32_e64 v3, 0, v18, s[4:5]
	v_bfi_b32 v1, s14, v1, v3
	s_or_b64 vcc, vcc, s[30:31]
	v_cndmask_b32_e32 v1, v2, v1, vcc
	v_cmp_o_f32_e32 vcc, v18, v18
	s_nop 1
	v_cndmask_b32_e32 v27, v5, v1, vcc
.LBB65_4:
	s_load_dwordx4 s[44:47], s[0:1], 0x70
	v_bfe_u32 v30, v0, 10, 10
	s_ashr_i32 s35, s34, 31
	s_ashr_i32 s4, s43, 31
	v_lshl_add_u32 v24, s2, 2, v30
	s_waitcnt lgkmcnt(0)
	s_mul_i32 s5, s33, s46
	s_ashr_i32 s7, s5, 31
	s_mul_i32 s6, s34, s45
	s_add_u32 s5, s8, s5
	v_mul_hi_u32 v1, s24, v24
	s_addc_u32 s7, s9, s7
	s_ashr_i32 s8, s6, 31
	v_add_u32_e32 v1, v24, v1
	s_add_u32 s6, s5, s6
	v_lshrrev_b32_e32 v1, s25, v1
	s_addc_u32 s7, s7, s8
	v_mul_lo_u32 v1, v1, s26
	s_ashr_i32 s45, s44, 31
	v_sub_u32_e32 v29, v24, v1
	s_lshr_b64 s[8:9], s[44:45], 2
	v_mad_u64_u32 v[2:3], s[8:9], s8, v29, 0
	v_mov_b32_e32 v4, v3
	s_lshr_b32 s5, s45, 2
	v_mad_u64_u32 v[4:5], s[8:9], s5, v29, v[4:5]
	v_mov_b32_e32 v3, v4
	v_and_b32_e32 v4, 0x3ff, v0
	v_lshl_add_u64 v[0:1], v[2:3], 2, s[6:7]
	v_lshlrev_b32_e32 v6, 3, v4
	v_mov_b32_e32 v7, 0
	v_lshl_add_u64 v[0:1], v[0:1], 0, v[6:7]
	global_load_dwordx2 v[0:1], v[0:1], off
	v_lshlrev_b32_e32 v25, 7, v30
	v_add_u32_e32 v5, 0x2600, v25
	v_lshl_add_u32 v2, v4, 2, v5
	s_cmp_eq_u64 s[18:19], 0
	s_waitcnt vmcnt(0)
	v_fma_mixlo_f16 v1, s28, v1, 0
	v_fma_mixlo_f16 v0, s28, v0, 0
	v_lshlrev_b32_e32 v1, 16, v1
	v_or_b32_sdwa v0, v1, v0 dst_sel:DWORD dst_unused:UNUSED_PAD src0_sel:DWORD src1_sel:WORD_0
	ds_write_b32 v2, v0
	s_waitcnt lgkmcnt(0)
	s_barrier
	s_cbranch_scc1 .LBB65_6
; %bb.5:
	s_load_dword s5, s[0:1], 0xd0
	s_mov_b32 s7, 0
	s_waitcnt lgkmcnt(0)
	s_mul_i32 s5, s5, s33
	s_add_i32 s6, s5, s2
	s_lshl_b64 s[6:7], s[6:7], 2
	s_add_u32 s6, s18, s6
	s_addc_u32 s7, s19, s7
	s_load_dword s38, s[6:7], 0x0
.LBB65_6:
	s_nop 0
	s_load_dwordx2 s[6:7], s[0:1], 0x8c
	s_load_dwordx4 s[28:31], s[0:1], 0x98
	s_load_dwordx2 s[18:19], s[0:1], 0xa8
	s_ashr_i32 s5, s33, 31
	s_ashr_i32 s14, s41, 1
	s_waitcnt lgkmcnt(0)
	s_ashr_i32 s8, s6, 2
	s_mul_hi_u32 s6, s28, s33
	s_mul_i32 s9, s28, s5
	s_add_i32 s6, s6, s9
	s_mul_i32 s9, s29, s33
	s_ashr_i32 s2, s30, 2
	s_add_i32 s6, s6, s9
	s_mul_i32 s9, s28, s33
	s_add_u32 s9, s10, s9
	s_mul_i32 s10, s15, s39
	s_addc_u32 s6, s11, s6
	s_sub_i32 s10, s42, s10
	s_xor_b32 s4, s35, s4
	s_add_i32 s11, s15, 1
	s_sub_i32 s24, s10, s39
	s_cmp_ge_u32 s10, s39
	s_cselect_b32 s11, s11, s15
	s_cselect_b32 s10, s24, s10
	s_add_i32 s15, s11, 1
	s_cmp_ge_u32 s10, s39
	s_cselect_b32 s10, s15, s11
	s_xor_b32 s10, s10, s4
	s_sub_i32 s4, s10, s4
	s_mul_i32 s7, s4, s7
	s_ashr_i32 s10, s7, 31
	s_add_u32 s9, s9, s7
	s_addc_u32 s10, s6, s10
	s_mul_hi_u32 s6, s18, s33
	s_mul_i32 s5, s18, s5
	s_add_i32 s5, s6, s5
	s_mul_i32 s6, s19, s33
	s_add_i32 s5, s5, s6
	s_mul_i32 s6, s18, s33
	s_add_u32 s6, s12, s6
	s_mul_i32 s4, s4, s31
	s_addc_u32 s5, s13, s5
	s_ashr_i32 s7, s4, 31
	s_add_u32 s18, s6, s4
	s_addc_u32 s19, s5, s7
	s_lshl_b32 s24, s3, 6
	s_sub_i32 s11, s38, 64
	s_cmp_ge_i32 s24, s11
	v_lshrrev_b32_e32 v31, 3, v4
	v_lshlrev_b32_e32 v26, 2, v4
	v_mbcnt_lo_u32_b32 v28, -1, 0
	s_cbranch_scc1 .LBB65_15
; %bb.7:
	v_and_b32_e32 v0, 28, v26
	v_lshl_add_u32 v6, v30, 2, v31
	v_lshlrev_b32_e32 v7, 2, v0
	s_movk_i32 s4, 0x90
	v_mad_u32_u24 v32, v6, s4, v7
	v_mul_lo_u32 v2, s8, v6
	s_lshl_b32 s4, s8, 4
	v_add_u32_e32 v8, s4, v2
	v_add_u32_e32 v10, s4, v8
	s_cmp_lg_u64 s[36:37], 0
	v_mad_u64_u32 v[14:15], s[6:7], v29, s14, v[4:5]
	v_add_u32_e32 v12, s4, v10
	s_cselect_b64 s[4:5], -1, 0
	v_mul_lo_u32 v16, s2, v6
	s_lshl_b32 s6, s2, 4
	v_add_u32_e32 v18, s6, v16
	v_add_u32_e32 v20, s6, v18
	v_mov_b32_e32 v1, 0
	v_add_u32_e32 v37, 0x2400, v25
	v_lshl_or_b32 v39, v6, 7, v7
	v_add_u32_e32 v22, s6, v20
	s_add_u32 s6, s0, 0xd0
	v_cndmask_b32_e64 v6, 0, 1, s[4:5]
	v_ashrrev_i32_e32 v3, 31, v2
	v_add_u32_e32 v33, 0x900, v32
	v_ashrrev_i32_e32 v9, 31, v8
	v_add_u32_e32 v34, 0x1200, v32
	;; [unrolled: 2-line block ×3, first 2 shown]
	v_ashrrev_i32_e32 v13, 31, v12
	v_mul_u32_u24_e32 v36, 0x90, v4
	v_lshl_add_u32 v38, v4, 1, v37
	v_ashrrev_i32_e32 v17, 31, v16
	v_add_u32_e32 v40, 0x800, v39
	v_ashrrev_i32_e32 v19, 31, v18
	v_add_u32_e32 v41, 0x1000, v39
	;; [unrolled: 2-line block ×3, first 2 shown]
	v_ashrrev_i32_e32 v23, 31, v22
	s_addc_u32 s7, s1, 0
	v_mov_b32_e32 v46, 0xfeffffff
	v_lshlrev_b32_e32 v0, 2, v0
	s_mov_b32 s12, 0x3fb8aa3b
	s_mov_b32 s13, 0xc2ce8ed0
	;; [unrolled: 1-line block ×4, first 2 shown]
	v_cmp_ne_u32_e64 s[4:5], 1, v6
	v_mbcnt_hi_u32_b32 v43, -1, v28
	v_mov_b32_e32 v44, 0x7f800000
	v_mov_b32_e32 v15, v1
	;; [unrolled: 1-line block ×3, first 2 shown]
.LBB65_8:                               ; =>This Inner Loop Header: Depth=1
	s_mul_hi_i32 s29, s24, s8
	s_mul_i32 s28, s24, s8
	s_lshl_b64 s[28:29], s[28:29], 2
	s_add_u32 s28, s9, s28
	s_addc_u32 s29, s10, s29
	v_lshl_add_u64 v[6:7], v[2:3], 2, s[28:29]
	v_lshl_add_u64 v[6:7], v[6:7], 0, v[0:1]
	;; [unrolled: 1-line block ×4, first 2 shown]
	global_load_dwordx4 v[48:51], v[6:7], off
	global_load_dwordx4 v[52:55], v[56:57], off
	v_lshl_add_u64 v[6:7], v[10:11], 2, s[28:29]
	v_lshl_add_u64 v[6:7], v[6:7], 0, v[0:1]
	;; [unrolled: 1-line block ×4, first 2 shown]
	global_load_dwordx4 v[56:59], v[6:7], off
	global_load_dwordx4 v[60:63], v[64:65], off
	v_mov_b32_e32 v47, 0
	v_add_u32_e32 v6, s24, v14
	v_ashrrev_i32_e32 v7, 31, v6
	s_and_b64 vcc, exec, s[4:5]
	s_waitcnt vmcnt(3)
	ds_write_b128 v32, v[48:51]
	s_waitcnt vmcnt(2)
	ds_write_b128 v33, v[52:55]
	;; [unrolled: 2-line block ×4, first 2 shown]
	s_waitcnt lgkmcnt(0)
	s_barrier
	ds_read_b128 v[50:53], v36
	ds_read_b128 v[54:57], v5
	v_mov_b32_e32 v48, 0
	ds_read_b128 v[58:61], v36 offset:4608
	s_waitcnt lgkmcnt(1)
	;;#ASMSTART
	v_dot2_f32_f16 v48, v50, v54, v48
	;;#ASMEND
	s_nop 0
	;;#ASMSTART
	v_dot2_f32_f16 v48, v51, v55, v48
	;;#ASMEND
	v_mov_b32_e32 v49, 0
	;;#ASMSTART
	v_dot2_f32_f16 v48, v52, v56, v48
	;;#ASMEND
	s_nop 0
	;;#ASMSTART
	v_dot2_f32_f16 v48, v53, v57, v48
	;;#ASMEND
	s_waitcnt lgkmcnt(0)
	;;#ASMSTART
	v_dot2_f32_f16 v47, v58, v54, v47
	;;#ASMEND
	s_nop 0
	;;#ASMSTART
	v_dot2_f32_f16 v47, v59, v55, v47
	;;#ASMEND
	s_nop 0
	;;#ASMSTART
	v_dot2_f32_f16 v47, v60, v56, v47
	;;#ASMEND
	s_nop 0
	;;#ASMSTART
	v_dot2_f32_f16 v47, v61, v57, v47
	;;#ASMEND
	ds_read_b128 v[50:53], v36 offset:16
	ds_read_b128 v[54:57], v5 offset:16
	ds_read_b128 v[58:61], v36 offset:4624
	s_waitcnt lgkmcnt(1)
	;;#ASMSTART
	v_dot2_f32_f16 v48, v50, v54, v48
	;;#ASMEND
	s_nop 0
	;;#ASMSTART
	v_dot2_f32_f16 v48, v51, v55, v48
	;;#ASMEND
	s_nop 0
	;;#ASMSTART
	v_dot2_f32_f16 v48, v52, v56, v48
	;;#ASMEND
	s_nop 0
	;;#ASMSTART
	v_dot2_f32_f16 v48, v53, v57, v48
	;;#ASMEND
	s_waitcnt lgkmcnt(0)
	;;#ASMSTART
	v_dot2_f32_f16 v47, v58, v54, v47
	;;#ASMEND
	s_nop 0
	;;#ASMSTART
	v_dot2_f32_f16 v47, v59, v55, v47
	;;#ASMEND
	s_nop 0
	;;#ASMSTART
	v_dot2_f32_f16 v47, v60, v56, v47
	;;#ASMEND
	s_nop 0
	;;#ASMSTART
	v_dot2_f32_f16 v47, v61, v57, v47
	;;#ASMEND
	ds_read_b128 v[50:53], v36 offset:32
	ds_read_b128 v[54:57], v5 offset:32
	ds_read_b128 v[58:61], v36 offset:4640
	s_waitcnt lgkmcnt(1)
	;;#ASMSTART
	v_dot2_f32_f16 v48, v50, v54, v48
	;;#ASMEND
	s_nop 0
	;;#ASMSTART
	v_dot2_f32_f16 v48, v51, v55, v48
	;;#ASMEND
	s_nop 0
	;; [unrolled: 35-line block ×7, first 2 shown]
	;;#ASMSTART
	v_dot2_f32_f16 v48, v52, v56, v48
	;;#ASMEND
	s_nop 0
	;;#ASMSTART
	v_dot2_f32_f16 v48, v53, v57, v48
	;;#ASMEND
	s_waitcnt lgkmcnt(0)
	;;#ASMSTART
	v_dot2_f32_f16 v47, v58, v54, v47
	;;#ASMEND
	s_nop 0
	;;#ASMSTART
	v_dot2_f32_f16 v47, v59, v55, v47
	;;#ASMEND
	s_nop 0
	;; [unrolled: 4-line block ×3, first 2 shown]
	;;#ASMSTART
	v_dot2_f32_f16 v47, v61, v57, v47
	;;#ASMEND
	s_cbranch_vccnz .LBB65_10
; %bb.9:                                ;   in Loop: Header=BB65_8 Depth=1
	v_lshl_add_u64 v[50:51], v[6:7], 1, s[36:37]
	global_load_ushort v49, v[50:51], off
	s_waitcnt vmcnt(0)
	v_cvt_f32_f16_e32 v49, v49
	v_mul_f32_e32 v49, v27, v49
.LBB65_10:                              ;   in Loop: Header=BB65_8 Depth=1
	s_and_b64 vcc, exec, s[4:5]
	s_cbranch_vccnz .LBB65_12
; %bb.11:                               ;   in Loop: Header=BB65_8 Depth=1
	v_lshl_add_u64 v[6:7], v[6:7], 1, s[36:37]
	global_load_ushort v6, v[6:7], off offset:64
	s_waitcnt vmcnt(0)
	v_cvt_f32_f16_e32 v6, v6
	v_mul_f32_e32 v6, v27, v6
	s_branch .LBB65_13
.LBB65_12:                              ;   in Loop: Header=BB65_8 Depth=1
	v_mov_b32_e32 v6, 0
.LBB65_13:                              ;   in Loop: Header=BB65_8 Depth=1
	v_add_f32_e32 v70, v48, v49
	v_and_b32_e32 v48, 0x60, v43
	v_add_u32_e32 v71, 32, v48
	v_xor_b32_e32 v48, 4, v43
	v_cmp_lt_i32_e32 vcc, v48, v71
	v_add_f32_e32 v47, v47, v6
	v_add_f32_e32 v7, 0x40051340, v70
	v_cndmask_b32_e32 v72, v43, v48, vcc
	v_xor_b32_e32 v48, 16, v43
	v_cmp_lt_i32_e32 vcc, v48, v71
	v_add_f32_e32 v6, 0x40051340, v47
	v_max3_f32 v6, v46, v7, v6
	v_cndmask_b32_e32 v48, v43, v48, vcc
	v_lshlrev_b32_e32 v7, 2, v48
	ds_bpermute_b32 v7, v7, v6
	v_xor_b32_e32 v48, 8, v43
	s_mul_hi_i32 s29, s24, s2
	s_mul_i32 s28, s24, s2
	v_cmp_lt_i32_e32 vcc, v48, v71
	s_lshl_b64 s[28:29], s[28:29], 2
	s_waitcnt lgkmcnt(0)
	v_max_f32_e32 v7, v7, v7
	v_cndmask_b32_e32 v48, v43, v48, vcc
	s_add_u32 s28, s18, s28
	v_lshlrev_b32_e32 v48, 2, v48
	v_max_f32_e32 v73, v6, v7
	s_addc_u32 s29, s19, s29
	ds_bpermute_b32 v74, v48, v73
	v_lshl_add_u64 v[48:49], v[18:19], 2, s[28:29]
	v_lshl_add_u64 v[6:7], v[16:17], 2, s[28:29]
	;; [unrolled: 1-line block ×7, first 2 shown]
	s_waitcnt lgkmcnt(0)
	s_barrier
	v_lshl_add_u64 v[68:69], v[48:49], 0, v[0:1]
	global_load_dwordx4 v[48:51], v[6:7], off
	global_load_dwordx4 v[52:55], v[64:65], off
	;; [unrolled: 1-line block ×4, first 2 shown]
	v_max_f32_e32 v7, v74, v74
	v_lshlrev_b32_e32 v6, 2, v72
	v_max_f32_e32 v7, v73, v7
	ds_bpermute_b32 v6, v6, v7
	v_xor_b32_e32 v64, 2, v43
	v_cmp_lt_i32_e32 vcc, v64, v71
	s_waitcnt lgkmcnt(0)
	v_max_f32_e32 v6, v6, v6
	v_cndmask_b32_e32 v64, v43, v64, vcc
	v_lshlrev_b32_e32 v64, 2, v64
	v_max_f32_e32 v6, v7, v6
	ds_bpermute_b32 v7, v64, v6
	v_xor_b32_e32 v64, 1, v43
	v_cmp_lt_i32_e32 vcc, v64, v71
	s_waitcnt lgkmcnt(0)
	v_max_f32_e32 v7, v7, v7
	v_cndmask_b32_e32 v64, v43, v64, vcc
	v_lshlrev_b32_e32 v64, 2, v64
	v_max_f32_e32 v6, v6, v7
	ds_bpermute_b32 v7, v64, v6
	s_waitcnt lgkmcnt(0)
	v_max_f32_e32 v7, v7, v7
	v_max_f32_e32 v6, v6, v7
	v_sub_f32_e32 v7, v70, v6
	v_mul_f32_e32 v64, 0x3fb8aa3b, v7
	v_fma_f32 v65, v7, s12, -v64
	v_rndne_f32_e32 v66, v64
	v_fmac_f32_e32 v65, 0x32a5705f, v7
	v_sub_f32_e32 v64, v64, v66
	v_add_f32_e32 v64, v64, v65
	v_exp_f32_e32 v64, v64
	v_cvt_i32_f32_e32 v65, v66
	v_sub_f32_e32 v47, v47, v6
	v_sub_f32_e32 v46, v46, v6
	v_cmp_ngt_f32_e32 vcc, s13, v7
	v_ldexp_f32 v64, v64, v65
	v_mul_f32_e32 v65, 0x3fb8aa3b, v47
	v_fma_f32 v66, v47, s12, -v65
	v_rndne_f32_e32 v67, v65
	v_fmac_f32_e32 v66, 0x32a5705f, v47
	v_sub_f32_e32 v65, v65, v67
	v_add_f32_e32 v65, v65, v66
	v_exp_f32_e32 v65, v65
	v_cvt_i32_f32_e32 v66, v67
	v_cndmask_b32_e32 v64, 0, v64, vcc
	v_cmp_nlt_f32_e32 vcc, s15, v7
	v_ldexp_f32 v65, v65, v66
	v_mul_f32_e32 v66, 0x3fb8aa3b, v46
	v_fma_f32 v67, v46, s12, -v66
	v_rndne_f32_e32 v68, v66
	v_fmac_f32_e32 v67, 0x32a5705f, v46
	v_sub_f32_e32 v66, v66, v68
	v_add_f32_e32 v66, v66, v67
	v_exp_f32_e32 v66, v66
	v_cvt_i32_f32_e32 v67, v68
	v_cndmask_b32_e32 v7, v44, v64, vcc
	v_cmp_ngt_f32_e32 vcc, s13, v47
	v_cvt_f16_f32_e32 v64, v7
	s_nop 0
	v_cndmask_b32_e32 v65, 0, v65, vcc
	v_cmp_nlt_f32_e32 vcc, s15, v47
	s_nop 1
	v_cndmask_b32_e32 v47, v44, v65, vcc
	v_ldexp_f32 v65, v66, v67
	v_cmp_ngt_f32_e32 vcc, s13, v46
	v_add_f32_e32 v7, v7, v47
	v_cvt_f16_f32_e32 v47, v47
	v_cndmask_b32_e32 v65, 0, v65, vcc
	v_cmp_nlt_f32_e32 vcc, s15, v46
	ds_write_b16 v38, v64
	ds_write_b16 v38, v47 offset:64
	s_waitcnt vmcnt(3)
	ds_write_b128 v39, v[48:51]
	s_waitcnt vmcnt(2)
	ds_write_b128 v40, v[52:55]
	;; [unrolled: 2-line block ×4, first 2 shown]
	v_cndmask_b32_e32 v46, v44, v65, vcc
	v_cvt_f16_f32_e32 v65, v46
	v_fmac_f32_e32 v7, v45, v46
	s_waitcnt lgkmcnt(0)
	s_barrier
	ds_read_b128 v[46:49], v37
	ds_read2_b32 v[62:63], v26 offset1:32
	ds_read_b128 v[50:53], v37 offset:16
	ds_read_b128 v[54:57], v37 offset:32
	;; [unrolled: 1-line block ×3, first 2 shown]
	s_waitcnt lgkmcnt(4)
	v_mul_u32_u24_sdwa v64, v46, s25 dst_sel:DWORD dst_unused:UNUSED_PAD src0_sel:WORD_0 src1_sel:DWORD
	v_mul_u32_u24_e32 v45, 0x10001, v65
	s_waitcnt lgkmcnt(3)
	v_pk_mul_f16 v62, v62, v64
	ds_read2_b32 v[64:65], v26 offset0:64 offset1:96
	v_pk_fma_f16 v15, v15, v45, v62
	v_mul_u32_u24_sdwa v45, v46, s25 dst_sel:DWORD dst_unused:UNUSED_PAD src0_sel:WORD_1 src1_sel:DWORD
	v_pk_fma_f16 v15, v63, v45, v15
	ds_read2_b32 v[62:63], v26 offset0:128 offset1:160
	v_mul_u32_u24_sdwa v45, v47, s25 dst_sel:DWORD dst_unused:UNUSED_PAD src0_sel:WORD_0 src1_sel:DWORD
	s_waitcnt lgkmcnt(1)
	v_pk_fma_f16 v15, v64, v45, v15
	v_mul_u32_u24_sdwa v45, v47, s25 dst_sel:DWORD dst_unused:UNUSED_PAD src0_sel:WORD_1 src1_sel:DWORD
	ds_read2_b32 v[46:47], v26 offset0:192 offset1:224
	v_pk_fma_f16 v15, v65, v45, v15
	v_mul_u32_u24_sdwa v45, v48, s25 dst_sel:DWORD dst_unused:UNUSED_PAD src0_sel:WORD_0 src1_sel:DWORD
	s_waitcnt lgkmcnt(1)
	v_pk_fma_f16 v15, v62, v45, v15
	v_mul_u32_u24_sdwa v45, v48, s25 dst_sel:DWORD dst_unused:UNUSED_PAD src0_sel:WORD_1 src1_sel:DWORD
	v_pk_fma_f16 v15, v63, v45, v15
	v_mul_u32_u24_sdwa v45, v49, s25 dst_sel:DWORD dst_unused:UNUSED_PAD src0_sel:WORD_0 src1_sel:DWORD
	s_waitcnt lgkmcnt(0)
	v_pk_fma_f16 v15, v46, v45, v15
	v_add_u32_e32 v45, 0x400, v26
	ds_read2_b32 v[62:63], v45 offset1:32
	v_mul_u32_u24_sdwa v46, v49, s25 dst_sel:DWORD dst_unused:UNUSED_PAD src0_sel:WORD_1 src1_sel:DWORD
	v_pk_fma_f16 v15, v47, v46, v15
	ds_read2_b32 v[46:47], v45 offset0:64 offset1:96
	v_mul_u32_u24_sdwa v48, v50, s25 dst_sel:DWORD dst_unused:UNUSED_PAD src0_sel:WORD_0 src1_sel:DWORD
	s_waitcnt lgkmcnt(1)
	v_pk_fma_f16 v15, v62, v48, v15
	v_mul_u32_u24_sdwa v48, v50, s25 dst_sel:DWORD dst_unused:UNUSED_PAD src0_sel:WORD_1 src1_sel:DWORD
	v_pk_fma_f16 v15, v63, v48, v15
	v_mul_u32_u24_sdwa v48, v51, s25 dst_sel:DWORD dst_unused:UNUSED_PAD src0_sel:WORD_0 src1_sel:DWORD
	s_waitcnt lgkmcnt(0)
	v_pk_fma_f16 v15, v46, v48, v15
	ds_read2_b32 v[48:49], v45 offset0:128 offset1:160
	v_mul_u32_u24_sdwa v46, v51, s25 dst_sel:DWORD dst_unused:UNUSED_PAD src0_sel:WORD_1 src1_sel:DWORD
	v_pk_fma_f16 v15, v47, v46, v15
	ds_read2_b32 v[46:47], v45 offset0:192 offset1:224
	v_mul_u32_u24_sdwa v50, v52, s25 dst_sel:DWORD dst_unused:UNUSED_PAD src0_sel:WORD_0 src1_sel:DWORD
	s_waitcnt lgkmcnt(1)
	v_pk_fma_f16 v15, v48, v50, v15
	v_mul_u32_u24_sdwa v45, v52, s25 dst_sel:DWORD dst_unused:UNUSED_PAD src0_sel:WORD_1 src1_sel:DWORD
	v_pk_fma_f16 v15, v49, v45, v15
	v_mul_u32_u24_sdwa v45, v53, s25 dst_sel:DWORD dst_unused:UNUSED_PAD src0_sel:WORD_0 src1_sel:DWORD
	s_waitcnt lgkmcnt(0)
	v_pk_fma_f16 v15, v46, v45, v15
	v_add_u32_e32 v45, 0x800, v26
	ds_read2_b32 v[48:49], v45 offset1:32
	v_mul_u32_u24_sdwa v46, v53, s25 dst_sel:DWORD dst_unused:UNUSED_PAD src0_sel:WORD_1 src1_sel:DWORD
	v_pk_fma_f16 v15, v47, v46, v15
	ds_read2_b32 v[46:47], v45 offset0:64 offset1:96
	v_mul_u32_u24_sdwa v50, v54, s25 dst_sel:DWORD dst_unused:UNUSED_PAD src0_sel:WORD_0 src1_sel:DWORD
	s_waitcnt lgkmcnt(1)
	v_pk_fma_f16 v15, v48, v50, v15
	v_mul_u32_u24_sdwa v48, v54, s25 dst_sel:DWORD dst_unused:UNUSED_PAD src0_sel:WORD_1 src1_sel:DWORD
	v_pk_fma_f16 v15, v49, v48, v15
	v_mul_u32_u24_sdwa v48, v55, s25 dst_sel:DWORD dst_unused:UNUSED_PAD src0_sel:WORD_0 src1_sel:DWORD
	s_waitcnt lgkmcnt(0)
	v_pk_fma_f16 v15, v46, v48, v15
	ds_read2_b32 v[48:49], v45 offset0:128 offset1:160
	v_mul_u32_u24_sdwa v46, v55, s25 dst_sel:DWORD dst_unused:UNUSED_PAD src0_sel:WORD_1 src1_sel:DWORD
	v_pk_fma_f16 v15, v47, v46, v15
	ds_read2_b32 v[46:47], v45 offset0:192 offset1:224
	v_mul_u32_u24_sdwa v50, v56, s25 dst_sel:DWORD dst_unused:UNUSED_PAD src0_sel:WORD_0 src1_sel:DWORD
	s_waitcnt lgkmcnt(1)
	v_pk_fma_f16 v15, v48, v50, v15
	v_mul_u32_u24_sdwa v45, v56, s25 dst_sel:DWORD dst_unused:UNUSED_PAD src0_sel:WORD_1 src1_sel:DWORD
	v_pk_fma_f16 v15, v49, v45, v15
	v_mul_u32_u24_sdwa v45, v57, s25 dst_sel:DWORD dst_unused:UNUSED_PAD src0_sel:WORD_0 src1_sel:DWORD
	s_waitcnt lgkmcnt(0)
	v_pk_fma_f16 v15, v46, v45, v15
	v_add_u32_e32 v45, 0xc00, v26
	ds_read2_b32 v[48:49], v45 offset1:32
	v_mul_u32_u24_sdwa v46, v57, s25 dst_sel:DWORD dst_unused:UNUSED_PAD src0_sel:WORD_1 src1_sel:DWORD
	v_pk_fma_f16 v15, v47, v46, v15
	ds_read2_b32 v[46:47], v45 offset0:64 offset1:96
	v_mul_u32_u24_sdwa v50, v58, s25 dst_sel:DWORD dst_unused:UNUSED_PAD src0_sel:WORD_0 src1_sel:DWORD
	s_waitcnt lgkmcnt(1)
	v_pk_fma_f16 v15, v48, v50, v15
	v_mul_u32_u24_sdwa v48, v58, s25 dst_sel:DWORD dst_unused:UNUSED_PAD src0_sel:WORD_1 src1_sel:DWORD
	v_pk_fma_f16 v15, v49, v48, v15
	v_mul_u32_u24_sdwa v48, v59, s25 dst_sel:DWORD dst_unused:UNUSED_PAD src0_sel:WORD_0 src1_sel:DWORD
	s_waitcnt lgkmcnt(0)
	v_pk_fma_f16 v15, v46, v48, v15
	ds_read2_b32 v[48:49], v45 offset0:128 offset1:160
	v_mul_u32_u24_sdwa v46, v59, s25 dst_sel:DWORD dst_unused:UNUSED_PAD src0_sel:WORD_1 src1_sel:DWORD
	v_pk_fma_f16 v15, v47, v46, v15
	v_mul_u32_u24_sdwa v46, v60, s25 dst_sel:DWORD dst_unused:UNUSED_PAD src0_sel:WORD_0 src1_sel:DWORD
	ds_read2_b32 v[50:51], v45 offset0:192 offset1:224
	s_waitcnt lgkmcnt(1)
	v_pk_fma_f16 v15, v48, v46, v15
	v_mul_u32_u24_sdwa v45, v60, s25 dst_sel:DWORD dst_unused:UNUSED_PAD src0_sel:WORD_1 src1_sel:DWORD
	v_pk_fma_f16 v15, v49, v45, v15
	ds_read_b128 v[46:49], v37 offset:64
	v_add_u32_e32 v58, 0x1000, v26
	ds_read2_b32 v[54:55], v58 offset1:32
	v_mul_u32_u24_sdwa v45, v61, s25 dst_sel:DWORD dst_unused:UNUSED_PAD src0_sel:WORD_0 src1_sel:DWORD
	s_waitcnt lgkmcnt(2)
	v_pk_fma_f16 v15, v50, v45, v15
	v_mul_u32_u24_sdwa v45, v61, s25 dst_sel:DWORD dst_unused:UNUSED_PAD src0_sel:WORD_1 src1_sel:DWORD
	ds_read2_b32 v[56:57], v58 offset0:64 offset1:96
	v_pk_fma_f16 v15, v51, v45, v15
	ds_read_b128 v[50:53], v37 offset:80
	s_waitcnt lgkmcnt(3)
	v_mul_u32_u24_sdwa v45, v46, s25 dst_sel:DWORD dst_unused:UNUSED_PAD src0_sel:WORD_0 src1_sel:DWORD
	s_waitcnt lgkmcnt(2)
	v_pk_fma_f16 v15, v54, v45, v15
	v_mul_u32_u24_sdwa v45, v46, s25 dst_sel:DWORD dst_unused:UNUSED_PAD src0_sel:WORD_1 src1_sel:DWORD
	v_pk_fma_f16 v15, v55, v45, v15
	ds_read2_b32 v[54:55], v58 offset0:128 offset1:160
	v_mul_u32_u24_sdwa v45, v47, s25 dst_sel:DWORD dst_unused:UNUSED_PAD src0_sel:WORD_0 src1_sel:DWORD
	s_waitcnt lgkmcnt(2)
	v_pk_fma_f16 v15, v56, v45, v15
	v_mul_u32_u24_sdwa v45, v47, s25 dst_sel:DWORD dst_unused:UNUSED_PAD src0_sel:WORD_1 src1_sel:DWORD
	ds_read2_b32 v[46:47], v58 offset0:192 offset1:224
	v_pk_fma_f16 v15, v57, v45, v15
	v_mul_u32_u24_sdwa v45, v48, s25 dst_sel:DWORD dst_unused:UNUSED_PAD src0_sel:WORD_0 src1_sel:DWORD
	s_waitcnt lgkmcnt(1)
	v_pk_fma_f16 v15, v54, v45, v15
	v_mul_u32_u24_sdwa v45, v48, s25 dst_sel:DWORD dst_unused:UNUSED_PAD src0_sel:WORD_1 src1_sel:DWORD
	v_pk_fma_f16 v15, v55, v45, v15
	v_mul_u32_u24_sdwa v45, v49, s25 dst_sel:DWORD dst_unused:UNUSED_PAD src0_sel:WORD_0 src1_sel:DWORD
	s_waitcnt lgkmcnt(0)
	v_pk_fma_f16 v15, v46, v45, v15
	v_add_u32_e32 v45, 0x1400, v26
	ds_read2_b32 v[54:55], v45 offset1:32
	v_mul_u32_u24_sdwa v46, v49, s25 dst_sel:DWORD dst_unused:UNUSED_PAD src0_sel:WORD_1 src1_sel:DWORD
	v_pk_fma_f16 v15, v47, v46, v15
	ds_read2_b32 v[46:47], v45 offset0:64 offset1:96
	v_mul_u32_u24_sdwa v48, v50, s25 dst_sel:DWORD dst_unused:UNUSED_PAD src0_sel:WORD_0 src1_sel:DWORD
	s_waitcnt lgkmcnt(1)
	v_pk_fma_f16 v15, v54, v48, v15
	v_mul_u32_u24_sdwa v48, v50, s25 dst_sel:DWORD dst_unused:UNUSED_PAD src0_sel:WORD_1 src1_sel:DWORD
	v_pk_fma_f16 v15, v55, v48, v15
	v_mul_u32_u24_sdwa v48, v51, s25 dst_sel:DWORD dst_unused:UNUSED_PAD src0_sel:WORD_0 src1_sel:DWORD
	s_waitcnt lgkmcnt(0)
	v_pk_fma_f16 v15, v46, v48, v15
	ds_read2_b32 v[48:49], v45 offset0:128 offset1:160
	v_mul_u32_u24_sdwa v46, v51, s25 dst_sel:DWORD dst_unused:UNUSED_PAD src0_sel:WORD_1 src1_sel:DWORD
	ds_read2_b32 v[50:51], v45 offset0:192 offset1:224
	v_pk_fma_f16 v15, v47, v46, v15
	v_mul_u32_u24_sdwa v46, v52, s25 dst_sel:DWORD dst_unused:UNUSED_PAD src0_sel:WORD_0 src1_sel:DWORD
	s_waitcnt lgkmcnt(1)
	v_pk_fma_f16 v15, v48, v46, v15
	v_mul_u32_u24_sdwa v45, v52, s25 dst_sel:DWORD dst_unused:UNUSED_PAD src0_sel:WORD_1 src1_sel:DWORD
	v_pk_fma_f16 v15, v49, v45, v15
	v_mul_u32_u24_sdwa v45, v53, s25 dst_sel:DWORD dst_unused:UNUSED_PAD src0_sel:WORD_0 src1_sel:DWORD
	s_waitcnt lgkmcnt(0)
	v_pk_fma_f16 v15, v50, v45, v15
	v_add_u32_e32 v45, 0x1800, v26
	ds_read_b128 v[46:49], v37 offset:96
	ds_read2_b32 v[54:55], v45 offset1:32
	v_mul_u32_u24_sdwa v50, v53, s25 dst_sel:DWORD dst_unused:UNUSED_PAD src0_sel:WORD_1 src1_sel:DWORD
	v_pk_fma_f16 v15, v51, v50, v15
	ds_read_b128 v[50:53], v37 offset:112
	s_waitcnt lgkmcnt(2)
	v_mul_u32_u24_sdwa v56, v46, s25 dst_sel:DWORD dst_unused:UNUSED_PAD src0_sel:WORD_0 src1_sel:DWORD
	s_waitcnt lgkmcnt(1)
	v_pk_fma_f16 v15, v54, v56, v15
	ds_read2_b32 v[56:57], v45 offset0:64 offset1:96
	v_mul_u32_u24_sdwa v46, v46, s25 dst_sel:DWORD dst_unused:UNUSED_PAD src0_sel:WORD_1 src1_sel:DWORD
	v_pk_fma_f16 v15, v55, v46, v15
	ds_read2_b32 v[54:55], v45 offset0:128 offset1:160
	v_mul_u32_u24_sdwa v46, v47, s25 dst_sel:DWORD dst_unused:UNUSED_PAD src0_sel:WORD_0 src1_sel:DWORD
	s_waitcnt lgkmcnt(1)
	v_pk_fma_f16 v15, v56, v46, v15
	v_mul_u32_u24_sdwa v46, v47, s25 dst_sel:DWORD dst_unused:UNUSED_PAD src0_sel:WORD_1 src1_sel:DWORD
	v_pk_fma_f16 v15, v57, v46, v15
	v_mul_u32_u24_sdwa v46, v48, s25 dst_sel:DWORD dst_unused:UNUSED_PAD src0_sel:WORD_0 src1_sel:DWORD
	s_waitcnt lgkmcnt(0)
	v_pk_fma_f16 v15, v54, v46, v15
	ds_read2_b32 v[46:47], v45 offset0:192 offset1:224
	v_mul_u32_u24_sdwa v48, v48, s25 dst_sel:DWORD dst_unused:UNUSED_PAD src0_sel:WORD_1 src1_sel:DWORD
	v_add_u32_e32 v56, 0x1c00, v26
	v_pk_fma_f16 v15, v55, v48, v15
	v_mul_u32_u24_sdwa v45, v49, s25 dst_sel:DWORD dst_unused:UNUSED_PAD src0_sel:WORD_0 src1_sel:DWORD
	ds_read2_b32 v[54:55], v56 offset1:32
	s_waitcnt lgkmcnt(1)
	v_pk_fma_f16 v15, v46, v45, v15
	v_mul_u32_u24_sdwa v45, v49, s25 dst_sel:DWORD dst_unused:UNUSED_PAD src0_sel:WORD_1 src1_sel:DWORD
	v_pk_fma_f16 v15, v47, v45, v15
	ds_read2_b32 v[46:47], v56 offset0:64 offset1:96
	v_mul_u32_u24_sdwa v45, v50, s25 dst_sel:DWORD dst_unused:UNUSED_PAD src0_sel:WORD_0 src1_sel:DWORD
	s_waitcnt lgkmcnt(1)
	v_pk_fma_f16 v15, v54, v45, v15
	v_mul_u32_u24_sdwa v45, v50, s25 dst_sel:DWORD dst_unused:UNUSED_PAD src0_sel:WORD_1 src1_sel:DWORD
	v_pk_fma_f16 v15, v55, v45, v15
	v_mul_u32_u24_sdwa v45, v51, s25 dst_sel:DWORD dst_unused:UNUSED_PAD src0_sel:WORD_0 src1_sel:DWORD
	ds_read2_b32 v[48:49], v56 offset0:128 offset1:160
	s_waitcnt lgkmcnt(1)
	v_pk_fma_f16 v15, v46, v45, v15
	v_mul_u32_u24_sdwa v45, v51, s25 dst_sel:DWORD dst_unused:UNUSED_PAD src0_sel:WORD_1 src1_sel:DWORD
	v_pk_fma_f16 v15, v47, v45, v15
	ds_read2_b32 v[46:47], v56 offset0:192 offset1:224
	s_waitcnt lgkmcnt(0)
	s_barrier
	s_load_dword s28, s[6:7], 0x4
	v_mul_u32_u24_sdwa v45, v52, s25 dst_sel:DWORD dst_unused:UNUSED_PAD src0_sel:WORD_0 src1_sel:DWORD
	v_pk_fma_f16 v15, v48, v45, v15
	v_mul_u32_u24_sdwa v45, v52, s25 dst_sel:DWORD dst_unused:UNUSED_PAD src0_sel:WORD_1 src1_sel:DWORD
	v_pk_fma_f16 v15, v49, v45, v15
	v_mul_u32_u24_sdwa v45, v53, s25 dst_sel:DWORD dst_unused:UNUSED_PAD src0_sel:WORD_0 src1_sel:DWORD
	s_waitcnt lgkmcnt(0)
	s_lshl_b32 s28, s28, 6
	v_pk_fma_f16 v15, v46, v45, v15
	v_mul_u32_u24_sdwa v45, v53, s25 dst_sel:DWORD dst_unused:UNUSED_PAD src0_sel:WORD_1 src1_sel:DWORD
	s_add_i32 s24, s28, s24
	s_cmp_lt_i32 s24, s11
	v_pk_fma_f16 v15, v47, v45, v15
	s_cbranch_scc0 .LBB65_16
; %bb.14:                               ;   in Loop: Header=BB65_8 Depth=1
	v_mov_b32_e32 v46, v6
	v_mov_b32_e32 v45, v7
	s_branch .LBB65_8
.LBB65_15:
	v_mov_b32_e32 v6, 0xfeffffff
	v_mov_b32_e32 v15, 0
.LBB65_16:
	v_lshlrev_b32_e32 v10, 1, v4
	s_cmp_gt_i32 s38, s24
	s_cbranch_scc1 .LBB65_18
; %bb.17:
	v_mbcnt_hi_u32_b32 v11, -1, v28
	v_and_b32_e32 v0, 0x60, v11
	v_add_u32_e32 v12, 32, v0
	v_xor_b32_e32 v14, 16, v11
	v_xor_b32_e32 v13, 8, v11
	;; [unrolled: 1-line block ×5, first 2 shown]
	s_cbranch_execz .LBB65_19
	s_branch .LBB65_29
.LBB65_18:
                                        ; implicit-def: $vgpr11
                                        ; implicit-def: $vgpr12
                                        ; implicit-def: $vgpr14
                                        ; implicit-def: $vgpr13
                                        ; implicit-def: $vgpr16
                                        ; implicit-def: $vgpr17
                                        ; implicit-def: $vgpr18
.LBB65_19:
	s_mul_hi_i32 s5, s24, s8
	s_mul_i32 s4, s24, s8
	s_sub_i32 s25, s38, s24
	s_lshl_b64 s[4:5], s[4:5], 2
	v_lshl_add_u32 v19, v30, 2, v31
	s_mov_b64 s[6:7], src_private_base
	s_add_u32 s28, s9, s4
	v_mul_lo_u32 v12, s8, v19
	s_mov_b32 s4, 0
	s_addc_u32 s29, s10, s5
	v_and_b32_e32 v0, 28, v26
	v_ashrrev_i32_e32 v13, 31, v12
	s_mov_b32 s6, s4
	v_mov_b32_e32 v9, 0
	v_lshlrev_b32_e32 v8, 2, v0
	s_mov_b32 s5, s4
	v_mov_b32_e32 v32, s6
	v_lshl_add_u64 v[0:1], v[12:13], 2, s[28:29]
	v_mov_b32_e32 v31, s5
	v_mov_b32_e32 v30, s4
	v_lshl_add_u64 v[0:1], v[0:1], 0, v[8:9]
	v_mov_b32_e32 v11, s7
	v_cmp_gt_i32_e64 s[12:13], s25, v19
	v_mov_b32_e32 v14, 0
	scratch_store_dword off, v9, off
	scratch_store_dwordx3 off, v[30:32], off offset:4
	v_cndmask_b32_e64 v1, v11, v1, s[12:13]
	v_cndmask_b32_e64 v0, v14, v0, s[12:13]
	flat_load_dwordx4 v[0:3], v[0:1]
	s_lshl_b32 s8, s8, 4
	v_add_u32_e32 v12, s8, v12
	v_ashrrev_i32_e32 v13, 31, v12
	s_movk_i32 s4, 0x90
	v_add_u32_e32 v20, 16, v19
	v_lshl_add_u64 v[16:17], v[12:13], 2, s[28:29]
	v_mad_u32_u24 v18, v19, s4, v8
	v_lshl_add_u64 v[16:17], v[16:17], 0, v[8:9]
	v_cmp_gt_i32_e64 s[6:7], s25, v20
	scratch_store_dword off, v9, off
	scratch_store_dwordx3 off, v[30:32], off offset:4
	v_cndmask_b32_e64 v17, v11, v17, s[6:7]
	v_cndmask_b32_e64 v16, v14, v16, s[6:7]
	v_add_u32_e32 v12, s8, v12
	v_ashrrev_i32_e32 v13, 31, v12
	v_add_u32_e32 v21, 32, v19
	v_cmp_gt_i32_e64 s[4:5], s25, v21
	v_add_u32_e32 v22, 48, v19
	s_cmp_lg_u64 s[36:37], 0
	s_cselect_b64 s[10:11], -1, 0
	v_cmp_gt_i32_e32 vcc, s25, v4
	s_waitcnt vmcnt(0) lgkmcnt(0)
	ds_write_b128 v18, v[0:3]
	flat_load_dwordx4 v[0:3], v[16:17]
	v_lshl_add_u64 v[16:17], v[12:13], 2, s[28:29]
	v_lshl_add_u64 v[16:17], v[16:17], 0, v[8:9]
	v_cndmask_b32_e64 v17, v11, v17, s[4:5]
	v_cndmask_b32_e64 v16, v14, v16, s[4:5]
	scratch_store_dword off, v9, off
	scratch_store_dwordx3 off, v[30:32], off offset:4
	v_add_u32_e32 v12, s8, v12
	v_ashrrev_i32_e32 v13, 31, v12
	v_lshl_add_u64 v[12:13], v[12:13], 2, s[28:29]
	v_lshl_add_u64 v[12:13], v[12:13], 0, v[8:9]
	v_cmp_gt_i32_e64 s[8:9], s25, v22
	s_waitcnt vmcnt(0) lgkmcnt(0)
	ds_write_b128 v18, v[0:3] offset:2304
	flat_load_dwordx4 v[0:3], v[16:17]
	v_cndmask_b32_e64 v13, v11, v13, s[8:9]
	v_cndmask_b32_e64 v12, v14, v12, s[8:9]
	scratch_store_dword off, v9, off
	scratch_store_dwordx3 off, v[30:32], off offset:4
	v_mul_u32_u24_e32 v11, 0x90, v4
	v_mov_b32_e32 v16, v6
	s_waitcnt vmcnt(0) lgkmcnt(0)
	ds_write_b128 v18, v[0:3] offset:4608
	flat_load_dwordx4 v[0:3], v[12:13]
	s_waitcnt vmcnt(0) lgkmcnt(0)
	ds_write_b128 v18, v[0:3] offset:6912
	s_waitcnt lgkmcnt(0)
	s_barrier
	ds_read_b128 v[30:33], v11
	ds_read_b128 v[34:37], v5
	v_mov_b32_e32 v0, v9
	ds_read_b128 v[38:41], v11 offset:4608
	s_waitcnt lgkmcnt(1)
	;;#ASMSTART
	v_dot2_f32_f16 v0, v30, v34, v0
	;;#ASMEND
	s_nop 0
	;;#ASMSTART
	v_dot2_f32_f16 v0, v31, v35, v0
	;;#ASMEND
	v_mov_b32_e32 v1, v9
	;;#ASMSTART
	v_dot2_f32_f16 v0, v32, v36, v0
	;;#ASMEND
	v_mul_lo_u32 v2, v29, s14
	;;#ASMSTART
	v_dot2_f32_f16 v0, v33, v37, v0
	;;#ASMEND
	s_waitcnt lgkmcnt(0)
	;;#ASMSTART
	v_dot2_f32_f16 v1, v38, v34, v1
	;;#ASMEND
	v_cndmask_b32_e64 v3, 0, 1, s[10:11]
	;;#ASMSTART
	v_dot2_f32_f16 v1, v39, v35, v1
	;;#ASMEND
	v_add_u32_e32 v2, s24, v2
	;;#ASMSTART
	v_dot2_f32_f16 v1, v40, v36, v1
	;;#ASMEND
	v_cmp_ne_u32_e64 s[10:11], 1, v3
	;;#ASMSTART
	v_dot2_f32_f16 v1, v41, v37, v1
	;;#ASMEND
	ds_read_b128 v[30:33], v11 offset:16
	ds_read_b128 v[34:37], v5 offset:16
	ds_read_b128 v[38:41], v11 offset:4624
	s_waitcnt lgkmcnt(1)
	;;#ASMSTART
	v_dot2_f32_f16 v0, v30, v34, v0
	;;#ASMEND
	s_nop 0
	;;#ASMSTART
	v_dot2_f32_f16 v0, v31, v35, v0
	;;#ASMEND
	s_nop 0
	;;#ASMSTART
	v_dot2_f32_f16 v0, v32, v36, v0
	;;#ASMEND
	s_nop 0
	;;#ASMSTART
	v_dot2_f32_f16 v0, v33, v37, v0
	;;#ASMEND
	s_waitcnt lgkmcnt(0)
	;;#ASMSTART
	v_dot2_f32_f16 v1, v38, v34, v1
	;;#ASMEND
	s_nop 0
	;;#ASMSTART
	v_dot2_f32_f16 v1, v39, v35, v1
	;;#ASMEND
	s_nop 0
	;;#ASMSTART
	v_dot2_f32_f16 v1, v40, v36, v1
	;;#ASMEND
	s_nop 0
	;;#ASMSTART
	v_dot2_f32_f16 v1, v41, v37, v1
	;;#ASMEND
	ds_read_b128 v[30:33], v11 offset:32
	ds_read_b128 v[34:37], v5 offset:32
	ds_read_b128 v[38:41], v11 offset:4640
	s_waitcnt lgkmcnt(1)
	;;#ASMSTART
	v_dot2_f32_f16 v0, v30, v34, v0
	;;#ASMEND
	s_nop 0
	;;#ASMSTART
	v_dot2_f32_f16 v0, v31, v35, v0
	;;#ASMEND
	s_nop 0
	;;#ASMSTART
	v_dot2_f32_f16 v0, v32, v36, v0
	;;#ASMEND
	s_nop 0
	;;#ASMSTART
	v_dot2_f32_f16 v0, v33, v37, v0
	;;#ASMEND
	s_waitcnt lgkmcnt(0)
	;;#ASMSTART
	v_dot2_f32_f16 v1, v38, v34, v1
	;;#ASMEND
	s_nop 0
	;;#ASMSTART
	v_dot2_f32_f16 v1, v39, v35, v1
	;;#ASMEND
	s_nop 0
	;;#ASMSTART
	v_dot2_f32_f16 v1, v40, v36, v1
	;;#ASMEND
	s_nop 0
	;; [unrolled: 35-line block ×7, first 2 shown]
	;;#ASMSTART
	v_dot2_f32_f16 v1, v41, v37, v1
	;;#ASMEND
	s_and_saveexec_b64 s[14:15], vcc
	s_cbranch_execz .LBB65_23
; %bb.20:
	s_and_b64 vcc, exec, s[10:11]
	s_cbranch_vccnz .LBB65_22
; %bb.21:
	v_add_u32_e32 v12, v2, v4
	v_ashrrev_i32_e32 v13, 31, v12
	v_lshl_add_u64 v[12:13], v[12:13], 1, s[36:37]
	global_load_ushort v3, v[12:13], off
	s_waitcnt vmcnt(0)
	v_cvt_f32_f16_e32 v3, v3
	v_mul_f32_e32 v9, v27, v3
.LBB65_22:
	v_add_f32_e32 v0, v0, v9
	v_add_f32_e32 v3, 0x40051340, v0
	v_max_f32_e32 v5, v6, v6
	v_max_f32_e32 v16, v5, v3
.LBB65_23:
	s_or_b64 exec, exec, s[14:15]
	v_add_u32_e32 v9, 32, v4
	v_cmp_gt_i32_e32 vcc, s25, v9
	s_and_saveexec_b64 s[14:15], vcc
	s_cbranch_execz .LBB65_28
; %bb.24:
	s_and_b64 vcc, exec, s[10:11]
	s_cbranch_vccnz .LBB65_26
; %bb.25:
	v_ashrrev_i32_e32 v3, 31, v2
	v_mov_b32_e32 v5, 0
	v_lshl_add_u64 v[2:3], v[2:3], 0, v[4:5]
	v_lshl_add_u64 v[2:3], v[2:3], 1, s[36:37]
	global_load_ushort v2, v[2:3], off offset:64
	s_waitcnt vmcnt(0)
	v_cvt_f32_f16_e32 v2, v2
	v_mul_f32_e32 v2, v27, v2
	s_branch .LBB65_27
.LBB65_26:
	v_mov_b32_e32 v2, 0
.LBB65_27:
	v_add_f32_e32 v1, v1, v2
	v_add_f32_e32 v2, 0x40051340, v1
	v_max_f32_e32 v3, v16, v16
	v_max_f32_e32 v16, v3, v2
.LBB65_28:
	s_or_b64 exec, exec, s[14:15]
	v_mbcnt_hi_u32_b32 v11, -1, v28
	v_and_b32_e32 v2, 0x60, v11
	v_add_u32_e32 v12, 32, v2
	v_xor_b32_e32 v14, 16, v11
	v_cmp_lt_i32_e32 vcc, v14, v12
	v_xor_b32_e32 v13, 8, v11
	v_max_f32_e32 v5, v16, v16
	v_cndmask_b32_e32 v2, v11, v14, vcc
	v_lshlrev_b32_e32 v2, 2, v2
	ds_bpermute_b32 v2, v2, v16
	v_cmp_lt_i32_e32 vcc, v13, v12
	v_xor_b32_e32 v16, 4, v11
	v_xor_b32_e32 v17, 2, v11
	v_cndmask_b32_e32 v3, v11, v13, vcc
	s_waitcnt lgkmcnt(0)
	v_max_f32_e32 v2, v2, v2
	v_lshlrev_b32_e32 v3, 2, v3
	v_max_f32_e32 v2, v5, v2
	ds_bpermute_b32 v3, v3, v2
	v_cmp_lt_i32_e32 vcc, v16, v12
	v_xor_b32_e32 v18, 1, v11
	s_mov_b32 s15, 0x3fb8aa3b
	v_cndmask_b32_e32 v5, v11, v16, vcc
	s_waitcnt lgkmcnt(0)
	v_max_f32_e32 v3, v3, v3
	v_lshlrev_b32_e32 v5, 2, v5
	v_max_f32_e32 v2, v2, v3
	ds_bpermute_b32 v3, v5, v2
	v_cmp_lt_i32_e32 vcc, v17, v12
	s_mov_b64 s[10:11], src_private_base
	s_mov_b32 s10, 0xc2ce8ed0
	v_cndmask_b32_e32 v5, v11, v17, vcc
	s_waitcnt lgkmcnt(0)
	v_max_f32_e32 v3, v3, v3
	v_lshlrev_b32_e32 v5, 2, v5
	v_max_f32_e32 v2, v2, v3
	ds_bpermute_b32 v3, v5, v2
	v_cmp_lt_i32_e32 vcc, v18, v12
	s_mov_b32 s14, 0x42b17218
	s_mov_b32 s28, 0
	v_cndmask_b32_e32 v5, v11, v18, vcc
	s_waitcnt lgkmcnt(0)
	v_max_f32_e32 v3, v3, v3
	v_lshlrev_b32_e32 v5, 2, v5
	v_max_f32_e32 v2, v2, v3
	ds_bpermute_b32 v3, v5, v2
	v_mul_lo_u32 v30, s2, v19
	v_ashrrev_i32_e32 v31, 31, v30
	s_mov_b32 s30, s28
	s_waitcnt lgkmcnt(0)
	v_max_f32_e32 v3, v3, v3
	v_max_f32_e32 v5, v2, v3
	v_sub_f32_e32 v0, v0, v5
	v_mul_f32_e32 v2, 0x3fb8aa3b, v0
	v_fma_f32 v3, v0, s15, -v2
	v_rndne_f32_e32 v23, v2
	v_fmac_f32_e32 v3, 0x32a5705f, v0
	v_sub_f32_e32 v2, v2, v23
	v_add_f32_e32 v2, v2, v3
	v_exp_f32_e32 v2, v2
	v_cvt_i32_f32_e32 v3, v23
	v_cmp_ngt_f32_e32 vcc, s10, v0
	v_mov_b32_e32 v23, 0x7f800000
	v_sub_f32_e32 v1, v1, v5
	v_ldexp_f32 v2, v2, v3
	v_cndmask_b32_e32 v2, 0, v2, vcc
	v_cmp_nlt_f32_e32 vcc, s14, v0
	s_barrier
	s_nop 0
	v_cndmask_b32_e32 v0, v23, v2, vcc
	v_mul_f32_e32 v2, 0x3fb8aa3b, v1
	v_fma_f32 v3, v1, s15, -v2
	v_rndne_f32_e32 v27, v2
	v_fmac_f32_e32 v3, 0x32a5705f, v1
	v_sub_f32_e32 v2, v2, v27
	v_add_f32_e32 v2, v2, v3
	v_exp_f32_e32 v2, v2
	v_cvt_i32_f32_e32 v3, v27
	v_cmp_gt_u32_e32 vcc, s25, v4
	s_mov_b32 s29, s28
	v_mov_b32_e32 v38, s30
	v_cndmask_b32_e32 v27, 0, v0, vcc
	v_ldexp_f32 v2, v2, v3
	v_cmp_ngt_f32_e32 vcc, s10, v1
	v_cvt_f16_f32_e32 v0, v27
	v_mov_b32_e32 v37, s29
	v_cndmask_b32_e32 v2, 0, v2, vcc
	v_cmp_nlt_f32_e32 vcc, s14, v1
	v_mov_b32_e32 v36, s28
	v_mov_b32_e32 v29, s11
	v_cndmask_b32_e32 v1, v23, v2, vcc
	v_cmp_gt_u32_e32 vcc, s25, v9
	s_movk_i32 s25, 0x2400
	v_add3_u32 v2, v25, s25, v10
	v_cndmask_b32_e32 v28, 0, v1, vcc
	s_mul_hi_i32 s25, s24, s2
	s_mul_i32 s24, s24, s2
	v_cvt_f16_f32_e32 v1, v28
	s_lshl_b64 s[24:25], s[24:25], 2
	s_add_u32 s18, s18, s24
	s_addc_u32 s19, s19, s25
	ds_write_b16 v2, v0
	ds_write_b16 v2, v1 offset:64
	v_lshl_add_u64 v[0:1], v[30:31], 2, s[18:19]
	v_mov_b32_e32 v9, 0
	v_lshl_add_u64 v[0:1], v[0:1], 0, v[8:9]
	v_mov_b32_e32 v34, 0
	scratch_store_dword off, v9, off
	scratch_store_dwordx3 off, v[36:38], off offset:4
	v_cndmask_b32_e64 v1, v29, v1, s[12:13]
	v_cndmask_b32_e64 v0, v34, v0, s[12:13]
	flat_load_dwordx4 v[0:3], v[0:1]
	s_lshl_b32 s2, s2, 4
	v_add_u32_e32 v30, s2, v30
	v_ashrrev_i32_e32 v31, 31, v30
	v_lshl_add_u64 v[32:33], v[30:31], 2, s[18:19]
	v_lshl_or_b32 v19, v19, 7, v8
	v_lshl_add_u64 v[32:33], v[32:33], 0, v[8:9]
	v_cndmask_b32_e64 v33, v29, v33, s[6:7]
	v_cndmask_b32_e64 v32, v34, v32, s[6:7]
	scratch_store_dword off, v9, off
	scratch_store_dwordx3 off, v[36:38], off offset:4
	v_add_u32_e32 v30, s2, v30
	v_ashrrev_i32_e32 v31, 31, v30
	v_sub_f32_e32 v6, v6, v5
	v_cmp_ngt_f32_e32 vcc, s10, v6
	v_add_u32_e32 v52, 0x800, v26
	v_add_u32_e32 v53, 0xc00, v26
	;; [unrolled: 1-line block ×6, first 2 shown]
	s_waitcnt vmcnt(0) lgkmcnt(0)
	ds_write_b128 v19, v[0:3]
	flat_load_dwordx4 v[0:3], v[32:33]
	v_lshl_add_u64 v[32:33], v[30:31], 2, s[18:19]
	v_lshl_or_b32 v19, v20, 7, v8
	v_lshl_add_u64 v[32:33], v[32:33], 0, v[8:9]
	v_cndmask_b32_e64 v33, v29, v33, s[4:5]
	v_cndmask_b32_e64 v32, v34, v32, s[4:5]
	scratch_store_dword off, v9, off
	scratch_store_dwordx3 off, v[36:38], off offset:4
	v_add_u32_e32 v20, s2, v30
	s_mov_b32 s2, 0x10001
	s_waitcnt vmcnt(0) lgkmcnt(0)
	ds_write_b128 v19, v[0:3]
	flat_load_dwordx4 v[0:3], v[32:33]
	v_lshl_or_b32 v19, v21, 7, v8
	v_ashrrev_i32_e32 v21, 31, v20
	v_lshl_add_u64 v[20:21], v[20:21], 2, s[18:19]
	v_lshl_add_u64 v[20:21], v[20:21], 0, v[8:9]
	v_cndmask_b32_e64 v21, v29, v21, s[8:9]
	v_cndmask_b32_e64 v20, v34, v20, s[8:9]
	scratch_store_dword off, v9, off
	scratch_store_dwordx3 off, v[36:38], off offset:4
	v_mul_f32_e32 v9, 0x3fb8aa3b, v6
	v_lshl_or_b32 v8, v22, 7, v8
	s_waitcnt vmcnt(0) lgkmcnt(0)
	ds_write_b128 v19, v[0:3]
	flat_load_dwordx4 v[0:3], v[20:21]
	v_fma_f32 v20, v6, s15, -v9
	v_rndne_f32_e32 v21, v9
	v_fmac_f32_e32 v20, 0x32a5705f, v6
	v_sub_f32_e32 v9, v9, v21
	v_add_f32_e32 v9, v9, v20
	v_cvt_i32_f32_e32 v21, v21
	v_exp_f32_e32 v9, v9
	v_add_u32_e32 v19, 0x400, v26
	v_ldexp_f32 v9, v9, v21
	v_cndmask_b32_e32 v9, 0, v9, vcc
	v_cmp_nlt_f32_e32 vcc, s14, v6
	v_mov_b32_e32 v6, v5
	v_add_f32_e32 v5, v27, v28
	v_cndmask_b32_e32 v9, v23, v9, vcc
	v_cvt_f16_f32_e32 v20, v9
	v_fmac_f32_e32 v5, v7, v9
	v_mul_u32_u24_e32 v7, 0x10001, v20
	s_waitcnt vmcnt(0) lgkmcnt(0)
	ds_write_b128 v8, v[0:3]
	s_waitcnt lgkmcnt(0)
	s_barrier
	ds_read_b128 v[0:3], v25 offset:9216
	ds_read_b128 v[20:23], v25 offset:9232
	;; [unrolled: 1-line block ×8, first 2 shown]
	ds_read2_b32 v[8:9], v26 offset1:32
	s_waitcnt lgkmcnt(8)
	v_mul_u32_u24_sdwa v25, v0, s2 dst_sel:DWORD dst_unused:UNUSED_PAD src0_sel:WORD_0 src1_sel:DWORD
	v_mul_u32_u24_sdwa v27, v0, s2 dst_sel:DWORD dst_unused:UNUSED_PAD src0_sel:WORD_1 src1_sel:DWORD
	v_mul_u32_u24_sdwa v58, v1, s2 dst_sel:DWORD dst_unused:UNUSED_PAD src0_sel:WORD_0 src1_sel:DWORD
	v_mul_u32_u24_sdwa v59, v1, s2 dst_sel:DWORD dst_unused:UNUSED_PAD src0_sel:WORD_1 src1_sel:DWORD
	ds_read2_b32 v[0:1], v26 offset0:64 offset1:96
	v_mul_u32_u24_sdwa v60, v2, s2 dst_sel:DWORD dst_unused:UNUSED_PAD src0_sel:WORD_0 src1_sel:DWORD
	v_mul_u32_u24_sdwa v61, v2, s2 dst_sel:DWORD dst_unused:UNUSED_PAD src0_sel:WORD_1 src1_sel:DWORD
	s_waitcnt lgkmcnt(1)
	v_pk_mul_f16 v2, v8, v25
	v_mul_u32_u24_sdwa v62, v3, s2 dst_sel:DWORD dst_unused:UNUSED_PAD src0_sel:WORD_0 src1_sel:DWORD
	v_mul_u32_u24_sdwa v63, v3, s2 dst_sel:DWORD dst_unused:UNUSED_PAD src0_sel:WORD_1 src1_sel:DWORD
	v_mul_u32_u24_sdwa v64, v20, s2 dst_sel:DWORD dst_unused:UNUSED_PAD src0_sel:WORD_0 src1_sel:DWORD
	v_mul_u32_u24_sdwa v65, v20, s2 dst_sel:DWORD dst_unused:UNUSED_PAD src0_sel:WORD_1 src1_sel:DWORD
	;; [unrolled: 2-line block ×3, first 2 shown]
	v_pk_fma_f16 v7, v15, v7, v2
	ds_read2_b32 v[2:3], v26 offset0:128 offset1:160
	ds_read2_b32 v[20:21], v26 offset0:192 offset1:224
	v_pk_fma_f16 v7, v9, v27, v7
	ds_read2_b32 v[8:9], v19 offset1:32
	s_waitcnt lgkmcnt(3)
	v_pk_fma_f16 v0, v0, v58, v7
	v_mul_u32_u24_sdwa v68, v22, s2 dst_sel:DWORD dst_unused:UNUSED_PAD src0_sel:WORD_0 src1_sel:DWORD
	v_pk_fma_f16 v7, v1, v59, v0
	v_mul_u32_u24_sdwa v69, v22, s2 dst_sel:DWORD dst_unused:UNUSED_PAD src0_sel:WORD_1 src1_sel:DWORD
	s_waitcnt lgkmcnt(2)
	v_pk_fma_f16 v2, v2, v60, v7
	v_mul_u32_u24_sdwa v70, v23, s2 dst_sel:DWORD dst_unused:UNUSED_PAD src0_sel:WORD_0 src1_sel:DWORD
	v_mul_u32_u24_sdwa v71, v23, s2 dst_sel:DWORD dst_unused:UNUSED_PAD src0_sel:WORD_1 src1_sel:DWORD
	ds_read2_b32 v[22:23], v19 offset0:64 offset1:96
	v_pk_fma_f16 v7, v3, v61, v2
	ds_read2_b32 v[0:1], v19 offset0:128 offset1:160
	ds_read2_b32 v[26:27], v19 offset0:192 offset1:224
	s_waitcnt lgkmcnt(4)
	v_pk_fma_f16 v7, v20, v62, v7
	v_mul_u32_u24_sdwa v72, v28, s2 dst_sel:DWORD dst_unused:UNUSED_PAD src0_sel:WORD_0 src1_sel:DWORD
	v_pk_fma_f16 v7, v21, v63, v7
	v_mul_u32_u24_sdwa v73, v28, s2 dst_sel:DWORD dst_unused:UNUSED_PAD src0_sel:WORD_1 src1_sel:DWORD
	s_waitcnt lgkmcnt(3)
	v_pk_fma_f16 v7, v8, v64, v7
	v_mul_u32_u24_sdwa v74, v29, s2 dst_sel:DWORD dst_unused:UNUSED_PAD src0_sel:WORD_0 src1_sel:DWORD
	v_pk_fma_f16 v7, v9, v65, v7
	v_mul_u32_u24_sdwa v75, v29, s2 dst_sel:DWORD dst_unused:UNUSED_PAD src0_sel:WORD_1 src1_sel:DWORD
	s_waitcnt lgkmcnt(2)
	v_pk_fma_f16 v7, v22, v66, v7
	ds_read2_b32 v[2:3], v52 offset1:32
	ds_read2_b32 v[28:29], v52 offset0:64 offset1:96
	v_pk_fma_f16 v7, v23, v67, v7
	v_mul_u32_u24_sdwa v76, v30, s2 dst_sel:DWORD dst_unused:UNUSED_PAD src0_sel:WORD_0 src1_sel:DWORD
	s_waitcnt lgkmcnt(3)
	v_pk_fma_f16 v0, v0, v68, v7
	v_mul_u32_u24_sdwa v77, v30, s2 dst_sel:DWORD dst_unused:UNUSED_PAD src0_sel:WORD_1 src1_sel:DWORD
	v_pk_fma_f16 v7, v1, v69, v0
	v_mul_u32_u24_sdwa v78, v31, s2 dst_sel:DWORD dst_unused:UNUSED_PAD src0_sel:WORD_0 src1_sel:DWORD
	s_waitcnt lgkmcnt(2)
	v_pk_fma_f16 v7, v26, v70, v7
	v_mul_u32_u24_sdwa v79, v31, s2 dst_sel:DWORD dst_unused:UNUSED_PAD src0_sel:WORD_1 src1_sel:DWORD
	v_pk_fma_f16 v7, v27, v71, v7
	ds_read2_b32 v[20:21], v52 offset0:128 offset1:160
	ds_read2_b32 v[30:31], v52 offset0:192 offset1:224
	s_waitcnt lgkmcnt(3)
	v_pk_fma_f16 v2, v2, v72, v7
	v_mul_u32_u24_sdwa v80, v32, s2 dst_sel:DWORD dst_unused:UNUSED_PAD src0_sel:WORD_0 src1_sel:DWORD
	v_pk_fma_f16 v7, v3, v73, v2
	v_mul_u32_u24_sdwa v81, v32, s2 dst_sel:DWORD dst_unused:UNUSED_PAD src0_sel:WORD_1 src1_sel:DWORD
	s_waitcnt lgkmcnt(2)
	v_pk_fma_f16 v7, v28, v74, v7
	v_mul_u32_u24_sdwa v82, v33, s2 dst_sel:DWORD dst_unused:UNUSED_PAD src0_sel:WORD_0 src1_sel:DWORD
	v_mul_u32_u24_sdwa v83, v33, s2 dst_sel:DWORD dst_unused:UNUSED_PAD src0_sel:WORD_1 src1_sel:DWORD
	ds_read2_b32 v[32:33], v53 offset1:32
	v_pk_fma_f16 v7, v29, v75, v7
	ds_read2_b32 v[8:9], v53 offset0:64 offset1:96
	s_waitcnt lgkmcnt(3)
	v_pk_fma_f16 v7, v20, v76, v7
	v_mul_u32_u24_sdwa v84, v34, s2 dst_sel:DWORD dst_unused:UNUSED_PAD src0_sel:WORD_0 src1_sel:DWORD
	v_pk_fma_f16 v7, v21, v77, v7
	v_mul_u32_u24_sdwa v85, v34, s2 dst_sel:DWORD dst_unused:UNUSED_PAD src0_sel:WORD_1 src1_sel:DWORD
	s_waitcnt lgkmcnt(2)
	v_pk_fma_f16 v7, v30, v78, v7
	v_mul_u32_u24_sdwa v86, v35, s2 dst_sel:DWORD dst_unused:UNUSED_PAD src0_sel:WORD_0 src1_sel:DWORD
	v_mul_u32_u24_sdwa v87, v35, s2 dst_sel:DWORD dst_unused:UNUSED_PAD src0_sel:WORD_1 src1_sel:DWORD
	ds_read2_b32 v[34:35], v53 offset0:128 offset1:160
	v_pk_fma_f16 v7, v31, v79, v7
	v_mul_u32_u24_sdwa v88, v36, s2 dst_sel:DWORD dst_unused:UNUSED_PAD src0_sel:WORD_0 src1_sel:DWORD
	s_waitcnt lgkmcnt(2)
	v_pk_fma_f16 v7, v32, v80, v7
	v_mul_u32_u24_sdwa v89, v36, s2 dst_sel:DWORD dst_unused:UNUSED_PAD src0_sel:WORD_1 src1_sel:DWORD
	v_pk_fma_f16 v7, v33, v81, v7
	v_mul_u32_u24_sdwa v90, v37, s2 dst_sel:DWORD dst_unused:UNUSED_PAD src0_sel:WORD_0 src1_sel:DWORD
	v_mul_u32_u24_sdwa v91, v37, s2 dst_sel:DWORD dst_unused:UNUSED_PAD src0_sel:WORD_1 src1_sel:DWORD
	ds_read2_b32 v[22:23], v53 offset0:192 offset1:224
	ds_read2_b32 v[36:37], v54 offset1:32
	s_waitcnt lgkmcnt(3)
	v_pk_fma_f16 v7, v8, v82, v7
	v_mul_u32_u24_sdwa v92, v38, s2 dst_sel:DWORD dst_unused:UNUSED_PAD src0_sel:WORD_0 src1_sel:DWORD
	v_pk_fma_f16 v7, v9, v83, v7
	v_mul_u32_u24_sdwa v93, v38, s2 dst_sel:DWORD dst_unused:UNUSED_PAD src0_sel:WORD_1 src1_sel:DWORD
	s_waitcnt lgkmcnt(2)
	v_pk_fma_f16 v7, v34, v84, v7
	v_mul_u32_u24_sdwa v94, v39, s2 dst_sel:DWORD dst_unused:UNUSED_PAD src0_sel:WORD_0 src1_sel:DWORD
	v_pk_fma_f16 v7, v35, v85, v7
	v_mul_u32_u24_sdwa v95, v39, s2 dst_sel:DWORD dst_unused:UNUSED_PAD src0_sel:WORD_1 src1_sel:DWORD
	ds_read2_b32 v[0:1], v54 offset0:64 offset1:96
	ds_read2_b32 v[38:39], v54 offset0:128 offset1:160
	s_waitcnt lgkmcnt(3)
	v_pk_fma_f16 v7, v22, v86, v7
	v_mul_u32_u24_sdwa v96, v40, s2 dst_sel:DWORD dst_unused:UNUSED_PAD src0_sel:WORD_0 src1_sel:DWORD
	v_pk_fma_f16 v7, v23, v87, v7
	v_mul_u32_u24_sdwa v97, v40, s2 dst_sel:DWORD dst_unused:UNUSED_PAD src0_sel:WORD_1 src1_sel:DWORD
	s_waitcnt lgkmcnt(2)
	v_pk_fma_f16 v7, v36, v88, v7
	v_mul_u32_u24_sdwa v98, v41, s2 dst_sel:DWORD dst_unused:UNUSED_PAD src0_sel:WORD_0 src1_sel:DWORD
	v_mul_u32_u24_sdwa v99, v41, s2 dst_sel:DWORD dst_unused:UNUSED_PAD src0_sel:WORD_1 src1_sel:DWORD
	ds_read2_b32 v[40:41], v54 offset0:192 offset1:224
	v_pk_fma_f16 v7, v37, v89, v7
	ds_read2_b32 v[26:27], v55 offset1:32
	s_waitcnt lgkmcnt(3)
	v_pk_fma_f16 v0, v0, v90, v7
	v_mul_u32_u24_sdwa v100, v42, s2 dst_sel:DWORD dst_unused:UNUSED_PAD src0_sel:WORD_0 src1_sel:DWORD
	v_pk_fma_f16 v0, v1, v91, v0
	v_mul_u32_u24_sdwa v101, v42, s2 dst_sel:DWORD dst_unused:UNUSED_PAD src0_sel:WORD_1 src1_sel:DWORD
	s_waitcnt lgkmcnt(2)
	v_pk_fma_f16 v0, v38, v92, v0
	v_mul_u32_u24_sdwa v102, v43, s2 dst_sel:DWORD dst_unused:UNUSED_PAD src0_sel:WORD_0 src1_sel:DWORD
	v_mul_u32_u24_sdwa v103, v43, s2 dst_sel:DWORD dst_unused:UNUSED_PAD src0_sel:WORD_1 src1_sel:DWORD
	ds_read2_b32 v[42:43], v55 offset0:64 offset1:96
	v_pk_fma_f16 v0, v39, v93, v0
	v_mul_u32_u24_sdwa v104, v44, s2 dst_sel:DWORD dst_unused:UNUSED_PAD src0_sel:WORD_0 src1_sel:DWORD
	s_waitcnt lgkmcnt(2)
	v_pk_fma_f16 v0, v40, v94, v0
	v_mul_u32_u24_sdwa v105, v44, s2 dst_sel:DWORD dst_unused:UNUSED_PAD src0_sel:WORD_1 src1_sel:DWORD
	v_pk_fma_f16 v0, v41, v95, v0
	v_mul_u32_u24_sdwa v106, v45, s2 dst_sel:DWORD dst_unused:UNUSED_PAD src0_sel:WORD_0 src1_sel:DWORD
	v_mul_u32_u24_sdwa v107, v45, s2 dst_sel:DWORD dst_unused:UNUSED_PAD src0_sel:WORD_1 src1_sel:DWORD
	ds_read2_b32 v[2:3], v55 offset0:128 offset1:160
	ds_read2_b32 v[44:45], v55 offset0:192 offset1:224
	s_waitcnt lgkmcnt(3)
	v_pk_fma_f16 v0, v26, v96, v0
	v_mul_u32_u24_sdwa v108, v46, s2 dst_sel:DWORD dst_unused:UNUSED_PAD src0_sel:WORD_0 src1_sel:DWORD
	v_pk_fma_f16 v0, v27, v97, v0
	v_mul_u32_u24_sdwa v109, v46, s2 dst_sel:DWORD dst_unused:UNUSED_PAD src0_sel:WORD_1 src1_sel:DWORD
	s_waitcnt lgkmcnt(2)
	v_pk_fma_f16 v0, v42, v98, v0
	v_mul_u32_u24_sdwa v110, v47, s2 dst_sel:DWORD dst_unused:UNUSED_PAD src0_sel:WORD_0 src1_sel:DWORD
	v_pk_fma_f16 v0, v43, v99, v0
	v_mul_u32_u24_sdwa v111, v47, s2 dst_sel:DWORD dst_unused:UNUSED_PAD src0_sel:WORD_1 src1_sel:DWORD
	ds_read2_b32 v[28:29], v56 offset1:32
	ds_read2_b32 v[46:47], v56 offset0:64 offset1:96
	s_waitcnt lgkmcnt(3)
	v_pk_fma_f16 v0, v2, v100, v0
	v_mul_u32_u24_sdwa v112, v48, s2 dst_sel:DWORD dst_unused:UNUSED_PAD src0_sel:WORD_0 src1_sel:DWORD
	v_pk_fma_f16 v0, v3, v101, v0
	v_mul_u32_u24_sdwa v113, v48, s2 dst_sel:DWORD dst_unused:UNUSED_PAD src0_sel:WORD_1 src1_sel:DWORD
	s_waitcnt lgkmcnt(2)
	v_pk_fma_f16 v0, v44, v102, v0
	v_mul_u32_u24_sdwa v114, v49, s2 dst_sel:DWORD dst_unused:UNUSED_PAD src0_sel:WORD_0 src1_sel:DWORD
	v_pk_fma_f16 v0, v45, v103, v0
	v_mul_u32_u24_sdwa v115, v49, s2 dst_sel:DWORD dst_unused:UNUSED_PAD src0_sel:WORD_1 src1_sel:DWORD
	ds_read2_b32 v[20:21], v56 offset0:128 offset1:160
	ds_read2_b32 v[48:49], v56 offset0:192 offset1:224
	s_waitcnt lgkmcnt(3)
	v_pk_fma_f16 v0, v28, v104, v0
	v_mul_u32_u24_sdwa v116, v50, s2 dst_sel:DWORD dst_unused:UNUSED_PAD src0_sel:WORD_0 src1_sel:DWORD
	v_pk_fma_f16 v0, v29, v105, v0
	v_mul_u32_u24_sdwa v117, v50, s2 dst_sel:DWORD dst_unused:UNUSED_PAD src0_sel:WORD_1 src1_sel:DWORD
	s_waitcnt lgkmcnt(2)
	v_pk_fma_f16 v0, v46, v106, v0
	v_mul_u32_u24_sdwa v118, v51, s2 dst_sel:DWORD dst_unused:UNUSED_PAD src0_sel:WORD_0 src1_sel:DWORD
	v_mul_u32_u24_sdwa v119, v51, s2 dst_sel:DWORD dst_unused:UNUSED_PAD src0_sel:WORD_1 src1_sel:DWORD
	ds_read2_b32 v[50:51], v57 offset1:32
	v_pk_fma_f16 v0, v47, v107, v0
	ds_read2_b32 v[30:31], v57 offset0:64 offset1:96
	s_waitcnt lgkmcnt(3)
	v_pk_fma_f16 v0, v20, v108, v0
	ds_read2_b32 v[52:53], v57 offset0:128 offset1:160
	v_pk_fma_f16 v0, v21, v109, v0
	ds_read2_b32 v[32:33], v57 offset0:192 offset1:224
	s_waitcnt lgkmcnt(4)
	v_pk_fma_f16 v0, v48, v110, v0
	v_mov_b32_e32 v7, v5
	v_pk_fma_f16 v0, v49, v111, v0
	s_waitcnt lgkmcnt(0)
	v_pk_fma_f16 v0, v50, v112, v0
	s_barrier
	v_pk_fma_f16 v0, v51, v113, v0
	s_nop 0
	v_pk_fma_f16 v0, v30, v114, v0
	s_nop 0
	;; [unrolled: 2-line block ×6, first 2 shown]
	v_pk_fma_f16 v15, v33, v119, v0
.LBB65_29:
	v_cmp_lt_i32_e32 vcc, v14, v12
	s_cmp_eq_u64 s[16:17], 0
	s_cselect_b64 s[4:5], -1, 0
	v_cndmask_b32_e32 v0, v11, v14, vcc
	v_lshlrev_b32_e32 v0, 2, v0
	ds_bpermute_b32 v0, v0, v7
	v_cmp_lt_i32_e32 vcc, v13, v12
	s_cmp_lg_u32 s3, 0
	s_cselect_b64 s[6:7], -1, 0
	v_cndmask_b32_e32 v1, v11, v13, vcc
	v_lshlrev_b32_e32 v1, 2, v1
	s_waitcnt lgkmcnt(0)
	v_add_f32_e32 v0, v7, v0
	ds_bpermute_b32 v1, v1, v0
	v_cmp_lt_i32_e32 vcc, v16, v12
	s_or_b64 s[4:5], s[6:7], s[4:5]
	s_waitcnt lgkmcnt(0)
	v_add_f32_e32 v0, v0, v1
	v_cndmask_b32_e32 v2, v11, v16, vcc
	v_lshlrev_b32_e32 v2, 2, v2
	ds_bpermute_b32 v1, v2, v0
	v_cmp_lt_i32_e32 vcc, v17, v12
	s_waitcnt lgkmcnt(0)
	v_add_f32_e32 v0, v0, v1
	v_cndmask_b32_e32 v2, v11, v17, vcc
	v_lshlrev_b32_e32 v2, 2, v2
	ds_bpermute_b32 v1, v2, v0
	v_cmp_lt_i32_e32 vcc, v18, v12
	s_waitcnt lgkmcnt(0)
	v_add_f32_e32 v0, v0, v1
	v_cndmask_b32_e32 v2, v11, v18, vcc
	v_lshlrev_b32_e32 v2, 2, v2
	ds_bpermute_b32 v1, v2, v0
	s_and_b64 vcc, exec, s[4:5]
	s_waitcnt lgkmcnt(0)
	v_add_f32_e32 v7, v0, v1
	s_cbranch_vccnz .LBB65_32
; %bb.30:
	s_lshl_b64 s[4:5], s[34:35], 2
	s_add_u32 s4, s16, s4
	s_addc_u32 s5, s17, s5
	v_mov_b32_e32 v0, 0
	global_load_dword v1, v0, s[4:5]
	v_max_f32_e32 v0, v6, v6
	s_mov_b32 s2, 0x3fb8aa3b
	s_mov_b32 s4, 0xc2ce8ed0
	s_waitcnt vmcnt(0)
	v_max_f32_e32 v2, v1, v1
	v_max_f32_e32 v0, v0, v2
	v_sub_f32_e32 v2, v6, v0
	v_sub_f32_e32 v1, v1, v0
	v_mul_f32_e32 v3, 0x3fb8aa3b, v2
	v_mul_f32_e32 v5, 0x3fb8aa3b, v1
	v_fma_f32 v6, v2, s2, -v3
	v_rndne_f32_e32 v8, v3
	v_fma_f32 v9, v1, s2, -v5
	v_rndne_f32_e32 v11, v5
	v_fmac_f32_e32 v6, 0x32a5705f, v2
	v_sub_f32_e32 v3, v3, v8
	v_fmac_f32_e32 v9, 0x32a5705f, v1
	v_sub_f32_e32 v5, v5, v11
	v_add_f32_e32 v3, v3, v6
	v_cvt_i32_f32_e32 v8, v8
	v_add_f32_e32 v5, v5, v9
	v_exp_f32_e32 v3, v3
	v_cvt_i32_f32_e32 v11, v11
	v_exp_f32_e32 v5, v5
	v_cmp_ngt_f32_e32 vcc, s4, v2
	v_ldexp_f32 v3, v3, v8
	s_mov_b32 s2, 0x42b17218
	v_ldexp_f32 v5, v5, v11
	v_cndmask_b32_e32 v3, 0, v3, vcc
	v_cmp_ngt_f32_e32 vcc, s4, v1
	v_mov_b32_e32 v6, 0x7f800000
	s_nop 0
	v_cndmask_b32_e32 v5, 0, v5, vcc
	v_cmp_nlt_f32_e32 vcc, s2, v2
	s_nop 1
	v_cndmask_b32_e32 v2, v6, v3, vcc
	v_cvt_f16_f32_e32 v3, v2
	v_cmp_nlt_f32_e32 vcc, s2, v1
	s_nop 1
	v_cndmask_b32_e32 v1, v6, v5, vcc
	v_fmac_f32_e32 v1, v7, v2
	v_mul_u32_u24_e32 v2, 0x10001, v3
	v_pk_mul_f16 v15, v15, v2
	v_mov_b64_e32 v[6:7], v[0:1]
	v_cmp_gt_i32_e32 vcc, s26, v24
	s_and_saveexec_b64 s[4:5], vcc
	s_cbranch_execnz .LBB65_33
.LBB65_31:
	s_endpgm
.LBB65_32:
	v_mov_b32_e32 v1, v7
	v_cmp_gt_i32_e32 vcc, s26, v24
	s_and_saveexec_b64 s[4:5], vcc
	s_cbranch_execz .LBB65_31
.LBB65_33:
	s_load_dword s2, s[0:1], 0xd4
	v_div_scale_f32 v0, s[0:1], v1, v1, 1.0
	v_rcp_f32_e32 v5, v0
	s_mul_i32 s33, s33, s26
	s_waitcnt lgkmcnt(0)
	s_cmp_lg_u32 s2, 1
	s_cselect_b64 s[0:1], -1, 0
	v_fma_f32 v8, -v0, v5, 1.0
	v_fmac_f32_e32 v5, v8, v5
	v_div_scale_f32 v8, vcc, 1.0, v1, 1.0
	v_mul_f32_e32 v9, v8, v5
	v_fma_f32 v11, -v0, v9, v8
	v_fmac_f32_e32 v9, v11, v5
	v_fma_f32 v0, -v0, v9, v8
	v_div_fmas_f32 v0, v0, v5, v9
	v_div_fixup_f32 v0, v0, v1, 1.0
	v_cndmask_b32_e64 v8, v0, 1.0, s[0:1]
	v_add_u32_e32 v0, s33, v24
	v_mul_lo_u32 v0, v0, s27
	v_add_u32_e32 v0, s34, v0
	v_cvt_f32_f16_sdwa v13, v15 dst_sel:DWORD dst_unused:UNUSED_PAD src0_sel:WORD_1
	v_cvt_f32_f16_e32 v12, v15
	v_mul_lo_u32 v0, s2, v0
	v_add_u32_e32 v0, s3, v0
	v_mov_b32_e32 v2, s20
	v_mov_b32_e32 v3, s21
	v_lshl_add_u32 v10, v0, 6, v10
	v_mov_b32_e32 v11, 0
	v_cmp_eq_u32_e32 vcc, 0, v4
	v_lshl_add_u64 v[2:3], v[10:11], 2, v[2:3]
	s_and_b64 s[0:1], vcc, s[0:1]
	v_pk_mul_f32 v[4:5], v[8:9], v[12:13] op_sel_hi:[0,1]
	global_store_dwordx2 v[2:3], v[4:5], off
	s_and_b64 exec, exec, s[0:1]
	s_cbranch_execz .LBB65_31
; %bb.34:
	v_mov_b32_e32 v2, s22
	v_mov_b32_e32 v3, s23
	v_ashrrev_i32_e32 v1, 31, v0
	v_lshl_add_u64 v[0:1], v[0:1], 3, v[2:3]
	global_store_dwordx2 v[0:1], v[6:7], off
	s_endpgm
	.section	.rodata,"a",@progbits
	.p2align	6, 0x0
	.amdhsa_kernel _ZL15flash_attn_tileILi64ELi64ELi4ELi1ELb0EEvPKcS1_S1_S1_S1_PKiPfP15HIP_vector_typeIfLj2EEffffjfiS5_IjLj3EEiiiiiiiiiiiliiliiiiil
		.amdhsa_group_segment_fixed_size 10240
		.amdhsa_private_segment_fixed_size 32
		.amdhsa_kernarg_size 464
		.amdhsa_user_sgpr_count 2
		.amdhsa_user_sgpr_dispatch_ptr 0
		.amdhsa_user_sgpr_queue_ptr 0
		.amdhsa_user_sgpr_kernarg_segment_ptr 1
		.amdhsa_user_sgpr_dispatch_id 0
		.amdhsa_user_sgpr_kernarg_preload_length 0
		.amdhsa_user_sgpr_kernarg_preload_offset 0
		.amdhsa_user_sgpr_private_segment_size 0
		.amdhsa_uses_dynamic_stack 0
		.amdhsa_enable_private_segment 1
		.amdhsa_system_sgpr_workgroup_id_x 1
		.amdhsa_system_sgpr_workgroup_id_y 1
		.amdhsa_system_sgpr_workgroup_id_z 1
		.amdhsa_system_sgpr_workgroup_info 0
		.amdhsa_system_vgpr_workitem_id 1
		.amdhsa_next_free_vgpr 120
		.amdhsa_next_free_sgpr 48
		.amdhsa_accum_offset 120
		.amdhsa_reserve_vcc 1
		.amdhsa_float_round_mode_32 0
		.amdhsa_float_round_mode_16_64 0
		.amdhsa_float_denorm_mode_32 3
		.amdhsa_float_denorm_mode_16_64 3
		.amdhsa_dx10_clamp 1
		.amdhsa_ieee_mode 1
		.amdhsa_fp16_overflow 0
		.amdhsa_tg_split 0
		.amdhsa_exception_fp_ieee_invalid_op 0
		.amdhsa_exception_fp_denorm_src 0
		.amdhsa_exception_fp_ieee_div_zero 0
		.amdhsa_exception_fp_ieee_overflow 0
		.amdhsa_exception_fp_ieee_underflow 0
		.amdhsa_exception_fp_ieee_inexact 0
		.amdhsa_exception_int_div_zero 0
	.end_amdhsa_kernel
	.section	.text._ZL15flash_attn_tileILi64ELi64ELi4ELi1ELb0EEvPKcS1_S1_S1_S1_PKiPfP15HIP_vector_typeIfLj2EEffffjfiS5_IjLj3EEiiiiiiiiiiiliiliiiiil,"axG",@progbits,_ZL15flash_attn_tileILi64ELi64ELi4ELi1ELb0EEvPKcS1_S1_S1_S1_PKiPfP15HIP_vector_typeIfLj2EEffffjfiS5_IjLj3EEiiiiiiiiiiiliiliiiiil,comdat
.Lfunc_end65:
	.size	_ZL15flash_attn_tileILi64ELi64ELi4ELi1ELb0EEvPKcS1_S1_S1_S1_PKiPfP15HIP_vector_typeIfLj2EEffffjfiS5_IjLj3EEiiiiiiiiiiiliiliiiiil, .Lfunc_end65-_ZL15flash_attn_tileILi64ELi64ELi4ELi1ELb0EEvPKcS1_S1_S1_S1_PKiPfP15HIP_vector_typeIfLj2EEffffjfiS5_IjLj3EEiiiiiiiiiiiliiliiiiil
                                        ; -- End function
	.set _ZL15flash_attn_tileILi64ELi64ELi4ELi1ELb0EEvPKcS1_S1_S1_S1_PKiPfP15HIP_vector_typeIfLj2EEffffjfiS5_IjLj3EEiiiiiiiiiiiliiliiiiil.num_vgpr, 120
	.set _ZL15flash_attn_tileILi64ELi64ELi4ELi1ELb0EEvPKcS1_S1_S1_S1_PKiPfP15HIP_vector_typeIfLj2EEffffjfiS5_IjLj3EEiiiiiiiiiiiliiliiiiil.num_agpr, 0
	.set _ZL15flash_attn_tileILi64ELi64ELi4ELi1ELb0EEvPKcS1_S1_S1_S1_PKiPfP15HIP_vector_typeIfLj2EEffffjfiS5_IjLj3EEiiiiiiiiiiiliiliiiiil.numbered_sgpr, 48
	.set _ZL15flash_attn_tileILi64ELi64ELi4ELi1ELb0EEvPKcS1_S1_S1_S1_PKiPfP15HIP_vector_typeIfLj2EEffffjfiS5_IjLj3EEiiiiiiiiiiiliiliiiiil.num_named_barrier, 0
	.set _ZL15flash_attn_tileILi64ELi64ELi4ELi1ELb0EEvPKcS1_S1_S1_S1_PKiPfP15HIP_vector_typeIfLj2EEffffjfiS5_IjLj3EEiiiiiiiiiiiliiliiiiil.private_seg_size, 32
	.set _ZL15flash_attn_tileILi64ELi64ELi4ELi1ELb0EEvPKcS1_S1_S1_S1_PKiPfP15HIP_vector_typeIfLj2EEffffjfiS5_IjLj3EEiiiiiiiiiiiliiliiiiil.uses_vcc, 1
	.set _ZL15flash_attn_tileILi64ELi64ELi4ELi1ELb0EEvPKcS1_S1_S1_S1_PKiPfP15HIP_vector_typeIfLj2EEffffjfiS5_IjLj3EEiiiiiiiiiiiliiliiiiil.uses_flat_scratch, 0
	.set _ZL15flash_attn_tileILi64ELi64ELi4ELi1ELb0EEvPKcS1_S1_S1_S1_PKiPfP15HIP_vector_typeIfLj2EEffffjfiS5_IjLj3EEiiiiiiiiiiiliiliiiiil.has_dyn_sized_stack, 0
	.set _ZL15flash_attn_tileILi64ELi64ELi4ELi1ELb0EEvPKcS1_S1_S1_S1_PKiPfP15HIP_vector_typeIfLj2EEffffjfiS5_IjLj3EEiiiiiiiiiiiliiliiiiil.has_recursion, 0
	.set _ZL15flash_attn_tileILi64ELi64ELi4ELi1ELb0EEvPKcS1_S1_S1_S1_PKiPfP15HIP_vector_typeIfLj2EEffffjfiS5_IjLj3EEiiiiiiiiiiiliiliiiiil.has_indirect_call, 0
	.section	.AMDGPU.csdata,"",@progbits
; Kernel info:
; codeLenInByte = 11804
; TotalNumSgprs: 54
; NumVgprs: 120
; NumAgprs: 0
; TotalNumVgprs: 120
; ScratchSize: 32
; MemoryBound: 0
; FloatMode: 240
; IeeeMode: 1
; LDSByteSize: 10240 bytes/workgroup (compile time only)
; SGPRBlocks: 6
; VGPRBlocks: 14
; NumSGPRsForWavesPerEU: 54
; NumVGPRsForWavesPerEU: 120
; AccumOffset: 120
; Occupancy: 4
; WaveLimiterHint : 1
; COMPUTE_PGM_RSRC2:SCRATCH_EN: 1
; COMPUTE_PGM_RSRC2:USER_SGPR: 2
; COMPUTE_PGM_RSRC2:TRAP_HANDLER: 0
; COMPUTE_PGM_RSRC2:TGID_X_EN: 1
; COMPUTE_PGM_RSRC2:TGID_Y_EN: 1
; COMPUTE_PGM_RSRC2:TGID_Z_EN: 1
; COMPUTE_PGM_RSRC2:TIDIG_COMP_CNT: 1
; COMPUTE_PGM_RSRC3_GFX90A:ACCUM_OFFSET: 29
; COMPUTE_PGM_RSRC3_GFX90A:TG_SPLIT: 0
	.section	.text._ZL33flash_attn_stream_k_fixup_uniformILi64ELi4ELi1EEvPfPK15HIP_vector_typeIfLj2EEiiiiiiS1_IjLj3EES5_S5_,"axG",@progbits,_ZL33flash_attn_stream_k_fixup_uniformILi64ELi4ELi1EEvPfPK15HIP_vector_typeIfLj2EEiiiiiiS1_IjLj3EES5_S5_,comdat
	.globl	_ZL33flash_attn_stream_k_fixup_uniformILi64ELi4ELi1EEvPfPK15HIP_vector_typeIfLj2EEiiiiiiS1_IjLj3EES5_S5_ ; -- Begin function _ZL33flash_attn_stream_k_fixup_uniformILi64ELi4ELi1EEvPfPK15HIP_vector_typeIfLj2EEiiiiiiS1_IjLj3EES5_S5_
	.p2align	8
	.type	_ZL33flash_attn_stream_k_fixup_uniformILi64ELi4ELi1EEvPfPK15HIP_vector_typeIfLj2EEiiiiiiS1_IjLj3EES5_S5_,@function
_ZL33flash_attn_stream_k_fixup_uniformILi64ELi4ELi1EEvPfPK15HIP_vector_typeIfLj2EEiiiiiiS1_IjLj3EES5_S5_: ; @_ZL33flash_attn_stream_k_fixup_uniformILi64ELi4ELi1EEvPfPK15HIP_vector_typeIfLj2EEiiiiiiS1_IjLj3EES5_S5_
; %bb.0:
	s_load_dwordx8 s[8:15], s[0:1], 0x1c
	s_load_dwordx2 s[6:7], s[0:1], 0x10
	s_load_dwordx4 s[20:23], s[0:1], 0x3c
	s_waitcnt lgkmcnt(0)
	s_mul_hi_u32 s5, s11, s2
	s_add_i32 s5, s2, s5
	s_lshr_b32 s5, s5, s12
	s_mul_i32 s11, s5, s13
	s_sub_i32 s11, s2, s11
	s_mul_hi_u32 s12, s11, s14
	s_add_i32 s12, s11, s12
	s_lshr_b32 s16, s12, s15
	s_mul_i32 s12, s16, s20
	s_sub_i32 s12, s11, s12
	s_mul_hi_u32 s11, s12, s21
	s_add_i32 s11, s12, s11
	s_lshr_b32 s11, s11, s22
	s_mul_i32 s13, s11, s23
	s_sub_i32 s17, s12, s13
	s_lshl_b32 s12, s17, 2
	s_add_i32 s12, s12, s3
	s_cmp_lt_i32 s12, s6
	s_cselect_b64 s[12:13], -1, 0
	s_add_i32 s14, s11, s4
	s_cmp_lt_i32 s14, s9
	s_cselect_b64 s[14:15], -1, 0
	s_and_b64 s[12:13], s[12:13], s[14:15]
	s_andn2_b64 vcc, exec, s[12:13]
	s_cbranch_vccnz .LBB66_6
; %bb.1:
	s_load_dwordx4 s[12:15], s[0:1], 0x0
	s_mul_i32 s0, s5, s6
	s_add_i32 s0, s0, s3
	s_mul_i32 s0, s0, s7
	s_mul_i32 s16, s16, s9
	s_add_i32 s0, s0, s4
	s_add_i32 s0, s0, s16
	s_mul_i32 s1, s7, s17
	s_add_i32 s0, s0, s11
	s_lshl_b32 s1, s1, 8
	s_lshl_b32 s0, s0, 6
	s_add_i32 s1, s1, s0
	v_or_b32_e32 v4, s1, v0
	s_waitcnt lgkmcnt(0)
	v_mov_b32_e32 v2, s12
	v_mov_b32_e32 v3, s13
	v_ashrrev_i32_e32 v5, 31, v4
	v_lshl_add_u64 v[2:3], v[4:5], 2, v[2:3]
	global_load_dword v5, v[2:3], off
	s_mul_i32 s6, s10, s2
	s_add_i32 s7, s6, s10
	s_add_i32 s3, s3, s4
	s_lshl_b32 s0, s7, 2
	s_add_i32 s0, s3, s0
	s_add_i32 s0, s0, -4
	s_ashr_i32 s1, s0, 31
	s_lshl_b64 s[0:1], s[0:1], 3
	s_add_u32 s0, s14, s0
	s_addc_u32 s1, s15, s1
	s_load_dword s9, s[0:1], 0x4
	s_add_i32 s4, s7, -2
	s_cmp_lt_i32 s4, s6
	s_cbranch_scc1 .LBB66_4
; %bb.2:
	s_lshl_b32 s4, s8, 4
	s_ashr_i32 s5, s4, 31
	s_lshl_b64 s[4:5], s[4:5], 2
	s_add_u32 s4, s14, s4
	s_addc_u32 s5, s15, s5
	s_add_i32 s2, s2, 1
	s_mul_i32 s2, s10, s2
	s_load_dword s0, s[0:1], 0x0
	s_lshl_b32 s1, s3, 6
	s_lshl_b32 s10, s2, 8
	s_add_i32 s1, s1, s10
	v_or_b32_e32 v0, s1, v0
	s_lshl_b32 s1, s2, 2
	s_add_i32 s1, s3, s1
	s_lshl_b32 s2, s8, 2
	s_add_i32 s1, s1, s2
	s_add_i32 s7, s7, -1
	v_add_u32_e32 v0, 0xfffffe00, v0
	s_add_i32 s2, s1, -8
	s_waitcnt lgkmcnt(0)
	v_mov_b32_e32 v7, s0
	v_mov_b32_e32 v4, s9
	s_mov_b32 s8, 0x3fb8aa3b
	s_mov_b32 s9, 0xc2ce8ed0
	;; [unrolled: 1-line block ×3, first 2 shown]
	v_mov_b32_e32 v6, 0x7f800000
	s_mov_b32 s11, 0xc1a00000
.LBB66_3:                               ; =>This Inner Loop Header: Depth=1
	v_ashrrev_i32_e32 v1, 31, v0
	v_lshl_add_u64 v[8:9], v[0:1], 2, s[4:5]
	global_load_dword v9, v[8:9], off
	s_ashr_i32 s3, s2, 31
	s_lshl_b64 s[0:1], s[2:3], 3
	s_add_u32 s0, s14, s0
	s_addc_u32 s1, s15, s1
	s_load_dwordx2 s[0:1], s[0:1], 0x0
	v_max_f32_e32 v1, v7, v7
	s_add_i32 s7, s7, -1
	s_add_i32 s2, s2, -4
	v_add_u32_e32 v0, 0xffffff00, v0
	s_waitcnt lgkmcnt(0)
	v_max_f32_e64 v10, s0, s0
	v_max_f32_e32 v1, v1, v10
	v_sub_f32_e32 v11, s0, v1
	v_sub_f32_e32 v10, v7, v1
	v_mul_f32_e32 v12, 0x3fb8aa3b, v11
	v_mov_b32_e32 v7, v1
	v_mul_f32_e32 v1, 0x3fb8aa3b, v10
	v_fma_f32 v15, v11, s8, -v12
	v_rndne_f32_e32 v16, v12
	v_fma_f32 v13, v10, s8, -v1
	v_rndne_f32_e32 v14, v1
	v_fmac_f32_e32 v15, 0x32a5705f, v11
	v_sub_f32_e32 v12, v12, v16
	v_fmac_f32_e32 v13, 0x32a5705f, v10
	v_sub_f32_e32 v1, v1, v14
	v_add_f32_e32 v12, v12, v15
	v_cvt_i32_f32_e32 v16, v16
	v_add_f32_e32 v1, v1, v13
	v_exp_f32_e32 v12, v12
	v_cvt_i32_f32_e32 v14, v14
	v_exp_f32_e32 v1, v1
	v_cmp_ngt_f32_e32 vcc, s9, v11
	v_ldexp_f32 v12, v12, v16
	v_mov_b32_e32 v8, s1
	v_ldexp_f32 v1, v1, v14
	v_cmp_ngt_f32_e64 s[0:1], s9, v10
	v_cndmask_b32_e32 v12, 0, v12, vcc
	v_cmp_nlt_f32_e32 vcc, s10, v11
	v_cndmask_b32_e64 v1, 0, v1, s[0:1]
	v_cmp_nlt_f32_e64 s[0:1], s10, v10
	v_cndmask_b32_e32 v12, v6, v12, vcc
	v_cmp_le_f32_e32 vcc, s11, v11
	v_cndmask_b32_e64 v1, v6, v1, s[0:1]
	v_cmp_le_f32_e64 s[0:1], s11, v10
	v_cndmask_b32_e32 v12, 0, v12, vcc
	s_cmp_le_i32 s7, s6
	v_cndmask_b32_e64 v10, 0, v1, s[0:1]
	s_waitcnt vmcnt(0)
	v_pk_mul_f32 v[8:9], v[8:9], v[12:13] op_sel_hi:[1,0]
	s_nop 0
	v_pk_fma_f32 v[4:5], v[4:5], v[10:11], v[8:9] op_sel_hi:[1,0,1]
	s_cbranch_scc0 .LBB66_3
	s_branch .LBB66_5
.LBB66_4:
	s_waitcnt lgkmcnt(0)
	v_mov_b32_e32 v4, s9
.LBB66_5:
	s_waitcnt vmcnt(0)
	v_div_scale_f32 v0, s[0:1], v4, v4, v5
	v_rcp_f32_e32 v1, v0
	v_div_scale_f32 v6, vcc, v5, v4, v5
	v_fma_f32 v7, -v0, v1, 1.0
	v_fmac_f32_e32 v1, v7, v1
	v_mul_f32_e32 v7, v6, v1
	v_fma_f32 v8, -v0, v7, v6
	v_fmac_f32_e32 v7, v8, v1
	v_fma_f32 v0, -v0, v7, v6
	v_div_fmas_f32 v0, v0, v1, v7
	v_div_fixup_f32 v0, v0, v4, v5
	global_store_dword v[2:3], v0, off
.LBB66_6:
	s_endpgm
	.section	.rodata,"a",@progbits
	.p2align	6, 0x0
	.amdhsa_kernel _ZL33flash_attn_stream_k_fixup_uniformILi64ELi4ELi1EEvPfPK15HIP_vector_typeIfLj2EEiiiiiiS1_IjLj3EES5_S5_
		.amdhsa_group_segment_fixed_size 0
		.amdhsa_private_segment_fixed_size 0
		.amdhsa_kernarg_size 76
		.amdhsa_user_sgpr_count 2
		.amdhsa_user_sgpr_dispatch_ptr 0
		.amdhsa_user_sgpr_queue_ptr 0
		.amdhsa_user_sgpr_kernarg_segment_ptr 1
		.amdhsa_user_sgpr_dispatch_id 0
		.amdhsa_user_sgpr_kernarg_preload_length 0
		.amdhsa_user_sgpr_kernarg_preload_offset 0
		.amdhsa_user_sgpr_private_segment_size 0
		.amdhsa_uses_dynamic_stack 0
		.amdhsa_enable_private_segment 0
		.amdhsa_system_sgpr_workgroup_id_x 1
		.amdhsa_system_sgpr_workgroup_id_y 1
		.amdhsa_system_sgpr_workgroup_id_z 1
		.amdhsa_system_sgpr_workgroup_info 0
		.amdhsa_system_vgpr_workitem_id 0
		.amdhsa_next_free_vgpr 17
		.amdhsa_next_free_sgpr 24
		.amdhsa_accum_offset 20
		.amdhsa_reserve_vcc 1
		.amdhsa_float_round_mode_32 0
		.amdhsa_float_round_mode_16_64 0
		.amdhsa_float_denorm_mode_32 3
		.amdhsa_float_denorm_mode_16_64 3
		.amdhsa_dx10_clamp 1
		.amdhsa_ieee_mode 1
		.amdhsa_fp16_overflow 0
		.amdhsa_tg_split 0
		.amdhsa_exception_fp_ieee_invalid_op 0
		.amdhsa_exception_fp_denorm_src 0
		.amdhsa_exception_fp_ieee_div_zero 0
		.amdhsa_exception_fp_ieee_overflow 0
		.amdhsa_exception_fp_ieee_underflow 0
		.amdhsa_exception_fp_ieee_inexact 0
		.amdhsa_exception_int_div_zero 0
	.end_amdhsa_kernel
	.section	.text._ZL33flash_attn_stream_k_fixup_uniformILi64ELi4ELi1EEvPfPK15HIP_vector_typeIfLj2EEiiiiiiS1_IjLj3EES5_S5_,"axG",@progbits,_ZL33flash_attn_stream_k_fixup_uniformILi64ELi4ELi1EEvPfPK15HIP_vector_typeIfLj2EEiiiiiiS1_IjLj3EES5_S5_,comdat
.Lfunc_end66:
	.size	_ZL33flash_attn_stream_k_fixup_uniformILi64ELi4ELi1EEvPfPK15HIP_vector_typeIfLj2EEiiiiiiS1_IjLj3EES5_S5_, .Lfunc_end66-_ZL33flash_attn_stream_k_fixup_uniformILi64ELi4ELi1EEvPfPK15HIP_vector_typeIfLj2EEiiiiiiS1_IjLj3EES5_S5_
                                        ; -- End function
	.set _ZL33flash_attn_stream_k_fixup_uniformILi64ELi4ELi1EEvPfPK15HIP_vector_typeIfLj2EEiiiiiiS1_IjLj3EES5_S5_.num_vgpr, 17
	.set _ZL33flash_attn_stream_k_fixup_uniformILi64ELi4ELi1EEvPfPK15HIP_vector_typeIfLj2EEiiiiiiS1_IjLj3EES5_S5_.num_agpr, 0
	.set _ZL33flash_attn_stream_k_fixup_uniformILi64ELi4ELi1EEvPfPK15HIP_vector_typeIfLj2EEiiiiiiS1_IjLj3EES5_S5_.numbered_sgpr, 24
	.set _ZL33flash_attn_stream_k_fixup_uniformILi64ELi4ELi1EEvPfPK15HIP_vector_typeIfLj2EEiiiiiiS1_IjLj3EES5_S5_.num_named_barrier, 0
	.set _ZL33flash_attn_stream_k_fixup_uniformILi64ELi4ELi1EEvPfPK15HIP_vector_typeIfLj2EEiiiiiiS1_IjLj3EES5_S5_.private_seg_size, 0
	.set _ZL33flash_attn_stream_k_fixup_uniformILi64ELi4ELi1EEvPfPK15HIP_vector_typeIfLj2EEiiiiiiS1_IjLj3EES5_S5_.uses_vcc, 1
	.set _ZL33flash_attn_stream_k_fixup_uniformILi64ELi4ELi1EEvPfPK15HIP_vector_typeIfLj2EEiiiiiiS1_IjLj3EES5_S5_.uses_flat_scratch, 0
	.set _ZL33flash_attn_stream_k_fixup_uniformILi64ELi4ELi1EEvPfPK15HIP_vector_typeIfLj2EEiiiiiiS1_IjLj3EES5_S5_.has_dyn_sized_stack, 0
	.set _ZL33flash_attn_stream_k_fixup_uniformILi64ELi4ELi1EEvPfPK15HIP_vector_typeIfLj2EEiiiiiiS1_IjLj3EES5_S5_.has_recursion, 0
	.set _ZL33flash_attn_stream_k_fixup_uniformILi64ELi4ELi1EEvPfPK15HIP_vector_typeIfLj2EEiiiiiiS1_IjLj3EES5_S5_.has_indirect_call, 0
	.section	.AMDGPU.csdata,"",@progbits
; Kernel info:
; codeLenInByte = 816
; TotalNumSgprs: 30
; NumVgprs: 17
; NumAgprs: 0
; TotalNumVgprs: 17
; ScratchSize: 0
; MemoryBound: 0
; FloatMode: 240
; IeeeMode: 1
; LDSByteSize: 0 bytes/workgroup (compile time only)
; SGPRBlocks: 3
; VGPRBlocks: 2
; NumSGPRsForWavesPerEU: 30
; NumVGPRsForWavesPerEU: 17
; AccumOffset: 20
; Occupancy: 8
; WaveLimiterHint : 0
; COMPUTE_PGM_RSRC2:SCRATCH_EN: 0
; COMPUTE_PGM_RSRC2:USER_SGPR: 2
; COMPUTE_PGM_RSRC2:TRAP_HANDLER: 0
; COMPUTE_PGM_RSRC2:TGID_X_EN: 1
; COMPUTE_PGM_RSRC2:TGID_Y_EN: 1
; COMPUTE_PGM_RSRC2:TGID_Z_EN: 1
; COMPUTE_PGM_RSRC2:TIDIG_COMP_CNT: 0
; COMPUTE_PGM_RSRC3_GFX90A:ACCUM_OFFSET: 4
; COMPUTE_PGM_RSRC3_GFX90A:TG_SPLIT: 0
	.section	.text._ZL33flash_attn_stream_k_fixup_generalILi64ELi4ELi1EEvPfPK15HIP_vector_typeIfLj2EEiiiiS1_IjLj3EES5_S5_S5_,"axG",@progbits,_ZL33flash_attn_stream_k_fixup_generalILi64ELi4ELi1EEvPfPK15HIP_vector_typeIfLj2EEiiiiS1_IjLj3EES5_S5_S5_,comdat
	.globl	_ZL33flash_attn_stream_k_fixup_generalILi64ELi4ELi1EEvPfPK15HIP_vector_typeIfLj2EEiiiiS1_IjLj3EES5_S5_S5_ ; -- Begin function _ZL33flash_attn_stream_k_fixup_generalILi64ELi4ELi1EEvPfPK15HIP_vector_typeIfLj2EEiiiiS1_IjLj3EES5_S5_S5_
	.p2align	8
	.type	_ZL33flash_attn_stream_k_fixup_generalILi64ELi4ELi1EEvPfPK15HIP_vector_typeIfLj2EEiiiiS1_IjLj3EES5_S5_S5_,@function
_ZL33flash_attn_stream_k_fixup_generalILi64ELi4ELi1EEvPfPK15HIP_vector_typeIfLj2EEiiiiS1_IjLj3EES5_S5_S5_: ; @_ZL33flash_attn_stream_k_fixup_generalILi64ELi4ELi1EEvPfPK15HIP_vector_typeIfLj2EEiiiiS1_IjLj3EES5_S5_S5_
; %bb.0:
	s_load_dwordx4 s[8:11], s[0:1], 0x10
	s_load_dword s22, s[0:1], 0x50
	s_mov_b32 s12, 0
	s_waitcnt lgkmcnt(0)
	s_mul_hi_i32 s13, s11, s2
	s_cmp_lg_u64 s[12:13], 0
	s_mul_i32 s5, s11, s2
	s_cbranch_scc0 .LBB67_20
; %bb.1:
	s_add_u32 s6, s22, 0
	s_addc_u32 s7, 0, 0
	s_xor_b64 s[6:7], s[6:7], 0
	v_cvt_f32_u32_e32 v1, s6
	v_cvt_f32_u32_e32 v2, s7
	s_sub_u32 s12, 0, s6
	s_subb_u32 s18, 0, s7
	v_fmamk_f32 v1, v2, 0x4f800000, v1
	v_rcp_f32_e32 v1, v1
	s_nop 0
	v_mul_f32_e32 v1, 0x5f7ffffc, v1
	v_mul_f32_e32 v2, 0x2f800000, v1
	v_trunc_f32_e32 v2, v2
	v_fmamk_f32 v1, v2, 0xcf800000, v1
	v_cvt_u32_f32_e32 v2, v2
	v_cvt_u32_f32_e32 v1, v1
	v_readfirstlane_b32 s19, v2
	v_readfirstlane_b32 s14, v1
	s_mul_i32 s15, s12, s19
	s_mul_hi_u32 s21, s12, s14
	s_mul_i32 s20, s18, s14
	s_add_i32 s15, s21, s15
	s_add_i32 s15, s15, s20
	s_mul_i32 s23, s12, s14
	s_mul_i32 s21, s14, s15
	s_mul_hi_u32 s24, s14, s23
	s_mul_hi_u32 s20, s14, s15
	s_add_u32 s21, s24, s21
	s_addc_u32 s20, 0, s20
	s_mul_hi_u32 s25, s19, s23
	s_mul_i32 s23, s19, s23
	s_add_u32 s21, s21, s23
	s_mul_hi_u32 s24, s19, s15
	s_addc_u32 s20, s20, s25
	s_addc_u32 s21, s24, 0
	s_mul_i32 s15, s19, s15
	s_add_u32 s15, s20, s15
	s_addc_u32 s20, 0, s21
	s_add_u32 s21, s14, s15
	s_cselect_b64 s[14:15], -1, 0
	s_cmp_lg_u64 s[14:15], 0
	s_addc_u32 s19, s19, s20
	s_mul_i32 s14, s12, s19
	s_mul_hi_u32 s15, s12, s21
	s_add_i32 s14, s15, s14
	s_mul_i32 s18, s18, s21
	s_add_i32 s14, s14, s18
	s_mul_i32 s12, s12, s21
	s_mul_hi_u32 s18, s19, s12
	s_mul_i32 s20, s19, s12
	s_mul_i32 s24, s21, s14
	s_mul_hi_u32 s12, s21, s12
	s_mul_hi_u32 s23, s21, s14
	s_add_u32 s12, s12, s24
	s_addc_u32 s23, 0, s23
	s_add_u32 s12, s12, s20
	s_mul_hi_u32 s15, s19, s14
	s_addc_u32 s12, s23, s18
	s_addc_u32 s15, s15, 0
	s_mul_i32 s14, s19, s14
	s_add_u32 s12, s12, s14
	s_addc_u32 s18, 0, s15
	s_add_u32 s20, s21, s12
	s_cselect_b64 s[14:15], -1, 0
	s_cmp_lg_u64 s[14:15], 0
	s_addc_u32 s18, s19, s18
	s_ashr_i32 s14, s13, 31
	s_add_u32 s12, s5, s14
	s_mov_b32 s15, s14
	s_addc_u32 s13, s13, s14
	s_xor_b64 s[12:13], s[12:13], s[14:15]
	s_mul_i32 s21, s12, s18
	s_mul_hi_u32 s23, s12, s20
	s_mul_hi_u32 s19, s12, s18
	s_add_u32 s21, s23, s21
	s_addc_u32 s19, 0, s19
	s_mul_hi_u32 s24, s13, s20
	s_mul_i32 s20, s13, s20
	s_add_u32 s20, s21, s20
	s_mul_hi_u32 s23, s13, s18
	s_addc_u32 s19, s19, s24
	s_addc_u32 s20, s23, 0
	s_mul_i32 s18, s13, s18
	s_add_u32 s23, s19, s18
	s_addc_u32 s24, 0, s20
	s_mul_i32 s18, s6, s24
	s_mul_hi_u32 s19, s6, s23
	s_add_i32 s18, s19, s18
	s_mul_i32 s19, s7, s23
	s_add_i32 s25, s18, s19
	s_sub_i32 s20, s13, s25
	s_mul_i32 s18, s6, s23
	s_sub_u32 s12, s12, s18
	s_cselect_b64 s[18:19], -1, 0
	s_cmp_lg_u64 s[18:19], 0
	s_subb_u32 s26, s20, s7
	s_sub_u32 s27, s12, s6
	s_cselect_b64 s[20:21], -1, 0
	s_cmp_lg_u64 s[20:21], 0
	s_subb_u32 s20, s26, 0
	s_cmp_ge_u32 s20, s7
	s_cselect_b32 s21, -1, 0
	s_cmp_ge_u32 s27, s6
	s_cselect_b32 s26, -1, 0
	s_cmp_eq_u32 s20, s7
	s_cselect_b32 s20, s26, s21
	s_add_u32 s21, s23, 1
	s_addc_u32 s26, s24, 0
	s_add_u32 s27, s23, 2
	s_addc_u32 s28, s24, 0
	s_cmp_lg_u32 s20, 0
	s_cselect_b32 s20, s27, s21
	s_cselect_b32 s21, s28, s26
	s_cmp_lg_u64 s[18:19], 0
	s_subb_u32 s13, s13, s25
	s_cmp_ge_u32 s13, s7
	s_cselect_b32 s18, -1, 0
	s_cmp_ge_u32 s12, s6
	s_cselect_b32 s6, -1, 0
	s_cmp_eq_u32 s13, s7
	s_cselect_b32 s6, s6, s18
	s_cmp_lg_u32 s6, 0
	s_cselect_b32 s7, s21, s24
	s_cselect_b32 s6, s20, s23
	s_xor_b64 s[12:13], s[14:15], 0
	s_xor_b64 s[6:7], s[6:7], s[12:13]
	s_sub_u32 s6, s6, s12
	s_load_dwordx4 s[12:15], s[0:1], 0x44
	s_cbranch_execnz .LBB67_3
.LBB67_2:
	v_cvt_f32_u32_e32 v1, s22
	s_sub_i32 s6, 0, s22
	v_rcp_iflag_f32_e32 v1, v1
	s_nop 0
	v_mul_f32_e32 v1, 0x4f7ffffe, v1
	v_cvt_u32_f32_e32 v1, v1
	s_nop 0
	v_readfirstlane_b32 s7, v1
	s_mul_i32 s6, s6, s7
	s_mul_hi_u32 s6, s7, s6
	s_add_i32 s7, s7, s6
	s_mul_hi_u32 s6, s5, s7
	s_waitcnt lgkmcnt(0)
	s_mul_i32 s15, s6, s22
	s_sub_i32 s5, s5, s15
	s_add_i32 s7, s6, 1
	s_sub_i32 s15, s5, s22
	s_cmp_ge_u32 s5, s22
	s_cselect_b32 s6, s7, s6
	s_cselect_b32 s5, s15, s5
	s_add_i32 s7, s6, 1
	s_cmp_ge_u32 s5, s22
	s_cselect_b32 s6, s7, s6
.LBB67_3:
	s_add_i32 s5, s2, 1
	s_mul_hi_i32 s21, s11, s5
	s_mov_b32 s20, 0
	s_cmp_lg_u64 s[20:21], 0
	s_mul_i32 s5, s11, s5
	s_cbranch_scc0 .LBB67_21
; %bb.4:
	s_add_u32 s16, s22, 0
	s_addc_u32 s17, 0, 0
	s_xor_b64 s[18:19], s[16:17], 0
	v_cvt_f32_u32_e32 v1, s18
	v_cvt_f32_u32_e32 v2, s19
	s_sub_u32 s7, 0, s18
	s_waitcnt lgkmcnt(0)
	s_subb_u32 s15, 0, s19
	v_fmamk_f32 v1, v2, 0x4f800000, v1
	v_rcp_f32_e32 v1, v1
	s_nop 0
	v_mul_f32_e32 v1, 0x5f7ffffc, v1
	v_mul_f32_e32 v2, 0x2f800000, v1
	v_trunc_f32_e32 v2, v2
	v_fmamk_f32 v1, v2, 0xcf800000, v1
	v_cvt_u32_f32_e32 v2, v2
	v_cvt_u32_f32_e32 v1, v1
	v_readfirstlane_b32 s20, v2
	v_readfirstlane_b32 s23, v1
	s_mul_i32 s24, s7, s20
	s_mul_hi_u32 s26, s7, s23
	s_mul_i32 s25, s15, s23
	s_add_i32 s24, s26, s24
	s_add_i32 s24, s24, s25
	s_mul_i32 s27, s7, s23
	s_mul_i32 s26, s23, s24
	s_mul_hi_u32 s28, s23, s27
	s_mul_hi_u32 s25, s23, s24
	s_add_u32 s26, s28, s26
	s_addc_u32 s25, 0, s25
	s_mul_hi_u32 s29, s20, s27
	s_mul_i32 s27, s20, s27
	s_add_u32 s26, s26, s27
	s_mul_hi_u32 s28, s20, s24
	s_addc_u32 s25, s25, s29
	s_addc_u32 s26, s28, 0
	s_mul_i32 s24, s20, s24
	s_add_u32 s24, s25, s24
	s_addc_u32 s26, 0, s26
	s_add_u32 s23, s23, s24
	s_cselect_b64 s[24:25], -1, 0
	s_cmp_lg_u64 s[24:25], 0
	s_addc_u32 s20, s20, s26
	s_mul_i32 s24, s7, s20
	s_mul_hi_u32 s25, s7, s23
	s_add_i32 s24, s25, s24
	s_mul_i32 s15, s15, s23
	s_add_i32 s24, s24, s15
	s_mul_i32 s7, s7, s23
	s_mul_hi_u32 s25, s20, s7
	s_mul_i32 s26, s20, s7
	s_mul_i32 s28, s23, s24
	s_mul_hi_u32 s7, s23, s7
	s_mul_hi_u32 s27, s23, s24
	s_add_u32 s7, s7, s28
	s_addc_u32 s27, 0, s27
	s_add_u32 s7, s7, s26
	s_mul_hi_u32 s15, s20, s24
	s_addc_u32 s7, s27, s25
	s_addc_u32 s15, s15, 0
	s_mul_i32 s24, s20, s24
	s_add_u32 s7, s7, s24
	s_addc_u32 s15, 0, s15
	s_add_u32 s7, s23, s7
	s_cselect_b64 s[24:25], -1, 0
	s_cmp_lg_u64 s[24:25], 0
	s_addc_u32 s15, s20, s15
	s_ashr_i32 s24, s21, 31
	s_add_u32 s20, s5, s24
	s_mov_b32 s25, s24
	s_addc_u32 s21, s21, s24
	s_xor_b64 s[20:21], s[20:21], s[24:25]
	s_mul_i32 s26, s20, s15
	s_mul_hi_u32 s27, s20, s7
	s_mul_hi_u32 s23, s20, s15
	s_add_u32 s26, s27, s26
	s_addc_u32 s23, 0, s23
	s_mul_hi_u32 s28, s21, s7
	s_mul_i32 s7, s21, s7
	s_add_u32 s7, s26, s7
	s_mul_hi_u32 s27, s21, s15
	s_addc_u32 s7, s23, s28
	s_addc_u32 s23, s27, 0
	s_mul_i32 s15, s21, s15
	s_add_u32 s7, s7, s15
	s_addc_u32 s15, 0, s23
	s_mul_i32 s23, s18, s15
	s_mul_hi_u32 s26, s18, s7
	s_add_i32 s23, s26, s23
	s_mul_i32 s26, s19, s7
	s_add_i32 s23, s23, s26
	s_sub_i32 s28, s21, s23
	s_mul_i32 s26, s18, s7
	s_sub_u32 s20, s20, s26
	s_cselect_b64 s[26:27], -1, 0
	s_cmp_lg_u64 s[26:27], 0
	s_subb_u32 s30, s28, s19
	s_sub_u32 s31, s20, s18
	s_cselect_b64 s[28:29], -1, 0
	s_cmp_lg_u64 s[28:29], 0
	s_subb_u32 s28, s30, 0
	s_cmp_ge_u32 s28, s19
	s_cselect_b32 s29, -1, 0
	s_cmp_ge_u32 s31, s18
	s_cselect_b32 s30, -1, 0
	s_cmp_eq_u32 s28, s19
	s_cselect_b32 s28, s30, s29
	s_add_u32 s29, s7, 1
	s_addc_u32 s30, s15, 0
	s_add_u32 s31, s7, 2
	s_addc_u32 s33, s15, 0
	s_cmp_lg_u32 s28, 0
	s_cselect_b32 s28, s31, s29
	s_cselect_b32 s29, s33, s30
	s_cmp_lg_u64 s[26:27], 0
	s_subb_u32 s21, s21, s23
	s_cmp_ge_u32 s21, s19
	s_cselect_b32 s23, -1, 0
	s_cmp_ge_u32 s20, s18
	s_cselect_b32 s18, -1, 0
	s_cmp_eq_u32 s21, s19
	s_cselect_b32 s18, s18, s23
	s_cmp_lg_u32 s18, 0
	s_cselect_b32 s19, s29, s15
	s_cselect_b32 s18, s28, s7
	s_xor_b64 s[20:21], s[24:25], 0
	s_xor_b64 s[18:19], s[18:19], s[20:21]
	s_sub_u32 s18, s18, s20
	s_cbranch_execnz .LBB67_6
.LBB67_5:
	v_cvt_f32_u32_e32 v1, s22
	s_sub_i32 s7, 0, s22
	v_rcp_iflag_f32_e32 v1, v1
	s_nop 0
	v_mul_f32_e32 v1, 0x4f7ffffe, v1
	v_cvt_u32_f32_e32 v1, v1
	s_waitcnt lgkmcnt(0)
	v_readfirstlane_b32 s15, v1
	s_mul_i32 s7, s7, s15
	s_mul_hi_u32 s7, s15, s7
	s_add_i32 s15, s15, s7
	s_mul_hi_u32 s7, s5, s15
	s_mul_i32 s16, s7, s22
	s_sub_i32 s5, s5, s16
	s_add_i32 s15, s7, 1
	s_sub_i32 s16, s5, s22
	s_cmp_ge_u32 s5, s22
	s_cselect_b32 s7, s15, s7
	s_cselect_b32 s5, s16, s5
	s_add_i32 s15, s7, 1
	s_cmp_ge_u32 s5, s22
	s_cselect_b32 s18, s15, s7
.LBB67_6:
	s_cmp_eq_u32 s6, s18
	s_waitcnt lgkmcnt(0)
	s_mul_hi_u32 s5, s6, s12
	s_cselect_b64 s[16:17], -1, 0
	s_add_i32 s5, s5, s6
	s_lshr_b32 s7, s5, s13
	s_mul_i32 s5, s7, s14
	s_cmp_eq_u32 s5, s6
	s_mul_hi_u32 s5, s18, s12
	s_cselect_b64 s[20:21], -1, 0
	s_add_i32 s5, s5, s18
	s_lshr_b32 s5, s5, s13
	s_cmp_eq_u32 s7, s5
	s_mul_i32 s5, s5, s14
	s_cselect_b64 s[24:25], -1, 0
	s_cmp_lg_u32 s5, s18
	s_cselect_b64 s[18:19], -1, 0
	s_and_b64 s[18:19], s[24:25], s[18:19]
	s_or_b64 s[16:17], s[16:17], s[20:21]
	s_or_b64 s[16:17], s[16:17], s[18:19]
	s_and_b64 vcc, exec, s[16:17]
	s_cbranch_vccnz .LBB67_23
; %bb.7:
	s_load_dwordx8 s[24:31], s[0:1], 0x20
	s_load_dword s15, s[0:1], 0x40
	s_waitcnt lgkmcnt(0)
	s_mul_hi_u32 s5, s6, s24
	s_add_i32 s5, s5, s6
	s_lshr_b32 s5, s5, s25
	s_mul_i32 s16, s5, s26
	s_sub_i32 s16, s6, s16
	s_mul_hi_u32 s17, s16, s27
	s_add_i32 s17, s16, s17
	s_lshr_b32 s21, s17, s28
	s_mul_i32 s17, s21, s29
	s_sub_i32 s16, s16, s17
	;; [unrolled: 5-line block ×3, first 2 shown]
	s_mul_hi_u32 s16, s15, s12
	s_add_i32 s15, s15, s16
	s_lshr_b32 s23, s15, s13
	s_lshl_b32 s15, s23, 2
	s_add_i32 s15, s15, s3
	s_cmp_lt_i32 s15, s8
	s_cselect_b64 s[16:17], -1, 0
	s_add_i32 s15, s20, s4
	s_cmp_lt_i32 s15, s10
	s_cselect_b64 s[18:19], -1, 0
	s_and_b64 s[16:17], s[16:17], s[18:19]
	s_andn2_b64 vcc, exec, s[16:17]
	s_cbranch_vccnz .LBB67_23
; %bb.8:
	s_load_dwordx4 s[16:19], s[0:1], 0x0
	s_mov_b32 s0, 0
	s_lshl_b32 s24, s22, 4
	s_mov_b32 s25, s0
	s_add_i32 s15, s3, s4
	s_waitcnt lgkmcnt(0)
	v_mov_b32_e32 v2, s16
	v_mov_b32_e32 v3, s17
	s_lshl_b64 s[16:17], s[24:25], 2
	s_add_u32 s16, s18, s16
	s_mul_i32 s1, s5, s8
	s_addc_u32 s17, s19, s17
	s_add_i32 s1, s1, s3
	s_mul_i32 s1, s1, s9
	s_mul_i32 s21, s21, s10
	s_add_i32 s1, s1, s4
	s_add_i32 s1, s1, s21
	s_mul_i32 s5, s9, s23
	s_add_i32 s1, s1, s20
	s_lshl_b32 s5, s5, 8
	s_lshl_b32 s1, s1, 6
	s_add_i32 s5, s5, s1
	v_or_b32_e32 v4, s5, v0
	v_ashrrev_i32_e32 v5, 31, v4
	v_lshl_add_u64 v[2:3], v[4:5], 2, v[2:3]
	global_load_dword v1, v[2:3], off
	v_cvt_f32_u32_e32 v4, s22
	s_lshl_b32 s1, s2, 2
	s_add_i32 s4, s1, s15
	s_ashr_i32 s5, s4, 31
	s_lshl_b64 s[4:5], s[4:5], 3
	v_rcp_iflag_f32_e32 v4, v4
	s_add_u32 s4, s18, s4
	s_addc_u32 s5, s19, s5
	s_load_dwordx2 s[4:5], s[4:5], 0x0
	v_mul_f32_e32 v4, 0x4f7ffffe, v4
	v_cvt_u32_f32_e32 v7, v4
	s_add_i32 s24, s2, -1
	v_lshl_or_b32 v6, s15, 6, v0
	s_waitcnt lgkmcnt(0)
	v_mov_b32_e32 v0, s5
	v_mov_b32_e32 v9, s4
	s_mov_b32 s10, 0x3fb8aa3b
	s_mov_b32 s20, 0xc2ce8ed0
	s_mov_b32 s21, 0x42b17218
	s_mov_b32 s23, 0xc1a00000
	v_mov_b32_e32 v8, 0x7f800000
	s_mul_hi_i32 s1, s24, s11
	s_cmp_lg_u64 s[0:1], 0
	s_mul_i32 s8, s24, s11
	s_cbranch_scc0 .LBB67_19
.LBB67_9:
	s_add_u32 s2, s22, 0
	s_addc_u32 s3, 0, 0
	s_xor_b64 s[2:3], s[2:3], 0
	v_cvt_f32_u32_e32 v4, s2
	v_cvt_f32_u32_e32 v5, s3
	s_sub_u32 s9, 0, s2
	s_subb_u32 s25, 0, s3
	v_fmac_f32_e32 v4, 0x4f800000, v5
	v_rcp_f32_e32 v4, v4
	s_nop 0
	v_mul_f32_e32 v4, 0x5f7ffffc, v4
	v_mul_f32_e32 v5, 0x2f800000, v4
	v_trunc_f32_e32 v5, v5
	v_fmac_f32_e32 v4, 0xcf800000, v5
	v_cvt_u32_f32_e32 v5, v5
	v_cvt_u32_f32_e32 v4, v4
	v_readfirstlane_b32 s26, v5
	v_readfirstlane_b32 s4, v4
	s_mul_i32 s5, s9, s26
	s_mul_hi_u32 s28, s9, s4
	s_mul_i32 s27, s25, s4
	s_add_i32 s5, s28, s5
	s_mul_i32 s29, s9, s4
	s_add_i32 s5, s5, s27
	s_mul_i32 s28, s4, s5
	s_mul_hi_u32 s30, s4, s29
	s_mul_hi_u32 s27, s4, s5
	s_add_u32 s28, s30, s28
	s_addc_u32 s27, 0, s27
	s_mul_hi_u32 s31, s26, s29
	s_mul_i32 s29, s26, s29
	s_add_u32 s28, s28, s29
	s_mul_hi_u32 s30, s26, s5
	s_addc_u32 s27, s27, s31
	s_addc_u32 s28, s30, 0
	s_mul_i32 s5, s26, s5
	s_add_u32 s5, s27, s5
	s_addc_u32 s27, 0, s28
	s_add_u32 s28, s4, s5
	s_cselect_b64 s[4:5], -1, 0
	s_cmp_lg_u64 s[4:5], 0
	s_addc_u32 s26, s26, s27
	s_mul_i32 s4, s9, s26
	s_mul_hi_u32 s5, s9, s28
	s_add_i32 s4, s5, s4
	s_mul_i32 s25, s25, s28
	s_add_i32 s4, s4, s25
	s_mul_i32 s9, s9, s28
	s_mul_hi_u32 s25, s26, s9
	s_mul_i32 s27, s26, s9
	s_mul_i32 s30, s28, s4
	s_mul_hi_u32 s9, s28, s9
	s_mul_hi_u32 s29, s28, s4
	s_add_u32 s9, s9, s30
	s_addc_u32 s29, 0, s29
	s_add_u32 s9, s9, s27
	s_mul_hi_u32 s5, s26, s4
	s_addc_u32 s9, s29, s25
	s_addc_u32 s5, s5, 0
	s_mul_i32 s4, s26, s4
	s_add_u32 s4, s9, s4
	s_addc_u32 s9, 0, s5
	s_add_u32 s25, s28, s4
	s_cselect_b64 s[4:5], -1, 0
	s_cmp_lg_u64 s[4:5], 0
	s_addc_u32 s9, s26, s9
	s_ashr_i32 s4, s1, 31
	s_add_u32 s26, s8, s4
	s_mov_b32 s5, s4
	s_addc_u32 s27, s1, s4
	s_xor_b64 s[26:27], s[26:27], s[4:5]
	s_mul_i32 s28, s26, s9
	s_mul_hi_u32 s29, s26, s25
	s_mul_hi_u32 s1, s26, s9
	s_add_u32 s28, s29, s28
	s_addc_u32 s1, 0, s1
	s_mul_hi_u32 s30, s27, s25
	s_mul_i32 s25, s27, s25
	s_add_u32 s25, s28, s25
	s_mul_hi_u32 s29, s27, s9
	s_addc_u32 s1, s1, s30
	s_addc_u32 s25, s29, 0
	s_mul_i32 s9, s27, s9
	s_add_u32 s1, s1, s9
	s_addc_u32 s9, 0, s25
	s_mul_i32 s25, s2, s9
	s_mul_hi_u32 s28, s2, s1
	s_add_i32 s25, s28, s25
	s_mul_i32 s28, s3, s1
	s_add_i32 s25, s25, s28
	s_sub_i32 s30, s27, s25
	s_mul_i32 s28, s2, s1
	s_sub_u32 s26, s26, s28
	s_cselect_b64 s[28:29], -1, 0
	s_cmp_lg_u64 s[28:29], 0
	s_subb_u32 s33, s30, s3
	s_sub_u32 s34, s26, s2
	s_cselect_b64 s[30:31], -1, 0
	s_cmp_lg_u64 s[30:31], 0
	s_subb_u32 s30, s33, 0
	s_cmp_ge_u32 s30, s3
	s_cselect_b32 s31, -1, 0
	s_cmp_ge_u32 s34, s2
	s_cselect_b32 s33, -1, 0
	s_cmp_eq_u32 s30, s3
	s_cselect_b32 s30, s33, s31
	s_add_u32 s31, s1, 1
	s_addc_u32 s33, s9, 0
	s_add_u32 s34, s1, 2
	s_addc_u32 s35, s9, 0
	s_cmp_lg_u32 s30, 0
	s_cselect_b32 s30, s34, s31
	s_cselect_b32 s31, s35, s33
	s_cmp_lg_u64 s[28:29], 0
	s_subb_u32 s25, s27, s25
	s_cmp_ge_u32 s25, s3
	s_cselect_b32 s27, -1, 0
	s_cmp_ge_u32 s26, s2
	s_cselect_b32 s2, -1, 0
	s_cmp_eq_u32 s25, s3
	s_cselect_b32 s2, s2, s27
	s_cmp_lg_u32 s2, 0
	s_cselect_b32 s3, s31, s9
	s_cselect_b32 s2, s30, s1
	s_xor_b64 s[4:5], s[4:5], 0
	s_xor_b64 s[2:3], s[2:3], s[4:5]
	s_sub_u32 s4, s2, s4
	s_cbranch_execnz .LBB67_11
.LBB67_10:
	s_sub_i32 s1, 0, s22
	v_readfirstlane_b32 s2, v7
	s_mul_i32 s1, s1, s2
	s_mul_hi_u32 s1, s2, s1
	s_add_i32 s2, s2, s1
	s_mul_hi_u32 s1, s8, s2
	s_mul_i32 s3, s1, s22
	s_sub_i32 s3, s8, s3
	s_add_i32 s2, s1, 1
	s_sub_i32 s4, s3, s22
	s_cmp_ge_u32 s3, s22
	s_cselect_b32 s1, s2, s1
	s_cselect_b32 s3, s4, s3
	s_add_i32 s2, s1, 1
	s_cmp_ge_u32 s3, s22
	s_cselect_b32 s4, s2, s1
.LBB67_11:
	s_cmp_lg_u32 s6, s4
	s_cbranch_scc0 .LBB67_15
; %bb.12:
	s_add_i32 s1, s24, s22
	s_lshl_b32 s1, s1, 2
	s_add_i32 s2, s1, s15
	s_mov_b32 s3, s0
	s_lshl_b64 s[2:3], s[2:3], 3
	s_add_u32 s8, s18, s2
	s_mul_hi_u32 s1, s4, s12
	s_addc_u32 s9, s19, s3
	s_add_i32 s1, s1, s4
	s_lshr_b32 s1, s1, s13
	s_mul_i32 s2, s1, s14
	s_cmp_eq_u32 s2, s4
	s_cselect_b64 s[2:3], -1, 0
	s_cmp_lt_u32 s1, s7
	s_cselect_b64 s[26:27], -1, 0
	s_or_b64 s[26:27], s[26:27], s[2:3]
	s_mov_b64 s[2:3], -1
	s_and_b64 vcc, exec, s[26:27]
	s_mov_b32 s1, s24
	s_mov_b32 s25, s6
	s_cbranch_vccnz .LBB67_14
; %bb.13:
	s_add_i32 s1, s24, -1
	s_mov_b64 s[2:3], 0
	s_mov_b32 s25, s4
.LBB67_14:
	v_lshl_add_u32 v4, s24, 8, v6
	v_ashrrev_i32_e32 v5, 31, v4
	v_lshl_add_u64 v[4:5], v[4:5], 2, s[16:17]
	global_load_dword v5, v[4:5], off
	s_load_dwordx2 s[4:5], s[8:9], 0x0
	v_max_f32_e32 v4, v9, v9
	s_waitcnt lgkmcnt(0)
	v_max_f32_e64 v10, s4, s4
	v_max_f32_e32 v10, v4, v10
	v_sub_f32_e32 v11, v9, v10
	v_sub_f32_e32 v13, s4, v10
	v_mul_f32_e32 v4, 0x3fb8aa3b, v11
	v_mul_f32_e32 v12, 0x3fb8aa3b, v13
	v_fma_f32 v14, v11, s10, -v4
	v_rndne_f32_e32 v15, v4
	v_fma_f32 v16, v13, s10, -v12
	v_rndne_f32_e32 v17, v12
	v_fmac_f32_e32 v14, 0x32a5705f, v11
	v_sub_f32_e32 v4, v4, v15
	v_fmac_f32_e32 v16, 0x32a5705f, v13
	v_sub_f32_e32 v12, v12, v17
	v_add_f32_e32 v4, v4, v14
	v_cvt_i32_f32_e32 v15, v15
	v_add_f32_e32 v12, v12, v16
	v_exp_f32_e32 v14, v4
	v_cvt_i32_f32_e32 v17, v17
	v_exp_f32_e32 v12, v12
	v_cmp_ngt_f32_e32 vcc, s20, v11
	v_ldexp_f32 v14, v14, v15
	v_mov_b32_e32 v4, s5
	v_ldexp_f32 v12, v12, v17
	v_cndmask_b32_e32 v14, 0, v14, vcc
	v_cmp_ngt_f32_e32 vcc, s20, v13
	s_nop 1
	v_cndmask_b32_e32 v12, 0, v12, vcc
	v_cmp_nlt_f32_e32 vcc, s21, v11
	s_nop 1
	v_cndmask_b32_e32 v14, v8, v14, vcc
	v_cmp_nlt_f32_e32 vcc, s21, v13
	s_nop 1
	v_cndmask_b32_e32 v15, v8, v12, vcc
	v_cmp_le_f32_e32 vcc, s23, v11
	s_nop 1
	v_cndmask_b32_e32 v12, 0, v14, vcc
	v_cmp_le_f32_e32 vcc, s23, v13
	s_nop 1
	v_cndmask_b32_e32 v14, 0, v15, vcc
	s_waitcnt vmcnt(0)
	v_pk_mul_f32 v[4:5], v[4:5], v[14:15] op_sel_hi:[1,0]
	s_nop 0
	v_pk_fma_f32 v[4:5], v[0:1], v[12:13], v[4:5] op_sel_hi:[1,0,1]
	s_cbranch_execz .LBB67_16
	s_branch .LBB67_17
.LBB67_15:
                                        ; implicit-def: $vgpr4_vgpr5
                                        ; implicit-def: $sgpr2_sgpr3
                                        ; implicit-def: $vgpr10
                                        ; implicit-def: $sgpr1
                                        ; implicit-def: $sgpr25
.LBB67_16:
	s_add_i32 s1, s24, -1
	s_mov_b64 s[2:3], 0
	s_mov_b32 s25, s6
	v_mov_b32_e32 v10, v9
	s_waitcnt vmcnt(0)
	v_mov_b64_e32 v[4:5], v[0:1]
.LBB67_17:
	s_andn2_b64 vcc, exec, s[2:3]
	s_cbranch_vccz .LBB67_22
; %bb.18:
	s_mov_b32 s6, s25
	s_mov_b32 s24, s1
	v_mov_b32_e32 v9, v10
	s_waitcnt vmcnt(0)
	v_mov_b64_e32 v[0:1], v[4:5]
	s_mul_hi_i32 s1, s24, s11
	s_cmp_lg_u64 s[0:1], 0
	s_mul_i32 s8, s24, s11
	s_cbranch_scc1 .LBB67_9
.LBB67_19:
                                        ; implicit-def: $sgpr4_sgpr5
	s_branch .LBB67_10
.LBB67_20:
                                        ; implicit-def: $sgpr6_sgpr7
	s_load_dwordx4 s[12:15], s[0:1], 0x44
	s_branch .LBB67_2
.LBB67_21:
                                        ; implicit-def: $sgpr18_sgpr19
	s_branch .LBB67_5
.LBB67_22:
	v_div_scale_f32 v0, s[0:1], v4, v4, v5
	s_waitcnt vmcnt(0)
	v_rcp_f32_e32 v1, v0
	v_div_scale_f32 v6, vcc, v5, v4, v5
	v_fma_f32 v7, -v0, v1, 1.0
	v_fmac_f32_e32 v1, v7, v1
	v_mul_f32_e32 v7, v6, v1
	v_fma_f32 v8, -v0, v7, v6
	v_fmac_f32_e32 v7, v8, v1
	v_fma_f32 v0, -v0, v7, v6
	v_div_fmas_f32 v0, v0, v1, v7
	v_div_fixup_f32 v0, v0, v4, v5
	global_store_dword v[2:3], v0, off
.LBB67_23:
	s_endpgm
	.section	.rodata,"a",@progbits
	.p2align	6, 0x0
	.amdhsa_kernel _ZL33flash_attn_stream_k_fixup_generalILi64ELi4ELi1EEvPfPK15HIP_vector_typeIfLj2EEiiiiS1_IjLj3EES5_S5_S5_
		.amdhsa_group_segment_fixed_size 0
		.amdhsa_private_segment_fixed_size 0
		.amdhsa_kernarg_size 336
		.amdhsa_user_sgpr_count 2
		.amdhsa_user_sgpr_dispatch_ptr 0
		.amdhsa_user_sgpr_queue_ptr 0
		.amdhsa_user_sgpr_kernarg_segment_ptr 1
		.amdhsa_user_sgpr_dispatch_id 0
		.amdhsa_user_sgpr_kernarg_preload_length 0
		.amdhsa_user_sgpr_kernarg_preload_offset 0
		.amdhsa_user_sgpr_private_segment_size 0
		.amdhsa_uses_dynamic_stack 0
		.amdhsa_enable_private_segment 0
		.amdhsa_system_sgpr_workgroup_id_x 1
		.amdhsa_system_sgpr_workgroup_id_y 1
		.amdhsa_system_sgpr_workgroup_id_z 1
		.amdhsa_system_sgpr_workgroup_info 0
		.amdhsa_system_vgpr_workitem_id 0
		.amdhsa_next_free_vgpr 18
		.amdhsa_next_free_sgpr 36
		.amdhsa_accum_offset 20
		.amdhsa_reserve_vcc 1
		.amdhsa_float_round_mode_32 0
		.amdhsa_float_round_mode_16_64 0
		.amdhsa_float_denorm_mode_32 3
		.amdhsa_float_denorm_mode_16_64 3
		.amdhsa_dx10_clamp 1
		.amdhsa_ieee_mode 1
		.amdhsa_fp16_overflow 0
		.amdhsa_tg_split 0
		.amdhsa_exception_fp_ieee_invalid_op 0
		.amdhsa_exception_fp_denorm_src 0
		.amdhsa_exception_fp_ieee_div_zero 0
		.amdhsa_exception_fp_ieee_overflow 0
		.amdhsa_exception_fp_ieee_underflow 0
		.amdhsa_exception_fp_ieee_inexact 0
		.amdhsa_exception_int_div_zero 0
	.end_amdhsa_kernel
	.section	.text._ZL33flash_attn_stream_k_fixup_generalILi64ELi4ELi1EEvPfPK15HIP_vector_typeIfLj2EEiiiiS1_IjLj3EES5_S5_S5_,"axG",@progbits,_ZL33flash_attn_stream_k_fixup_generalILi64ELi4ELi1EEvPfPK15HIP_vector_typeIfLj2EEiiiiS1_IjLj3EES5_S5_S5_,comdat
.Lfunc_end67:
	.size	_ZL33flash_attn_stream_k_fixup_generalILi64ELi4ELi1EEvPfPK15HIP_vector_typeIfLj2EEiiiiS1_IjLj3EES5_S5_S5_, .Lfunc_end67-_ZL33flash_attn_stream_k_fixup_generalILi64ELi4ELi1EEvPfPK15HIP_vector_typeIfLj2EEiiiiS1_IjLj3EES5_S5_S5_
                                        ; -- End function
	.set _ZL33flash_attn_stream_k_fixup_generalILi64ELi4ELi1EEvPfPK15HIP_vector_typeIfLj2EEiiiiS1_IjLj3EES5_S5_S5_.num_vgpr, 18
	.set _ZL33flash_attn_stream_k_fixup_generalILi64ELi4ELi1EEvPfPK15HIP_vector_typeIfLj2EEiiiiS1_IjLj3EES5_S5_S5_.num_agpr, 0
	.set _ZL33flash_attn_stream_k_fixup_generalILi64ELi4ELi1EEvPfPK15HIP_vector_typeIfLj2EEiiiiS1_IjLj3EES5_S5_S5_.numbered_sgpr, 36
	.set _ZL33flash_attn_stream_k_fixup_generalILi64ELi4ELi1EEvPfPK15HIP_vector_typeIfLj2EEiiiiS1_IjLj3EES5_S5_S5_.num_named_barrier, 0
	.set _ZL33flash_attn_stream_k_fixup_generalILi64ELi4ELi1EEvPfPK15HIP_vector_typeIfLj2EEiiiiS1_IjLj3EES5_S5_S5_.private_seg_size, 0
	.set _ZL33flash_attn_stream_k_fixup_generalILi64ELi4ELi1EEvPfPK15HIP_vector_typeIfLj2EEiiiiS1_IjLj3EES5_S5_S5_.uses_vcc, 1
	.set _ZL33flash_attn_stream_k_fixup_generalILi64ELi4ELi1EEvPfPK15HIP_vector_typeIfLj2EEiiiiS1_IjLj3EES5_S5_S5_.uses_flat_scratch, 0
	.set _ZL33flash_attn_stream_k_fixup_generalILi64ELi4ELi1EEvPfPK15HIP_vector_typeIfLj2EEiiiiS1_IjLj3EES5_S5_S5_.has_dyn_sized_stack, 0
	.set _ZL33flash_attn_stream_k_fixup_generalILi64ELi4ELi1EEvPfPK15HIP_vector_typeIfLj2EEiiiiS1_IjLj3EES5_S5_S5_.has_recursion, 0
	.set _ZL33flash_attn_stream_k_fixup_generalILi64ELi4ELi1EEvPfPK15HIP_vector_typeIfLj2EEiiiiS1_IjLj3EES5_S5_S5_.has_indirect_call, 0
	.section	.AMDGPU.csdata,"",@progbits
; Kernel info:
; codeLenInByte = 2932
; TotalNumSgprs: 42
; NumVgprs: 18
; NumAgprs: 0
; TotalNumVgprs: 18
; ScratchSize: 0
; MemoryBound: 0
; FloatMode: 240
; IeeeMode: 1
; LDSByteSize: 0 bytes/workgroup (compile time only)
; SGPRBlocks: 5
; VGPRBlocks: 2
; NumSGPRsForWavesPerEU: 42
; NumVGPRsForWavesPerEU: 18
; AccumOffset: 20
; Occupancy: 8
; WaveLimiterHint : 0
; COMPUTE_PGM_RSRC2:SCRATCH_EN: 0
; COMPUTE_PGM_RSRC2:USER_SGPR: 2
; COMPUTE_PGM_RSRC2:TRAP_HANDLER: 0
; COMPUTE_PGM_RSRC2:TGID_X_EN: 1
; COMPUTE_PGM_RSRC2:TGID_Y_EN: 1
; COMPUTE_PGM_RSRC2:TGID_Z_EN: 1
; COMPUTE_PGM_RSRC2:TIDIG_COMP_CNT: 0
; COMPUTE_PGM_RSRC3_GFX90A:ACCUM_OFFSET: 4
; COMPUTE_PGM_RSRC3_GFX90A:TG_SPLIT: 0
	.section	.text._ZL15flash_attn_tileILi64ELi64ELi2ELi1ELb0EEvPKcS1_S1_S1_S1_PKiPfP15HIP_vector_typeIfLj2EEffffjfiS5_IjLj3EEiiiiiiiiiiiliiliiiiil,"axG",@progbits,_ZL15flash_attn_tileILi64ELi64ELi2ELi1ELb0EEvPKcS1_S1_S1_S1_PKiPfP15HIP_vector_typeIfLj2EEffffjfiS5_IjLj3EEiiiiiiiiiiiliiliiiiil,comdat
	.globl	_ZL15flash_attn_tileILi64ELi64ELi2ELi1ELb0EEvPKcS1_S1_S1_S1_PKiPfP15HIP_vector_typeIfLj2EEffffjfiS5_IjLj3EEiiiiiiiiiiiliiliiiiil ; -- Begin function _ZL15flash_attn_tileILi64ELi64ELi2ELi1ELb0EEvPKcS1_S1_S1_S1_PKiPfP15HIP_vector_typeIfLj2EEffffjfiS5_IjLj3EEiiiiiiiiiiiliiliiiiil
	.p2align	8
	.type	_ZL15flash_attn_tileILi64ELi64ELi2ELi1ELb0EEvPKcS1_S1_S1_S1_PKiPfP15HIP_vector_typeIfLj2EEffffjfiS5_IjLj3EEiiiiiiiiiiiliiliiiiil,@function
_ZL15flash_attn_tileILi64ELi64ELi2ELi1ELb0EEvPKcS1_S1_S1_S1_PKiPfP15HIP_vector_typeIfLj2EEffffjfiS5_IjLj3EEiiiiiiiiiiiliiliiiiil: ; @_ZL15flash_attn_tileILi64ELi64ELi2ELi1ELb0EEvPKcS1_S1_S1_S1_PKiPfP15HIP_vector_typeIfLj2EEffffjfiS5_IjLj3EEiiiiiiiiiiiliiliiiiil
; %bb.0:
	s_load_dwordx4 s[24:27], s[0:1], 0x5c
	s_load_dwordx2 s[38:39], s[0:1], 0x80
	s_load_dwordx2 s[40:41], s[0:1], 0xb8
	s_mov_b64 s[36:37], 0
	s_waitcnt lgkmcnt(0)
	v_cvt_f32_u32_e32 v1, s27
	s_sub_i32 s5, 0, s27
	v_rcp_iflag_f32_e32 v1, v1
	s_nop 0
	v_mul_f32_e32 v1, 0x4f7ffffe, v1
	v_cvt_u32_f32_e32 v1, v1
	s_nop 0
	v_readfirstlane_b32 s6, v1
	s_mul_i32 s5, s5, s6
	s_mul_hi_u32 s5, s6, s5
	s_add_i32 s6, s6, s5
	s_mul_hi_u32 s5, s4, s6
	s_mul_i32 s6, s5, s27
	s_sub_i32 s6, s4, s6
	s_add_i32 s7, s5, 1
	s_sub_i32 s8, s6, s27
	s_cmp_ge_u32 s6, s27
	s_cselect_b32 s5, s7, s5
	s_cselect_b32 s6, s8, s6
	s_add_i32 s7, s5, 1
	s_cmp_ge_u32 s6, s27
	s_cselect_b32 s33, s7, s5
	s_abs_i32 s5, s39
	v_cvt_f32_u32_e32 v1, s5
	s_mul_i32 s8, s33, s27
	s_sub_i32 s9, 0, s5
	s_sub_i32 s34, s4, s8
	v_rcp_iflag_f32_e32 v1, v1
	s_abs_i32 s7, s27
	s_xor_b32 s6, s27, s39
	s_ashr_i32 s6, s6, 31
	v_mul_f32_e32 v1, 0x4f7ffffe, v1
	v_cvt_u32_f32_e32 v1, v1
	s_nop 0
	v_readfirstlane_b32 s4, v1
	s_mul_i32 s9, s9, s4
	s_mul_hi_u32 s8, s4, s9
	s_add_i32 s4, s4, s8
	s_mul_hi_u32 s4, s7, s4
	s_mul_i32 s8, s4, s5
	s_sub_i32 s7, s7, s8
	s_add_i32 s9, s4, 1
	s_sub_i32 s8, s7, s5
	s_cmp_ge_u32 s7, s5
	s_cselect_b32 s4, s9, s4
	s_cselect_b32 s7, s8, s7
	s_add_i32 s8, s4, 1
	s_cmp_ge_u32 s7, s5
	s_cselect_b32 s4, s8, s4
	s_xor_b32 s4, s4, s6
	s_sub_i32 s43, s4, s6
	s_abs_i32 s39, s43
	v_cvt_f32_u32_e32 v1, s39
	s_load_dwordx16 s[8:23], s[0:1], 0x0
	s_sub_i32 s4, 0, s39
	s_abs_i32 s42, s34
	v_rcp_iflag_f32_e32 v1, v1
	s_nop 0
	v_mul_f32_e32 v1, 0x4f7ffffe, v1
	v_cvt_u32_f32_e32 v1, v1
	s_nop 0
	v_readfirstlane_b32 s5, v1
	s_mul_i32 s4, s4, s5
	s_mul_hi_u32 s4, s5, s4
	s_add_i32 s4, s5, s4
	s_waitcnt lgkmcnt(0)
	s_cmp_eq_u64 s[14:15], 0
	s_cbranch_scc1 .LBB68_2
; %bb.1:
	s_abs_i32 s5, s40
	v_cvt_f32_u32_e32 v1, s5
	s_sub_i32 s30, 0, s5
	s_abs_i32 s29, s33
	s_ashr_i32 s28, s33, 31
	v_rcp_iflag_f32_e32 v1, v1
	s_load_dwordx2 s[6:7], s[0:1], 0xc8
	v_mul_f32_e32 v1, 0x4f7ffffe, v1
	v_cvt_u32_f32_e32 v1, v1
	s_nop 0
	v_readfirstlane_b32 s31, v1
	s_mul_i32 s30, s30, s31
	s_mul_hi_u32 s30, s31, s30
	s_add_i32 s31, s31, s30
	s_mul_hi_u32 s30, s29, s31
	s_mul_i32 s30, s30, s5
	s_sub_i32 s29, s29, s30
	s_sub_i32 s30, s29, s5
	s_cmp_ge_u32 s29, s5
	s_cselect_b32 s29, s30, s29
	s_sub_i32 s30, s29, s5
	s_cmp_ge_u32 s29, s5
	s_cselect_b32 s5, s30, s29
	s_xor_b32 s5, s5, s28
	s_sub_i32 s5, s5, s28
	s_ashr_i32 s28, s5, 31
	s_waitcnt lgkmcnt(0)
	s_mul_hi_u32 s29, s6, s5
	s_mul_i32 s28, s6, s28
	s_mul_i32 s7, s7, s5
	s_add_i32 s28, s29, s28
	s_add_i32 s28, s28, s7
	s_mul_i32 s5, s6, s5
	s_add_u32 s36, s14, s5
	s_addc_u32 s37, s15, s28
.LBB68_2:
	s_load_dwordx4 s[28:31], s[0:1], 0x40
	s_mul_hi_u32 s15, s42, s4
	s_load_dword s4, s[0:1], 0x50
	v_mov_b32_e32 v26, 1.0
	s_waitcnt lgkmcnt(0)
	v_cmp_le_f32_e64 s[6:7], s29, 0
	s_and_b64 vcc, exec, s[6:7]
	s_cbranch_vccnz .LBB68_4
; %bb.3:
	v_mov_b32_e32 v1, s4
	v_sub_co_u32_e32 v1, vcc, s34, v1
	v_mov_b32_e32 v2, s31
	v_mov_b32_e32 v3, s30
	s_add_i32 s4, s34, 1
	v_lshlrev_b32_e32 v1, 1, v1
	v_cndmask_b32_e32 v2, v2, v3, vcc
	v_or_b32_e32 v1, 1, v1
	v_mov_b32_e32 v3, s4
	v_cndmask_b32_e32 v1, v1, v3, vcc
	v_cvt_f32_i32_e32 v1, v1
	v_cmp_neq_f32_e32 vcc, 1.0, v2
	s_mov_b32 s4, 0x3f2aaaab
	s_movk_i32 s6, 0x204
	v_cndmask_b32_e32 v1, 1.0, v1, vcc
	v_cmp_neq_f32_e32 vcc, 0, v1
	s_mov_b32 s5, 0x42b17218
	s_mov_b32 s7, 0x3fb8aa3b
	v_cndmask_b32_e32 v18, 1.0, v2, vcc
	v_frexp_mant_f32_e64 v2, |v18|
	v_cmp_gt_f32_e32 vcc, s4, v2
	s_mov_b32 s4, 0x3f317218
	s_brev_b32 s14, -2
	v_cndmask_b32_e64 v3, 1.0, 2.0, vcc
	v_mul_f32_e32 v2, v2, v3
	v_add_f32_e32 v5, 1.0, v2
	v_rcp_f32_e32 v10, v5
	v_add_f32_e32 v3, -1.0, v5
	v_sub_f32_e32 v7, v2, v3
	v_add_f32_e32 v3, -1.0, v2
	v_mul_f32_e32 v11, v3, v10
	v_mul_f32_e32 v4, v5, v11
	v_fma_f32 v6, v11, v5, -v4
	v_fmac_f32_e32 v6, v11, v7
	v_add_f32_e32 v2, v4, v6
	v_sub_f32_e32 v5, v3, v2
	v_pk_add_f32 v[8:9], v[2:3], v[4:5] neg_lo:[0,1] neg_hi:[0,1]
	v_mov_b32_e32 v7, v2
	v_pk_add_f32 v[2:3], v[8:9], v[6:7] neg_lo:[0,1] neg_hi:[0,1]
	v_mov_b32_e32 v6, 0x3e91f4c4
	v_add_f32_e32 v2, v2, v3
	v_add_f32_e32 v2, v5, v2
	v_mul_f32_e32 v3, v10, v2
	v_add_f32_e32 v2, v11, v3
	v_sub_f32_e32 v4, v2, v11
	v_sub_f32_e32 v12, v3, v4
	v_mul_f32_e32 v3, v2, v2
	v_fma_f32 v5, v2, v2, -v3
	v_add_f32_e32 v4, v12, v12
	v_fmac_f32_e32 v5, v2, v4
	v_add_f32_e32 v4, v3, v5
	v_fmac_f32_e32 v6, 0x3e76c4e1, v4
	v_fmaak_f32 v6, v4, v6, 0x3ecccdef
	v_sub_f32_e32 v3, v4, v3
	v_sub_f32_e32 v13, v5, v3
	v_mul_f32_e32 v3, v4, v6
	v_fma_f32 v5, v4, v6, -v3
	v_fmac_f32_e32 v5, v13, v6
	v_add_f32_e32 v6, v3, v5
	v_add_f32_e32 v7, 0x3f2aaaaa, v6
	v_sub_f32_e32 v3, v6, v3
	v_sub_f32_e32 v3, v5, v3
	v_add_f32_e32 v5, 0xbf2aaaaa, v7
	v_add_f32_e32 v3, 0x31739010, v3
	v_sub_f32_e32 v5, v6, v5
	v_pk_mul_f32 v[8:9], v[2:3], v[4:5]
	v_pk_add_f32 v[10:11], v[2:3], v[4:5]
	v_fma_f32 v6, v4, v2, -v8
	v_fmac_f32_e32 v6, v4, v12
	v_mov_b32_e32 v9, v11
	v_fmac_f32_e32 v6, v13, v2
	v_pk_add_f32 v[4:5], v[8:9], v[6:7]
	v_ldexp_f32 v14, v12, 1
	v_sub_f32_e32 v3, v4, v8
	v_sub_f32_e32 v3, v6, v3
	;; [unrolled: 1-line block ×3, first 2 shown]
	v_add_f32_e32 v9, v11, v6
	v_pk_mul_f32 v[6:7], v[4:5], v[4:5] op_sel:[0,1] op_sel_hi:[1,0]
	v_cvt_f64_f32_e64 v[10:11], |v18|
	v_frexp_exp_i32_f64_e32 v7, v[10:11]
	v_subbrev_co_u32_e32 v7, vcc, 0, v7, vcc
	v_cvt_f32_i32_e32 v7, v7
	v_fma_f32 v8, v4, v5, -v6
	v_fmac_f32_e32 v8, v4, v9
	v_fmac_f32_e32 v8, v3, v5
	v_mul_f32_e32 v4, 0x3f317218, v7
	v_fma_f32 v3, v7, s4, -v4
	v_fmamk_f32 v10, v7, 0xb102e308, v3
	v_ldexp_f32 v11, v2, 1
	v_add_f32_e32 v5, v6, v8
	v_pk_add_f32 v[2:3], v[4:5], v[10:11]
	v_mov_b32_e32 v12, v5
	v_mov_b32_e32 v13, v3
	;; [unrolled: 1-line block ×3, first 2 shown]
	v_pk_add_f32 v[6:7], v[12:13], v[6:7] neg_lo:[0,1] neg_hi:[0,1]
	v_mov_b32_e32 v9, v5
	v_pk_add_f32 v[6:7], v[8:9], v[6:7] neg_lo:[0,1] neg_hi:[0,1]
	v_mov_b32_e32 v11, v2
	v_add_f32_e32 v5, v14, v6
	v_add_f32_e32 v5, v5, v7
	v_pk_add_f32 v[6:7], v[2:3], v[4:5] neg_lo:[0,1] neg_hi:[0,1]
	v_pk_add_f32 v[8:9], v[2:3], v[4:5]
	v_mov_b32_e32 v16, v3
	v_mov_b32_e32 v7, v9
	v_pk_add_f32 v[12:13], v[10:11], v[6:7] neg_lo:[0,1] neg_hi:[0,1]
	v_pk_add_f32 v[6:7], v[10:11], v[6:7]
	v_mov_b32_e32 v4, v5
	v_pk_add_f32 v[10:11], v[6:7], v[2:3] op_sel:[1,0] op_sel_hi:[0,1] neg_lo:[0,1] neg_hi:[0,1]
	v_pk_add_f32 v[14:15], v[8:9], v[10:11] op_sel_hi:[1,0] neg_lo:[0,1] neg_hi:[0,1]
	v_mov_b32_e32 v8, v9
	v_mov_b32_e32 v9, v7
	;; [unrolled: 1-line block ×3, first 2 shown]
	v_pk_add_f32 v[8:9], v[8:9], v[16:17] neg_lo:[0,1] neg_hi:[0,1]
	v_mov_b32_e32 v5, v2
	v_pk_add_f32 v[2:3], v[4:5], v[8:9] neg_lo:[0,1] neg_hi:[0,1]
	v_mov_b32_e32 v14, v12
	v_pk_add_f32 v[4:5], v[14:15], v[2:3]
	v_mov_b32_e32 v13, v7
	v_pk_add_f32 v[8:9], v[4:5], v[4:5] op_sel:[0,1] op_sel_hi:[1,0]
	s_mov_b32 s4, 0x7f800000
	v_pk_add_f32 v[6:7], v[6:7], v[8:9] op_sel:[1,0] op_sel_hi:[0,1]
	v_mov_b32_e32 v5, v6
	v_pk_add_f32 v[10:11], v[4:5], v[12:13] neg_lo:[0,1] neg_hi:[0,1]
	v_mov_b32_e32 v3, v8
	v_sub_f32_e32 v4, v4, v10
	v_pk_add_f32 v[2:3], v[2:3], v[10:11] neg_lo:[0,1] neg_hi:[0,1]
	v_sub_f32_e32 v4, v12, v4
	v_add_f32_e32 v2, v2, v4
	v_add_f32_e32 v2, v2, v3
	;; [unrolled: 1-line block ×3, first 2 shown]
	v_sub_f32_e32 v4, v3, v6
	v_sub_f32_e32 v2, v2, v4
	v_mul_f32_e32 v4, v1, v3
	v_fma_f32 v3, v1, v3, -v4
	v_fmac_f32_e32 v3, v1, v2
	v_add_f32_e32 v2, v4, v3
	v_cmp_class_f32_e64 vcc, v4, s6
	v_sub_f32_e32 v5, v2, v4
	v_sub_f32_e32 v3, v3, v5
	v_cndmask_b32_e32 v2, v2, v4, vcc
	v_mov_b32_e32 v4, 0x37000000
	v_cmp_eq_f32_e32 vcc, s5, v2
	v_cmp_class_f32_e64 s[30:31], v18, s6
	s_nop 0
	v_cndmask_b32_e32 v4, 0, v4, vcc
	v_sub_f32_e32 v5, v2, v4
	v_mul_f32_e32 v6, 0x3fb8aa3b, v5
	v_fma_f32 v7, v5, s7, -v6
	v_rndne_f32_e32 v8, v6
	v_fmamk_f32 v7, v5, 0x32a5705f, v7
	v_sub_f32_e32 v6, v6, v8
	v_add_f32_e32 v6, v6, v7
	v_exp_f32_e32 v6, v6
	v_cvt_i32_f32_e32 v7, v8
	v_cmp_neq_f32_e64 vcc, |v2|, s4
	s_mov_b32 s4, 0xc2ce8ed0
	s_nop 0
	v_cndmask_b32_e32 v2, 0, v3, vcc
	v_ldexp_f32 v3, v6, v7
	v_cmp_ngt_f32_e32 vcc, s4, v5
	v_add_f32_e32 v2, v4, v2
	v_mov_b32_e32 v4, 0x7f800000
	v_cndmask_b32_e32 v3, 0, v3, vcc
	v_cmp_nlt_f32_e32 vcc, s5, v5
	v_mov_b32_e32 v5, 0x7fc00000
	s_nop 0
	v_cndmask_b32_e32 v3, v4, v3, vcc
	v_fma_f32 v2, v3, v2, v3
	v_cmp_class_f32_e64 vcc, v3, s6
	v_cmp_gt_f32_e64 s[6:7], 0, v1
	s_nop 0
	v_cndmask_b32_e32 v2, v2, v3, vcc
	v_trunc_f32_e32 v3, v1
	v_cmp_eq_f32_e32 vcc, v3, v1
	v_mul_f32_e32 v3, 0.5, v1
	v_trunc_f32_e32 v6, v3
	v_cmp_neq_f32_e64 s[4:5], v6, v3
	s_and_b64 s[4:5], vcc, s[4:5]
	s_nop 0
	v_cndmask_b32_e64 v3, 1.0, v18, s[4:5]
	v_bfi_b32 v2, s14, v2, v3
	v_cndmask_b32_e32 v3, v5, v2, vcc
	v_cmp_gt_f32_e32 vcc, 0, v18
	s_nop 1
	v_cndmask_b32_e32 v2, v2, v3, vcc
	v_cmp_eq_f32_e32 vcc, 0, v18
	s_xor_b64 s[6:7], s[6:7], vcc
	v_cndmask_b32_e64 v1, v4, 0, s[6:7]
	v_cndmask_b32_e64 v3, 0, v18, s[4:5]
	v_bfi_b32 v1, s14, v1, v3
	s_or_b64 vcc, vcc, s[30:31]
	v_cndmask_b32_e32 v1, v2, v1, vcc
	v_cmp_o_f32_e32 vcc, v18, v18
	s_nop 1
	v_cndmask_b32_e32 v26, v5, v1, vcc
.LBB68_4:
	s_load_dwordx4 s[44:47], s[0:1], 0x70
	v_bfe_u32 v25, v0, 10, 10
	s_ashr_i32 s35, s34, 31
	s_ashr_i32 s4, s43, 31
	v_lshl_add_u32 v1, s2, 1, v25
	s_waitcnt lgkmcnt(0)
	s_mul_i32 s5, s33, s46
	s_ashr_i32 s7, s5, 31
	s_mul_i32 s6, s34, s45
	s_add_u32 s5, s8, s5
	v_mul_hi_u32 v2, s24, v1
	s_addc_u32 s7, s9, s7
	s_ashr_i32 s8, s6, 31
	v_add_u32_e32 v2, v1, v2
	s_add_u32 s6, s5, s6
	v_lshrrev_b32_e32 v2, s25, v2
	s_addc_u32 s7, s7, s8
	v_mul_lo_u32 v2, v2, s26
	s_ashr_i32 s45, s44, 31
	v_sub_u32_e32 v27, v1, v2
	s_lshr_b64 s[8:9], s[44:45], 2
	v_mad_u64_u32 v[2:3], s[8:9], s8, v27, 0
	v_mov_b32_e32 v4, v3
	s_lshr_b32 s5, s45, 2
	v_mad_u64_u32 v[4:5], s[8:9], s5, v27, v[4:5]
	v_mov_b32_e32 v3, v4
	v_and_b32_e32 v0, 0x3ff, v0
	v_lshl_add_u64 v[4:5], v[2:3], 2, s[6:7]
	v_lshlrev_b32_e32 v2, 3, v0
	v_mov_b32_e32 v3, 0
	v_lshl_add_u64 v[4:5], v[4:5], 0, v[2:3]
	global_load_dwordx2 v[4:5], v[4:5], off
	v_mov_b32_e32 v2, 0x1200
	v_lshl_add_u32 v28, v25, 7, v2
	v_lshl_add_u32 v2, v0, 2, v28
	s_cmp_eq_u64 s[18:19], 0
	s_waitcnt vmcnt(0)
	v_fma_mixlo_f16 v5, s28, v5, 0
	v_fma_mixlo_f16 v4, s28, v4, 0
	v_lshlrev_b32_e32 v5, 16, v5
	v_or_b32_sdwa v4, v5, v4 dst_sel:DWORD dst_unused:UNUSED_PAD src0_sel:DWORD src1_sel:WORD_0
	ds_write_b32 v2, v4
	s_waitcnt lgkmcnt(0)
	; wave barrier
	s_cbranch_scc1 .LBB68_6
; %bb.5:
	s_load_dword s5, s[0:1], 0xd0
	s_mov_b32 s7, 0
	s_waitcnt lgkmcnt(0)
	s_mul_i32 s5, s5, s33
	s_add_i32 s6, s5, s2
	s_lshl_b64 s[6:7], s[6:7], 2
	s_add_u32 s6, s18, s6
	s_addc_u32 s7, s19, s7
	s_load_dword s38, s[6:7], 0x0
.LBB68_6:
	s_nop 0
	s_load_dwordx2 s[6:7], s[0:1], 0x8c
	s_load_dwordx4 s[28:31], s[0:1], 0x98
	s_load_dwordx2 s[18:19], s[0:1], 0xa8
	s_ashr_i32 s5, s33, 31
	s_ashr_i32 s14, s41, 1
	s_waitcnt lgkmcnt(0)
	s_ashr_i32 s8, s6, 2
	s_mul_hi_u32 s6, s28, s33
	s_mul_i32 s9, s28, s5
	s_add_i32 s6, s6, s9
	s_mul_i32 s9, s29, s33
	s_ashr_i32 s2, s30, 2
	s_add_i32 s6, s6, s9
	s_mul_i32 s9, s28, s33
	s_add_u32 s9, s10, s9
	s_mul_i32 s10, s15, s39
	s_addc_u32 s6, s11, s6
	s_sub_i32 s10, s42, s10
	s_xor_b32 s4, s35, s4
	s_add_i32 s11, s15, 1
	s_sub_i32 s24, s10, s39
	s_cmp_ge_u32 s10, s39
	s_cselect_b32 s11, s11, s15
	s_cselect_b32 s10, s24, s10
	s_add_i32 s15, s11, 1
	s_cmp_ge_u32 s10, s39
	s_cselect_b32 s10, s15, s11
	s_xor_b32 s10, s10, s4
	s_sub_i32 s4, s10, s4
	s_mul_i32 s7, s4, s7
	s_ashr_i32 s10, s7, 31
	s_add_u32 s9, s9, s7
	s_addc_u32 s10, s6, s10
	s_mul_hi_u32 s6, s18, s33
	s_mul_i32 s5, s18, s5
	s_add_i32 s5, s6, s5
	s_mul_i32 s6, s19, s33
	s_add_i32 s5, s5, s6
	s_mul_i32 s6, s18, s33
	s_add_u32 s6, s12, s6
	s_mul_i32 s4, s4, s31
	s_addc_u32 s5, s13, s5
	s_ashr_i32 s7, s4, 31
	s_add_u32 s18, s6, s4
	s_addc_u32 s19, s5, s7
	s_lshl_b32 s24, s3, 5
	s_sub_i32 s11, s38, 32
	s_cmp_ge_i32 s24, s11
	v_lshrrev_b32_e32 v30, 3, v0
	v_lshlrev_b32_e32 v24, 2, v0
	v_mbcnt_lo_u32_b32 v29, -1, 0
	s_cbranch_scc1 .LBB68_12
; %bb.7:
	v_and_b32_e32 v2, 28, v24
	v_lshl_add_u32 v3, v25, 2, v30
	v_lshlrev_b32_e32 v4, 2, v2
	s_movk_i32 s4, 0x90
	v_mad_u32_u24 v31, v3, s4, v4
	v_mul_lo_u32 v6, s8, v3
	s_lshl_b32 s4, s8, 3
	v_add_u32_e32 v8, s4, v6
	v_add_u32_e32 v10, s4, v8
	s_cmp_lg_u64 s[36:37], 0
	v_mad_u64_u32 v[14:15], s[6:7], v27, s14, v[0:1]
	v_add_u32_e32 v12, s4, v10
	s_cselect_b64 s[4:5], -1, 0
	v_mul_lo_u32 v16, s2, v3
	s_lshl_b32 s6, s2, 3
	v_add_u32_e32 v18, s6, v16
	v_mov_b32_e32 v15, 0x1300
	v_add_u32_e32 v20, s6, v18
	v_mov_b32_e32 v5, 0
	v_lshl_add_u32 v36, v25, 6, v15
	v_lshl_or_b32 v38, v3, 7, v4
	v_add_u32_e32 v22, s6, v20
	s_add_u32 s6, s0, 0xd0
	v_lshlrev_b32_e32 v4, 2, v2
	v_cndmask_b32_e64 v2, 0, 1, s[4:5]
	v_ashrrev_i32_e32 v7, 31, v6
	v_add_u32_e32 v32, 0x480, v31
	v_ashrrev_i32_e32 v9, 31, v8
	v_add_u32_e32 v33, 0x900, v31
	;; [unrolled: 2-line block ×3, first 2 shown]
	v_ashrrev_i32_e32 v13, 31, v12
	v_mul_u32_u24_e32 v35, 0x90, v0
	v_lshl_add_u32 v37, v0, 1, v36
	v_ashrrev_i32_e32 v17, 31, v16
	v_add_u32_e32 v39, 0x400, v38
	v_ashrrev_i32_e32 v19, 31, v18
	v_add_u32_e32 v40, 0x800, v38
	;; [unrolled: 2-line block ×3, first 2 shown]
	v_ashrrev_i32_e32 v23, 31, v22
	s_addc_u32 s7, s1, 0
	v_mov_b32_e32 v45, 0xfeffffff
	s_mov_b32 s12, 0x3fb8aa3b
	s_mov_b32 s13, 0xc2ce8ed0
	;; [unrolled: 1-line block ×4, first 2 shown]
	v_cmp_ne_u32_e64 s[4:5], 1, v2
	v_mbcnt_hi_u32_b32 v42, -1, v29
	v_mov_b32_e32 v43, 0x7f800000
	v_mov_b32_e32 v15, v5
	;; [unrolled: 1-line block ×3, first 2 shown]
.LBB68_8:                               ; =>This Inner Loop Header: Depth=1
	s_mul_hi_i32 s29, s24, s8
	s_mul_i32 s28, s24, s8
	s_lshl_b64 s[28:29], s[28:29], 2
	s_add_u32 s28, s9, s28
	s_addc_u32 s29, s10, s29
	v_lshl_add_u64 v[2:3], v[6:7], 2, s[28:29]
	v_lshl_add_u64 v[2:3], v[2:3], 0, v[4:5]
	;; [unrolled: 1-line block ×4, first 2 shown]
	global_load_dwordx4 v[46:49], v[2:3], off
	global_load_dwordx4 v[50:53], v[54:55], off
	v_lshl_add_u64 v[2:3], v[10:11], 2, s[28:29]
	v_lshl_add_u64 v[2:3], v[2:3], 0, v[4:5]
	;; [unrolled: 1-line block ×4, first 2 shown]
	global_load_dwordx4 v[54:57], v[2:3], off
	global_load_dwordx4 v[58:61], v[62:63], off
	v_mov_b32_e32 v2, 0
	s_and_b64 vcc, exec, s[4:5]
	v_mov_b32_e32 v3, 0
	s_waitcnt vmcnt(3)
	ds_write_b128 v31, v[46:49]
	s_waitcnt vmcnt(2)
	ds_write_b128 v32, v[50:53]
	;; [unrolled: 2-line block ×4, first 2 shown]
	s_waitcnt lgkmcnt(0)
	; wave barrier
	ds_read_b128 v[46:49], v35
	ds_read_b128 v[50:53], v28
	s_waitcnt lgkmcnt(0)
	;;#ASMSTART
	v_dot2_f32_f16 v2, v46, v50, v2
	;;#ASMEND
	s_nop 0
	;;#ASMSTART
	v_dot2_f32_f16 v2, v47, v51, v2
	;;#ASMEND
	s_nop 0
	;;#ASMSTART
	v_dot2_f32_f16 v2, v48, v52, v2
	;;#ASMEND
	s_nop 0
	;;#ASMSTART
	v_dot2_f32_f16 v2, v49, v53, v2
	;;#ASMEND
	ds_read_b128 v[46:49], v35 offset:16
	ds_read_b128 v[50:53], v28 offset:16
	s_waitcnt lgkmcnt(0)
	;;#ASMSTART
	v_dot2_f32_f16 v2, v46, v50, v2
	;;#ASMEND
	s_nop 0
	;;#ASMSTART
	v_dot2_f32_f16 v2, v47, v51, v2
	;;#ASMEND
	s_nop 0
	;;#ASMSTART
	v_dot2_f32_f16 v2, v48, v52, v2
	;;#ASMEND
	s_nop 0
	;;#ASMSTART
	v_dot2_f32_f16 v2, v49, v53, v2
	;;#ASMEND
	ds_read_b128 v[46:49], v35 offset:32
	ds_read_b128 v[50:53], v28 offset:32
	;; [unrolled: 18-line block ×7, first 2 shown]
	s_waitcnt lgkmcnt(0)
	;;#ASMSTART
	v_dot2_f32_f16 v2, v46, v50, v2
	;;#ASMEND
	s_nop 0
	;;#ASMSTART
	v_dot2_f32_f16 v2, v47, v51, v2
	;;#ASMEND
	s_nop 0
	;; [unrolled: 4-line block ×3, first 2 shown]
	;;#ASMSTART
	v_dot2_f32_f16 v2, v49, v53, v2
	;;#ASMEND
	s_cbranch_vccnz .LBB68_10
; %bb.9:                                ;   in Loop: Header=BB68_8 Depth=1
	v_add_u32_e32 v46, s24, v14
	v_ashrrev_i32_e32 v47, 31, v46
	v_lshl_add_u64 v[46:47], v[46:47], 1, s[36:37]
	global_load_ushort v3, v[46:47], off
	s_waitcnt vmcnt(0)
	v_cvt_f32_f16_e32 v3, v3
	v_mul_f32_e32 v3, v26, v3
.LBB68_10:                              ;   in Loop: Header=BB68_8 Depth=1
	v_and_b32_e32 v46, 0x60, v42
	s_mul_hi_i32 s29, s24, s2
	s_mul_i32 s28, s24, s2
	v_add_u32_e32 v70, 32, v46
	v_xor_b32_e32 v46, 16, v42
	s_lshl_b64 s[28:29], s[28:29], 2
	v_cmp_lt_i32_e32 vcc, v46, v70
	s_add_u32 s28, s18, s28
	s_addc_u32 s29, s19, s29
	v_cndmask_b32_e32 v46, v42, v46, vcc
	v_lshlrev_b32_e32 v71, 2, v46
	v_lshl_add_u64 v[46:47], v[16:17], 2, s[28:29]
	v_lshl_add_u64 v[62:63], v[46:47], 0, v[4:5]
	;; [unrolled: 1-line block ×7, first 2 shown]
	; wave barrier
	v_lshl_add_u64 v[68:69], v[46:47], 0, v[4:5]
	global_load_dwordx4 v[46:49], v[62:63], off
	global_load_dwordx4 v[50:53], v[64:65], off
	;; [unrolled: 1-line block ×4, first 2 shown]
	v_add_f32_e32 v3, v2, v3
	v_add_f32_e32 v2, 0x40051340, v3
	v_max_f32_e32 v62, v45, v45
	v_max_f32_e32 v2, v62, v2
	ds_bpermute_b32 v62, v71, v2
	v_xor_b32_e32 v63, 8, v42
	v_cmp_lt_i32_e32 vcc, v63, v70
	s_waitcnt lgkmcnt(0)
	v_max_f32_e32 v62, v62, v62
	v_cndmask_b32_e32 v63, v42, v63, vcc
	v_lshlrev_b32_e32 v63, 2, v63
	v_max_f32_e32 v2, v2, v62
	ds_bpermute_b32 v62, v63, v2
	v_xor_b32_e32 v63, 4, v42
	v_cmp_lt_i32_e32 vcc, v63, v70
	s_waitcnt lgkmcnt(0)
	v_max_f32_e32 v62, v62, v62
	v_cndmask_b32_e32 v63, v42, v63, vcc
	v_lshlrev_b32_e32 v63, 2, v63
	;; [unrolled: 8-line block ×4, first 2 shown]
	v_max_f32_e32 v2, v2, v62
	ds_bpermute_b32 v62, v63, v2
	s_waitcnt lgkmcnt(0)
	v_max_f32_e32 v62, v62, v62
	v_max_f32_e32 v2, v2, v62
	v_sub_f32_e32 v3, v3, v2
	v_mul_f32_e32 v62, 0x3fb8aa3b, v3
	v_fma_f32 v63, v3, s12, -v62
	v_rndne_f32_e32 v64, v62
	v_fmac_f32_e32 v63, 0x32a5705f, v3
	v_sub_f32_e32 v62, v62, v64
	v_add_f32_e32 v62, v62, v63
	v_exp_f32_e32 v62, v62
	v_cvt_i32_f32_e32 v63, v64
	v_sub_f32_e32 v45, v45, v2
	v_cmp_ngt_f32_e32 vcc, s13, v3
	v_ldexp_f32 v62, v62, v63
	v_mul_f32_e32 v63, 0x3fb8aa3b, v45
	v_fma_f32 v64, v45, s12, -v63
	v_rndne_f32_e32 v65, v63
	v_fmac_f32_e32 v64, 0x32a5705f, v45
	v_sub_f32_e32 v63, v63, v65
	v_add_f32_e32 v63, v63, v64
	v_exp_f32_e32 v63, v63
	v_cvt_i32_f32_e32 v64, v65
	v_cndmask_b32_e32 v62, 0, v62, vcc
	v_cmp_nlt_f32_e32 vcc, s15, v3
	s_nop 1
	v_cndmask_b32_e32 v3, v43, v62, vcc
	v_ldexp_f32 v62, v63, v64
	v_cmp_ngt_f32_e32 vcc, s13, v45
	v_cvt_f16_f32_e32 v63, v3
	ds_write_b16 v37, v63
	s_waitcnt vmcnt(3)
	ds_write_b128 v38, v[46:49]
	s_waitcnt vmcnt(2)
	ds_write_b128 v39, v[50:53]
	;; [unrolled: 2-line block ×4, first 2 shown]
	v_cndmask_b32_e32 v62, 0, v62, vcc
	v_cmp_nlt_f32_e32 vcc, s15, v45
	s_waitcnt lgkmcnt(0)
	; wave barrier
	s_nop 0
	v_cndmask_b32_e32 v45, v43, v62, vcc
	v_cvt_f16_f32_e32 v62, v45
	v_fmac_f32_e32 v3, v44, v45
	ds_read_b128 v[44:47], v36
	ds_read2_b32 v[60:61], v24 offset1:32
	ds_read_b128 v[48:51], v36 offset:16
	ds_read_b128 v[52:55], v36 offset:32
	ds_read_b128 v[56:59], v36 offset:48
	s_waitcnt lgkmcnt(4)
	v_mul_u32_u24_sdwa v63, v44, s25 dst_sel:DWORD dst_unused:UNUSED_PAD src0_sel:WORD_0 src1_sel:DWORD
	v_mul_u32_u24_e32 v62, 0x10001, v62
	s_waitcnt lgkmcnt(3)
	v_pk_mul_f16 v60, v60, v63
	v_mul_u32_u24_sdwa v44, v44, s25 dst_sel:DWORD dst_unused:UNUSED_PAD src0_sel:WORD_1 src1_sel:DWORD
	v_pk_fma_f16 v15, v15, v62, v60
	ds_read2_b32 v[62:63], v24 offset0:64 offset1:96
	v_pk_fma_f16 v15, v61, v44, v15
	ds_read2_b32 v[60:61], v24 offset0:128 offset1:160
	v_mul_u32_u24_sdwa v44, v45, s25 dst_sel:DWORD dst_unused:UNUSED_PAD src0_sel:WORD_0 src1_sel:DWORD
	s_waitcnt lgkmcnt(1)
	v_pk_fma_f16 v15, v62, v44, v15
	v_mul_u32_u24_sdwa v44, v45, s25 dst_sel:DWORD dst_unused:UNUSED_PAD src0_sel:WORD_1 src1_sel:DWORD
	v_pk_fma_f16 v15, v63, v44, v15
	v_mul_u32_u24_sdwa v44, v46, s25 dst_sel:DWORD dst_unused:UNUSED_PAD src0_sel:WORD_0 src1_sel:DWORD
	s_waitcnt lgkmcnt(0)
	v_pk_fma_f16 v15, v60, v44, v15
	ds_read2_b32 v[44:45], v24 offset0:192 offset1:224
	v_mul_u32_u24_sdwa v46, v46, s25 dst_sel:DWORD dst_unused:UNUSED_PAD src0_sel:WORD_1 src1_sel:DWORD
	v_add_u32_e32 v62, 0x400, v24
	v_pk_fma_f16 v15, v61, v46, v15
	ds_read2_b32 v[60:61], v62 offset1:32
	v_mul_u32_u24_sdwa v46, v47, s25 dst_sel:DWORD dst_unused:UNUSED_PAD src0_sel:WORD_0 src1_sel:DWORD
	s_waitcnt lgkmcnt(1)
	v_pk_fma_f16 v15, v44, v46, v15
	v_mul_u32_u24_sdwa v44, v47, s25 dst_sel:DWORD dst_unused:UNUSED_PAD src0_sel:WORD_1 src1_sel:DWORD
	v_pk_fma_f16 v15, v45, v44, v15
	v_mul_u32_u24_sdwa v44, v48, s25 dst_sel:DWORD dst_unused:UNUSED_PAD src0_sel:WORD_0 src1_sel:DWORD
	s_waitcnt lgkmcnt(0)
	v_pk_fma_f16 v15, v60, v44, v15
	ds_read2_b32 v[44:45], v62 offset0:64 offset1:96
	v_mul_u32_u24_sdwa v46, v48, s25 dst_sel:DWORD dst_unused:UNUSED_PAD src0_sel:WORD_1 src1_sel:DWORD
	v_pk_fma_f16 v15, v61, v46, v15
	ds_read2_b32 v[46:47], v62 offset0:128 offset1:160
	v_mul_u32_u24_sdwa v48, v49, s25 dst_sel:DWORD dst_unused:UNUSED_PAD src0_sel:WORD_0 src1_sel:DWORD
	s_waitcnt lgkmcnt(1)
	v_pk_fma_f16 v15, v44, v48, v15
	v_mul_u32_u24_sdwa v44, v49, s25 dst_sel:DWORD dst_unused:UNUSED_PAD src0_sel:WORD_1 src1_sel:DWORD
	v_pk_fma_f16 v15, v45, v44, v15
	v_mul_u32_u24_sdwa v44, v50, s25 dst_sel:DWORD dst_unused:UNUSED_PAD src0_sel:WORD_0 src1_sel:DWORD
	s_waitcnt lgkmcnt(0)
	v_pk_fma_f16 v15, v46, v44, v15
	ds_read2_b32 v[44:45], v62 offset0:192 offset1:224
	v_mul_u32_u24_sdwa v46, v50, s25 dst_sel:DWORD dst_unused:UNUSED_PAD src0_sel:WORD_1 src1_sel:DWORD
	v_add_u32_e32 v49, 0x800, v24
	v_pk_fma_f16 v15, v47, v46, v15
	ds_read2_b32 v[46:47], v49 offset1:32
	v_mul_u32_u24_sdwa v48, v51, s25 dst_sel:DWORD dst_unused:UNUSED_PAD src0_sel:WORD_0 src1_sel:DWORD
	s_waitcnt lgkmcnt(1)
	v_pk_fma_f16 v15, v44, v48, v15
	v_mul_u32_u24_sdwa v44, v51, s25 dst_sel:DWORD dst_unused:UNUSED_PAD src0_sel:WORD_1 src1_sel:DWORD
	v_pk_fma_f16 v15, v45, v44, v15
	v_mul_u32_u24_sdwa v44, v52, s25 dst_sel:DWORD dst_unused:UNUSED_PAD src0_sel:WORD_0 src1_sel:DWORD
	s_waitcnt lgkmcnt(0)
	v_pk_fma_f16 v15, v46, v44, v15
	ds_read2_b32 v[44:45], v49 offset0:64 offset1:96
	v_mul_u32_u24_sdwa v46, v52, s25 dst_sel:DWORD dst_unused:UNUSED_PAD src0_sel:WORD_1 src1_sel:DWORD
	;; [unrolled: 25-line block ×3, first 2 shown]
	v_pk_fma_f16 v15, v47, v46, v15
	ds_read2_b32 v[46:47], v49 offset0:128 offset1:160
	v_mul_u32_u24_sdwa v48, v57, s25 dst_sel:DWORD dst_unused:UNUSED_PAD src0_sel:WORD_0 src1_sel:DWORD
	s_waitcnt lgkmcnt(1)
	v_pk_fma_f16 v15, v44, v48, v15
	v_mul_u32_u24_sdwa v44, v57, s25 dst_sel:DWORD dst_unused:UNUSED_PAD src0_sel:WORD_1 src1_sel:DWORD
	v_pk_fma_f16 v15, v45, v44, v15
	v_mul_u32_u24_sdwa v44, v58, s25 dst_sel:DWORD dst_unused:UNUSED_PAD src0_sel:WORD_0 src1_sel:DWORD
	s_waitcnt lgkmcnt(0)
	v_pk_fma_f16 v15, v46, v44, v15
	ds_read2_b32 v[44:45], v49 offset0:192 offset1:224
	s_waitcnt lgkmcnt(0)
	; wave barrier
	s_load_dword s28, s[6:7], 0x4
	v_mul_u32_u24_sdwa v46, v58, s25 dst_sel:DWORD dst_unused:UNUSED_PAD src0_sel:WORD_1 src1_sel:DWORD
	v_pk_fma_f16 v15, v47, v46, v15
	v_mul_u32_u24_sdwa v46, v59, s25 dst_sel:DWORD dst_unused:UNUSED_PAD src0_sel:WORD_0 src1_sel:DWORD
	v_pk_fma_f16 v15, v44, v46, v15
	s_waitcnt lgkmcnt(0)
	s_lshl_b32 s28, s28, 5
	v_mul_u32_u24_sdwa v44, v59, s25 dst_sel:DWORD dst_unused:UNUSED_PAD src0_sel:WORD_1 src1_sel:DWORD
	s_add_i32 s24, s28, s24
	s_cmp_lt_i32 s24, s11
	v_pk_fma_f16 v15, v45, v44, v15
	s_cbranch_scc0 .LBB68_13
; %bb.11:                               ;   in Loop: Header=BB68_8 Depth=1
	v_mov_b32_e32 v45, v2
	v_mov_b32_e32 v44, v3
	s_branch .LBB68_8
.LBB68_12:
	v_mov_b32_e32 v2, 0xfeffffff
	v_mov_b32_e32 v15, 0
.LBB68_13:
	v_lshlrev_b32_e32 v6, 1, v0
	s_cmp_gt_i32 s38, s24
	s_cbranch_scc1 .LBB68_15
; %bb.14:
	v_mbcnt_hi_u32_b32 v7, -1, v29
	v_and_b32_e32 v4, 0x60, v7
	v_add_u32_e32 v8, 32, v4
	v_xor_b32_e32 v11, 16, v7
	v_xor_b32_e32 v9, 8, v7
	;; [unrolled: 1-line block ×5, first 2 shown]
	s_cbranch_execz .LBB68_16
	s_branch .LBB68_21
.LBB68_15:
                                        ; implicit-def: $vgpr7
                                        ; implicit-def: $vgpr8
                                        ; implicit-def: $vgpr11
                                        ; implicit-def: $vgpr9
                                        ; implicit-def: $vgpr10
                                        ; implicit-def: $vgpr12
                                        ; implicit-def: $vgpr13
.LBB68_16:
	s_mul_hi_i32 s5, s24, s8
	s_mul_i32 s4, s24, s8
	s_sub_i32 s25, s38, s24
	s_lshl_b64 s[4:5], s[4:5], 2
	v_lshl_add_u32 v14, v25, 2, v30
	s_mov_b64 s[6:7], src_private_base
	s_add_u32 s12, s9, s4
	v_mul_lo_u32 v12, s8, v14
	s_mov_b32 s4, 0
	s_addc_u32 s13, s10, s5
	v_and_b32_e32 v4, 28, v24
	v_ashrrev_i32_e32 v13, 31, v12
	s_mov_b32 s6, s4
	v_mov_b32_e32 v5, 0
	v_lshlrev_b32_e32 v4, 2, v4
	s_mov_b32 s5, s4
	v_mov_b32_e32 v32, s6
	v_lshl_add_u64 v[8:9], v[12:13], 2, s[12:13]
	v_mov_b32_e32 v31, s5
	v_mov_b32_e32 v30, s4
	v_lshl_add_u64 v[8:9], v[8:9], 0, v[4:5]
	v_mov_b32_e32 v7, s7
	v_cmp_gt_i32_e32 vcc, s25, v14
	v_mov_b32_e32 v22, 0
	scratch_store_dword off, v5, off
	scratch_store_dwordx3 off, v[30:32], off offset:4
	v_cndmask_b32_e32 v9, v7, v9, vcc
	v_cndmask_b32_e32 v8, v22, v8, vcc
	flat_load_dwordx4 v[8:11], v[8:9]
	s_lshl_b32 s6, s8, 3
	v_add_u32_e32 v12, s6, v12
	v_ashrrev_i32_e32 v13, 31, v12
	s_movk_i32 s4, 0x90
	v_add_u32_e32 v17, 8, v14
	v_lshl_add_u64 v[18:19], v[12:13], 2, s[12:13]
	v_mad_u32_u24 v23, v14, s4, v4
	v_lshl_add_u64 v[18:19], v[18:19], 0, v[4:5]
	v_cmp_gt_i32_e64 s[4:5], s25, v17
	scratch_store_dword off, v5, off
	scratch_store_dwordx3 off, v[30:32], off offset:4
	v_cndmask_b32_e64 v19, v7, v19, s[4:5]
	v_cndmask_b32_e64 v18, v22, v18, s[4:5]
	v_add_u32_e32 v12, s6, v12
	v_ashrrev_i32_e32 v13, 31, v12
	v_lshl_add_u64 v[20:21], v[12:13], 2, s[12:13]
	v_lshl_add_u64 v[20:21], v[20:21], 0, v[4:5]
	v_add_u32_e32 v12, s6, v12
	v_ashrrev_i32_e32 v13, 31, v12
	v_add_u32_e32 v16, 24, v14
	v_lshl_add_u64 v[12:13], v[12:13], 2, s[12:13]
	v_lshl_add_u64 v[12:13], v[12:13], 0, v[4:5]
	v_cmp_gt_i32_e64 s[6:7], s25, v16
	v_cmp_gt_i32_e64 s[10:11], s25, v0
	s_waitcnt vmcnt(0) lgkmcnt(0)
	ds_write_b128 v23, v[8:11]
	flat_load_dwordx4 v[8:11], v[18:19]
	v_add_u32_e32 v18, 16, v14
	v_cmp_gt_i32_e64 s[8:9], s25, v18
	scratch_store_dword off, v5, off
	scratch_store_dwordx3 off, v[30:32], off offset:4
	v_cndmask_b32_e64 v21, v7, v21, s[8:9]
	v_cndmask_b32_e64 v20, v22, v20, s[8:9]
	;; [unrolled: 1-line block ×4, first 2 shown]
	v_mul_u32_u24_e32 v7, 0x90, v0
	v_mov_b32_e32 v19, v5
	s_waitcnt vmcnt(0) lgkmcnt(0)
	ds_write_b128 v23, v[8:11] offset:1152
	flat_load_dwordx4 v[8:11], v[20:21]
	s_nop 0
	scratch_store_dword off, v5, off
	scratch_store_dwordx3 off, v[30:32], off offset:4
	s_waitcnt vmcnt(0) lgkmcnt(0)
	ds_write_b128 v23, v[8:11] offset:2304
	flat_load_dwordx4 v[8:11], v[12:13]
	s_waitcnt vmcnt(0) lgkmcnt(0)
	ds_write_b128 v23, v[8:11] offset:3456
	s_waitcnt lgkmcnt(0)
	; wave barrier
	ds_read_b128 v[8:11], v7
	ds_read_b128 v[20:23], v28
	s_waitcnt lgkmcnt(0)
	;;#ASMSTART
	v_dot2_f32_f16 v19, v8, v20, v19
	;;#ASMEND
	s_nop 0
	;;#ASMSTART
	v_dot2_f32_f16 v19, v9, v21, v19
	;;#ASMEND
	s_nop 0
	;;#ASMSTART
	v_dot2_f32_f16 v19, v10, v22, v19
	;;#ASMEND
	s_nop 0
	;;#ASMSTART
	v_dot2_f32_f16 v19, v11, v23, v19
	;;#ASMEND
	ds_read_b128 v[8:11], v7 offset:16
	ds_read_b128 v[20:23], v28 offset:16
	s_waitcnt lgkmcnt(0)
	;;#ASMSTART
	v_dot2_f32_f16 v19, v8, v20, v19
	;;#ASMEND
	s_nop 0
	;;#ASMSTART
	v_dot2_f32_f16 v19, v9, v21, v19
	;;#ASMEND
	s_nop 0
	;;#ASMSTART
	v_dot2_f32_f16 v19, v10, v22, v19
	;;#ASMEND
	s_nop 0
	;;#ASMSTART
	v_dot2_f32_f16 v19, v11, v23, v19
	;;#ASMEND
	ds_read_b128 v[8:11], v7 offset:32
	ds_read_b128 v[20:23], v28 offset:32
	;; [unrolled: 18-line block ×7, first 2 shown]
	s_waitcnt lgkmcnt(0)
	;;#ASMSTART
	v_dot2_f32_f16 v19, v8, v20, v19
	;;#ASMEND
	s_nop 0
	;;#ASMSTART
	v_dot2_f32_f16 v19, v9, v21, v19
	;;#ASMEND
	s_nop 0
	;;#ASMSTART
	v_dot2_f32_f16 v19, v10, v22, v19
	;;#ASMEND
	v_mov_b32_e32 v10, v2
	;;#ASMSTART
	v_dot2_f32_f16 v19, v11, v23, v19
	;;#ASMEND
	s_and_saveexec_b64 s[12:13], s[10:11]
	s_cbranch_execz .LBB68_20
; %bb.17:
	s_cmp_eq_u64 s[36:37], 0
	s_cbranch_scc1 .LBB68_19
; %bb.18:
	v_mul_lo_u32 v5, v27, s14
	v_add3_u32 v8, v5, v0, s24
	v_ashrrev_i32_e32 v9, 31, v8
	v_lshl_add_u64 v[8:9], v[8:9], 1, s[36:37]
	global_load_ushort v5, v[8:9], off
	s_waitcnt vmcnt(0)
	v_cvt_f32_f16_e32 v5, v5
	v_mul_f32_e32 v5, v26, v5
.LBB68_19:
	v_add_f32_e32 v19, v19, v5
	v_add_f32_e32 v5, 0x40051340, v19
	v_max_f32_e32 v7, v2, v2
	v_max_f32_e32 v10, v7, v5
.LBB68_20:
	s_or_b64 exec, exec, s[12:13]
	v_mbcnt_hi_u32_b32 v7, -1, v29
	v_and_b32_e32 v5, 0x60, v7
	v_add_u32_e32 v8, 32, v5
	v_xor_b32_e32 v11, 16, v7
	v_cmp_lt_i32_e64 s[10:11], v11, v8
	v_xor_b32_e32 v9, 8, v7
	s_mov_b32 s30, 0x3fb8aa3b
	v_cndmask_b32_e64 v5, v7, v11, s[10:11]
	v_lshlrev_b32_e32 v5, 2, v5
	ds_bpermute_b32 v5, v5, v10
	v_cmp_lt_i32_e64 s[10:11], v9, v8
	v_max_f32_e32 v10, v10, v10
	s_mov_b32 s28, 0xc2ce8ed0
	v_cndmask_b32_e64 v12, v7, v9, s[10:11]
	s_waitcnt lgkmcnt(0)
	v_max_f32_e32 v5, v5, v5
	v_lshlrev_b32_e32 v12, 2, v12
	v_max_f32_e32 v5, v10, v5
	ds_bpermute_b32 v12, v12, v5
	v_xor_b32_e32 v10, 4, v7
	v_cmp_lt_i32_e64 s[10:11], v10, v8
	s_mov_b32 s29, 0x42b17218
	v_mov_b32_e32 v31, 0x7f800000
	v_cndmask_b32_e64 v13, v7, v10, s[10:11]
	s_waitcnt lgkmcnt(0)
	v_max_f32_e32 v12, v12, v12
	v_lshlrev_b32_e32 v13, 2, v13
	v_max_f32_e32 v5, v5, v12
	ds_bpermute_b32 v13, v13, v5
	v_xor_b32_e32 v12, 2, v7
	v_cmp_lt_i32_e64 s[10:11], v12, v8
	v_lshlrev_b32_e32 v25, 6, v25
	s_mov_b64 s[14:15], src_private_base
	v_cndmask_b32_e64 v20, v7, v12, s[10:11]
	s_waitcnt lgkmcnt(0)
	v_max_f32_e32 v13, v13, v13
	v_lshlrev_b32_e32 v20, 2, v20
	v_max_f32_e32 v5, v5, v13
	ds_bpermute_b32 v20, v20, v5
	v_xor_b32_e32 v13, 1, v7
	v_cmp_lt_i32_e64 s[10:11], v13, v8
	s_mov_b32 s12, 0
	v_mul_lo_u32 v26, s2, v14
	v_cndmask_b32_e64 v21, v7, v13, s[10:11]
	s_waitcnt lgkmcnt(0)
	v_max_f32_e32 v20, v20, v20
	v_lshlrev_b32_e32 v21, 2, v21
	v_max_f32_e32 v5, v5, v20
	ds_bpermute_b32 v20, v21, v5
	v_ashrrev_i32_e32 v27, 31, v26
	s_mov_b32 s14, s12
	s_waitcnt lgkmcnt(0)
	; wave barrier
	v_max_f32_e32 v20, v20, v20
	v_max_f32_e32 v30, v5, v20
	v_sub_f32_e32 v5, v19, v30
	v_mul_f32_e32 v19, 0x3fb8aa3b, v5
	v_fma_f32 v20, v5, s30, -v19
	v_rndne_f32_e32 v21, v19
	v_fmac_f32_e32 v20, 0x32a5705f, v5
	v_sub_f32_e32 v19, v19, v21
	v_add_f32_e32 v19, v19, v20
	v_exp_f32_e32 v19, v19
	v_cvt_i32_f32_e32 v20, v21
	v_cmp_ngt_f32_e64 s[10:11], s28, v5
	s_mov_b32 s13, s12
	v_mov_b32_e32 v36, s14
	v_ldexp_f32 v19, v19, v20
	v_cndmask_b32_e64 v19, 0, v19, s[10:11]
	v_cmp_nlt_f32_e64 s[10:11], s29, v5
	v_mov_b32_e32 v35, s13
	v_mov_b32_e32 v34, s12
	v_cndmask_b32_e64 v5, v31, v19, s[10:11]
	v_cmp_gt_u32_e64 s[10:11], s25, v0
	v_mov_b32_e32 v32, s15
	v_mov_b32_e32 v33, 0
	v_cndmask_b32_e64 v19, 0, v5, s[10:11]
	s_movk_i32 s10, 0x1300
	v_cvt_f16_f32_e32 v5, v19
	v_add3_u32 v20, v25, s10, v6
	s_mul_hi_i32 s11, s24, s2
	s_mul_i32 s10, s24, s2
	s_lshl_b64 s[10:11], s[10:11], 2
	s_add_u32 s10, s18, s10
	s_addc_u32 s11, s19, s11
	ds_write_b16 v20, v5
	v_lshl_add_u64 v[20:21], v[26:27], 2, s[10:11]
	v_mov_b32_e32 v5, 0
	v_lshl_add_u64 v[20:21], v[20:21], 0, v[4:5]
	scratch_store_dword off, v5, off
	scratch_store_dwordx3 off, v[34:36], off offset:4
	v_cndmask_b32_e32 v21, v32, v21, vcc
	v_cndmask_b32_e32 v20, v33, v20, vcc
	flat_load_dwordx4 v[20:23], v[20:21]
	s_lshl_b32 s2, s2, 3
	v_add_u32_e32 v26, s2, v26
	v_ashrrev_i32_e32 v27, 31, v26
	v_lshl_add_u64 v[28:29], v[26:27], 2, s[10:11]
	v_lshl_or_b32 v14, v14, 7, v4
	v_lshl_add_u64 v[28:29], v[28:29], 0, v[4:5]
	v_cndmask_b32_e64 v29, v32, v29, s[4:5]
	v_cndmask_b32_e64 v28, v33, v28, s[4:5]
	scratch_store_dword off, v5, off
	scratch_store_dwordx3 off, v[34:36], off offset:4
	v_add_u32_e32 v26, s2, v26
	v_ashrrev_i32_e32 v27, 31, v26
	v_sub_f32_e32 v2, v2, v30
	v_cmp_ngt_f32_e32 vcc, s28, v2
	v_add_u32_e32 v48, 0xc00, v24
	s_waitcnt vmcnt(0) lgkmcnt(0)
	ds_write_b128 v14, v[20:23]
	flat_load_dwordx4 v[20:23], v[28:29]
	v_lshl_add_u64 v[28:29], v[26:27], 2, s[10:11]
	v_lshl_or_b32 v14, v17, 7, v4
	v_lshl_add_u64 v[28:29], v[28:29], 0, v[4:5]
	v_cndmask_b32_e64 v29, v32, v29, s[8:9]
	v_cndmask_b32_e64 v28, v33, v28, s[8:9]
	scratch_store_dword off, v5, off
	scratch_store_dwordx3 off, v[34:36], off offset:4
	v_add_u32_e32 v26, s2, v26
	v_ashrrev_i32_e32 v27, 31, v26
	v_lshl_add_u64 v[26:27], v[26:27], 2, s[10:11]
	v_lshl_add_u64 v[26:27], v[26:27], 0, v[4:5]
	v_cndmask_b32_e64 v27, v32, v27, s[6:7]
	v_cndmask_b32_e64 v26, v33, v26, s[6:7]
	s_mov_b32 s2, 0x10001
	s_waitcnt vmcnt(0) lgkmcnt(0)
	ds_write_b128 v14, v[20:23]
	flat_load_dwordx4 v[20:23], v[28:29]
	v_lshl_or_b32 v14, v18, 7, v4
	scratch_store_dword off, v5, off
	scratch_store_dwordx3 off, v[34:36], off offset:4
	v_mul_f32_e32 v5, 0x3fb8aa3b, v2
	v_rndne_f32_e32 v17, v5
	v_lshl_or_b32 v4, v16, 7, v4
	v_add_u32_e32 v18, 0x800, v24
	s_waitcnt vmcnt(0) lgkmcnt(0)
	ds_write_b128 v14, v[20:23]
	flat_load_dwordx4 v[20:23], v[26:27]
	v_fma_f32 v14, v2, s30, -v5
	v_fmac_f32_e32 v14, 0x32a5705f, v2
	v_sub_f32_e32 v5, v5, v17
	v_add_f32_e32 v5, v5, v14
	v_cvt_i32_f32_e32 v17, v17
	v_exp_f32_e32 v5, v5
	v_add_u32_e32 v14, 0x400, v24
	v_ldexp_f32 v5, v5, v17
	v_cndmask_b32_e32 v5, 0, v5, vcc
	v_cmp_nlt_f32_e32 vcc, s29, v2
	v_mov_b32_e32 v2, v30
	s_waitcnt vmcnt(0) lgkmcnt(0)
	ds_write_b128 v4, v[20:23]
	v_cndmask_b32_e32 v5, v31, v5, vcc
	v_cvt_f16_f32_e32 v16, v5
	v_fmac_f32_e32 v19, v3, v5
	s_waitcnt lgkmcnt(0)
	; wave barrier
	v_mul_u32_u24_e32 v3, 0x10001, v16
	ds_read2_b32 v[4:5], v24 offset1:32
	ds_read_b128 v[20:23], v25 offset:4864
	ds_read_b128 v[26:29], v25 offset:4880
	ds_read_b128 v[30:33], v25 offset:4896
	ds_read_b128 v[34:37], v25 offset:4912
	ds_read2_b32 v[16:17], v24 offset0:64 offset1:96
	ds_read2_b32 v[38:39], v24 offset0:128 offset1:160
	;; [unrolled: 1-line block ×3, first 2 shown]
	ds_read2_b32 v[40:41], v14 offset1:32
	ds_read2_b32 v[42:43], v14 offset0:64 offset1:96
	ds_read2_b32 v[44:45], v14 offset0:128 offset1:160
	;; [unrolled: 1-line block ×3, first 2 shown]
	s_waitcnt lgkmcnt(10)
	v_mul_u32_u24_sdwa v14, v20, s2 dst_sel:DWORD dst_unused:UNUSED_PAD src0_sel:WORD_0 src1_sel:DWORD
	v_pk_mul_f16 v4, v4, v14
	v_mul_u32_u24_sdwa v49, v20, s2 dst_sel:DWORD dst_unused:UNUSED_PAD src0_sel:WORD_1 src1_sel:DWORD
	v_pk_fma_f16 v3, v15, v3, v4
	v_mul_u32_u24_sdwa v50, v21, s2 dst_sel:DWORD dst_unused:UNUSED_PAD src0_sel:WORD_0 src1_sel:DWORD
	v_pk_fma_f16 v3, v5, v49, v3
	v_mul_u32_u24_sdwa v51, v21, s2 dst_sel:DWORD dst_unused:UNUSED_PAD src0_sel:WORD_1 src1_sel:DWORD
	s_waitcnt lgkmcnt(6)
	v_pk_fma_f16 v3, v16, v50, v3
	v_mul_u32_u24_sdwa v52, v22, s2 dst_sel:DWORD dst_unused:UNUSED_PAD src0_sel:WORD_0 src1_sel:DWORD
	v_pk_fma_f16 v3, v17, v51, v3
	v_mul_u32_u24_sdwa v53, v22, s2 dst_sel:DWORD dst_unused:UNUSED_PAD src0_sel:WORD_1 src1_sel:DWORD
	s_waitcnt lgkmcnt(5)
	;; [unrolled: 5-line block ×5, first 2 shown]
	v_pk_fma_f16 v3, v42, v58, v3
	v_mul_u32_u24_sdwa v60, v28, s2 dst_sel:DWORD dst_unused:UNUSED_PAD src0_sel:WORD_0 src1_sel:DWORD
	ds_read2_b32 v[20:21], v18 offset1:32
	v_pk_fma_f16 v3, v43, v59, v3
	v_mul_u32_u24_sdwa v61, v28, s2 dst_sel:DWORD dst_unused:UNUSED_PAD src0_sel:WORD_1 src1_sel:DWORD
	s_waitcnt lgkmcnt(2)
	v_pk_fma_f16 v3, v44, v60, v3
	v_mul_u32_u24_sdwa v62, v29, s2 dst_sel:DWORD dst_unused:UNUSED_PAD src0_sel:WORD_0 src1_sel:DWORD
	ds_read2_b32 v[14:15], v18 offset0:64 offset1:96
	v_pk_fma_f16 v3, v45, v61, v3
	v_mul_u32_u24_sdwa v63, v29, s2 dst_sel:DWORD dst_unused:UNUSED_PAD src0_sel:WORD_1 src1_sel:DWORD
	s_waitcnt lgkmcnt(2)
	v_pk_fma_f16 v3, v46, v62, v3
	v_mul_u32_u24_sdwa v64, v30, s2 dst_sel:DWORD dst_unused:UNUSED_PAD src0_sel:WORD_0 src1_sel:DWORD
	v_pk_fma_f16 v3, v47, v63, v3
	v_mul_u32_u24_sdwa v65, v30, s2 dst_sel:DWORD dst_unused:UNUSED_PAD src0_sel:WORD_1 src1_sel:DWORD
	ds_read2_b32 v[4:5], v18 offset0:128 offset1:160
	ds_read2_b32 v[22:23], v18 offset0:192 offset1:224
	s_waitcnt lgkmcnt(3)
	v_pk_fma_f16 v3, v20, v64, v3
	v_mul_u32_u24_sdwa v66, v31, s2 dst_sel:DWORD dst_unused:UNUSED_PAD src0_sel:WORD_0 src1_sel:DWORD
	v_pk_fma_f16 v3, v21, v65, v3
	v_mul_u32_u24_sdwa v67, v31, s2 dst_sel:DWORD dst_unused:UNUSED_PAD src0_sel:WORD_1 src1_sel:DWORD
	s_waitcnt lgkmcnt(2)
	v_pk_fma_f16 v3, v14, v66, v3
	v_mul_u32_u24_sdwa v68, v32, s2 dst_sel:DWORD dst_unused:UNUSED_PAD src0_sel:WORD_0 src1_sel:DWORD
	ds_read2_b32 v[26:27], v48 offset1:32
	v_pk_fma_f16 v3, v15, v67, v3
	v_mul_u32_u24_sdwa v32, v32, s2 dst_sel:DWORD dst_unused:UNUSED_PAD src0_sel:WORD_1 src1_sel:DWORD
	s_waitcnt lgkmcnt(2)
	v_pk_fma_f16 v3, v4, v68, v3
	v_mul_u32_u24_sdwa v69, v33, s2 dst_sel:DWORD dst_unused:UNUSED_PAD src0_sel:WORD_0 src1_sel:DWORD
	ds_read2_b32 v[16:17], v48 offset0:64 offset1:96
	v_pk_fma_f16 v3, v5, v32, v3
	v_mul_u32_u24_sdwa v33, v33, s2 dst_sel:DWORD dst_unused:UNUSED_PAD src0_sel:WORD_1 src1_sel:DWORD
	s_waitcnt lgkmcnt(2)
	v_pk_fma_f16 v3, v22, v69, v3
	v_mul_u32_u24_sdwa v70, v34, s2 dst_sel:DWORD dst_unused:UNUSED_PAD src0_sel:WORD_0 src1_sel:DWORD
	ds_read2_b32 v[28:29], v48 offset0:128 offset1:160
	;; [unrolled: 6-line block ×3, first 2 shown]
	v_pk_fma_f16 v3, v27, v34, v3
	v_mul_u32_u24_sdwa v35, v35, s2 dst_sel:DWORD dst_unused:UNUSED_PAD src0_sel:WORD_1 src1_sel:DWORD
	s_waitcnt lgkmcnt(2)
	v_pk_fma_f16 v3, v16, v71, v3
	v_mul_u32_u24_sdwa v72, v36, s2 dst_sel:DWORD dst_unused:UNUSED_PAD src0_sel:WORD_0 src1_sel:DWORD
	v_pk_fma_f16 v3, v17, v35, v3
	v_mul_u32_u24_sdwa v36, v36, s2 dst_sel:DWORD dst_unused:UNUSED_PAD src0_sel:WORD_1 src1_sel:DWORD
	s_waitcnt lgkmcnt(1)
	v_pk_fma_f16 v3, v28, v72, v3
	v_mul_u32_u24_sdwa v73, v37, s2 dst_sel:DWORD dst_unused:UNUSED_PAD src0_sel:WORD_0 src1_sel:DWORD
	v_pk_fma_f16 v3, v29, v36, v3
	v_mul_u32_u24_sdwa v37, v37, s2 dst_sel:DWORD dst_unused:UNUSED_PAD src0_sel:WORD_1 src1_sel:DWORD
	s_waitcnt lgkmcnt(0)
	v_pk_fma_f16 v3, v30, v73, v3
	s_nop 0
	v_pk_fma_f16 v15, v31, v37, v3
	v_mov_b32_e32 v3, v19
	; wave barrier
.LBB68_21:
	v_cmp_lt_i32_e32 vcc, v11, v8
	s_cmp_eq_u64 s[16:17], 0
	s_cselect_b64 s[4:5], -1, 0
	v_cndmask_b32_e32 v4, v7, v11, vcc
	v_lshlrev_b32_e32 v4, 2, v4
	ds_bpermute_b32 v4, v4, v3
	v_cmp_lt_i32_e32 vcc, v9, v8
	s_cmp_lg_u32 s3, 0
	s_cselect_b64 s[6:7], -1, 0
	v_cndmask_b32_e32 v5, v7, v9, vcc
	v_lshlrev_b32_e32 v5, 2, v5
	s_waitcnt lgkmcnt(0)
	v_add_f32_e32 v3, v3, v4
	ds_bpermute_b32 v4, v5, v3
	v_cmp_lt_i32_e32 vcc, v10, v8
	s_or_b64 s[4:5], s[6:7], s[4:5]
	s_waitcnt lgkmcnt(0)
	v_add_f32_e32 v3, v3, v4
	v_cndmask_b32_e32 v5, v7, v10, vcc
	v_lshlrev_b32_e32 v5, 2, v5
	ds_bpermute_b32 v4, v5, v3
	v_cmp_lt_i32_e32 vcc, v12, v8
	s_waitcnt lgkmcnt(0)
	v_add_f32_e32 v3, v3, v4
	v_cndmask_b32_e32 v5, v7, v12, vcc
	v_lshlrev_b32_e32 v5, 2, v5
	ds_bpermute_b32 v4, v5, v3
	v_cmp_lt_i32_e32 vcc, v13, v8
	s_waitcnt lgkmcnt(0)
	v_add_f32_e32 v3, v3, v4
	v_cndmask_b32_e32 v5, v7, v13, vcc
	v_lshlrev_b32_e32 v5, 2, v5
	ds_bpermute_b32 v4, v5, v3
	s_and_b64 vcc, exec, s[4:5]
	s_waitcnt lgkmcnt(0)
	v_add_f32_e32 v3, v3, v4
	s_cbranch_vccnz .LBB68_24
; %bb.22:
	s_lshl_b64 s[4:5], s[34:35], 2
	s_add_u32 s4, s16, s4
	s_addc_u32 s5, s17, s5
	v_mov_b32_e32 v4, 0
	global_load_dword v5, v4, s[4:5]
	v_max_f32_e32 v4, v2, v2
	s_mov_b32 s2, 0x3fb8aa3b
	s_mov_b32 s4, 0xc2ce8ed0
	s_waitcnt vmcnt(0)
	v_max_f32_e32 v7, v5, v5
	v_max_f32_e32 v4, v4, v7
	v_sub_f32_e32 v2, v2, v4
	v_sub_f32_e32 v5, v5, v4
	v_mul_f32_e32 v7, 0x3fb8aa3b, v2
	v_mul_f32_e32 v8, 0x3fb8aa3b, v5
	v_fma_f32 v9, v2, s2, -v7
	v_rndne_f32_e32 v10, v7
	v_fma_f32 v11, v5, s2, -v8
	v_rndne_f32_e32 v12, v8
	v_fmac_f32_e32 v9, 0x32a5705f, v2
	v_sub_f32_e32 v7, v7, v10
	v_fmac_f32_e32 v11, 0x32a5705f, v5
	v_sub_f32_e32 v8, v8, v12
	v_add_f32_e32 v7, v7, v9
	v_cvt_i32_f32_e32 v10, v10
	v_add_f32_e32 v8, v8, v11
	v_exp_f32_e32 v7, v7
	v_cvt_i32_f32_e32 v12, v12
	v_exp_f32_e32 v8, v8
	v_cmp_ngt_f32_e32 vcc, s4, v2
	v_ldexp_f32 v7, v7, v10
	s_mov_b32 s2, 0x42b17218
	v_ldexp_f32 v8, v8, v12
	v_cndmask_b32_e32 v7, 0, v7, vcc
	v_cmp_ngt_f32_e32 vcc, s4, v5
	v_mov_b32_e32 v9, 0x7f800000
	s_nop 0
	v_cndmask_b32_e32 v8, 0, v8, vcc
	v_cmp_nlt_f32_e32 vcc, s2, v2
	s_nop 1
	v_cndmask_b32_e32 v2, v9, v7, vcc
	v_cvt_f16_f32_e32 v7, v2
	v_cmp_nlt_f32_e32 vcc, s2, v5
	s_nop 1
	v_cndmask_b32_e32 v5, v9, v8, vcc
	v_fmac_f32_e32 v5, v3, v2
	v_mul_u32_u24_e32 v2, 0x10001, v7
	v_pk_mul_f16 v15, v15, v2
	v_mov_b64_e32 v[2:3], v[4:5]
	v_cmp_gt_i32_e32 vcc, s26, v1
	s_and_saveexec_b64 s[4:5], vcc
	s_cbranch_execnz .LBB68_25
.LBB68_23:
	s_endpgm
.LBB68_24:
	v_mov_b32_e32 v5, v3
	v_cmp_gt_i32_e32 vcc, s26, v1
	s_and_saveexec_b64 s[4:5], vcc
	s_cbranch_execz .LBB68_23
.LBB68_25:
	s_load_dword s2, s[0:1], 0xd4
	v_div_scale_f32 v4, s[0:1], v5, v5, 1.0
	v_rcp_f32_e32 v7, v4
	s_mul_i32 s33, s33, s26
	v_add_u32_e32 v1, s33, v1
	v_mul_lo_u32 v1, v1, s27
	v_fma_f32 v10, -v4, v7, 1.0
	v_fmac_f32_e32 v7, v10, v7
	v_div_scale_f32 v10, vcc, 1.0, v5, 1.0
	v_mul_f32_e32 v11, v10, v7
	v_fma_f32 v12, -v4, v11, v10
	v_fmac_f32_e32 v11, v12, v7
	v_fma_f32 v4, -v4, v11, v10
	s_waitcnt lgkmcnt(0)
	s_cmp_lg_u32 s2, 1
	v_div_fmas_f32 v4, v4, v7, v11
	v_add_u32_e32 v1, s34, v1
	v_cvt_f32_f16_sdwa v13, v15 dst_sel:DWORD dst_unused:UNUSED_PAD src0_sel:WORD_1
	v_cvt_f32_f16_e32 v12, v15
	v_div_fixup_f32 v4, v4, v5, 1.0
	s_cselect_b64 s[0:1], -1, 0
	v_mul_lo_u32 v1, s2, v1
	v_cndmask_b32_e64 v10, v4, 1.0, s[0:1]
	v_add_u32_e32 v4, s3, v1
	v_mov_b32_e32 v8, s20
	v_mov_b32_e32 v9, s21
	v_lshl_add_u32 v6, v4, 6, v6
	v_mov_b32_e32 v7, 0
	v_cmp_eq_u32_e32 vcc, 0, v0
	v_lshl_add_u64 v[6:7], v[6:7], 2, v[8:9]
	s_and_b64 s[0:1], vcc, s[0:1]
	v_pk_mul_f32 v[0:1], v[10:11], v[12:13] op_sel_hi:[0,1]
	global_store_dwordx2 v[6:7], v[0:1], off
	s_and_b64 exec, exec, s[0:1]
	s_cbranch_execz .LBB68_23
; %bb.26:
	v_mov_b32_e32 v0, s22
	v_mov_b32_e32 v1, s23
	v_ashrrev_i32_e32 v5, 31, v4
	v_lshl_add_u64 v[0:1], v[4:5], 3, v[0:1]
	global_store_dwordx2 v[0:1], v[2:3], off
	s_endpgm
	.section	.rodata,"a",@progbits
	.p2align	6, 0x0
	.amdhsa_kernel _ZL15flash_attn_tileILi64ELi64ELi2ELi1ELb0EEvPKcS1_S1_S1_S1_PKiPfP15HIP_vector_typeIfLj2EEffffjfiS5_IjLj3EEiiiiiiiiiiiliiliiiiil
		.amdhsa_group_segment_fixed_size 4992
		.amdhsa_private_segment_fixed_size 32
		.amdhsa_kernarg_size 464
		.amdhsa_user_sgpr_count 2
		.amdhsa_user_sgpr_dispatch_ptr 0
		.amdhsa_user_sgpr_queue_ptr 0
		.amdhsa_user_sgpr_kernarg_segment_ptr 1
		.amdhsa_user_sgpr_dispatch_id 0
		.amdhsa_user_sgpr_kernarg_preload_length 0
		.amdhsa_user_sgpr_kernarg_preload_offset 0
		.amdhsa_user_sgpr_private_segment_size 0
		.amdhsa_uses_dynamic_stack 0
		.amdhsa_enable_private_segment 1
		.amdhsa_system_sgpr_workgroup_id_x 1
		.amdhsa_system_sgpr_workgroup_id_y 1
		.amdhsa_system_sgpr_workgroup_id_z 1
		.amdhsa_system_sgpr_workgroup_info 0
		.amdhsa_system_vgpr_workitem_id 1
		.amdhsa_next_free_vgpr 74
		.amdhsa_next_free_sgpr 48
		.amdhsa_accum_offset 76
		.amdhsa_reserve_vcc 1
		.amdhsa_float_round_mode_32 0
		.amdhsa_float_round_mode_16_64 0
		.amdhsa_float_denorm_mode_32 3
		.amdhsa_float_denorm_mode_16_64 3
		.amdhsa_dx10_clamp 1
		.amdhsa_ieee_mode 1
		.amdhsa_fp16_overflow 0
		.amdhsa_tg_split 0
		.amdhsa_exception_fp_ieee_invalid_op 0
		.amdhsa_exception_fp_denorm_src 0
		.amdhsa_exception_fp_ieee_div_zero 0
		.amdhsa_exception_fp_ieee_overflow 0
		.amdhsa_exception_fp_ieee_underflow 0
		.amdhsa_exception_fp_ieee_inexact 0
		.amdhsa_exception_int_div_zero 0
	.end_amdhsa_kernel
	.section	.text._ZL15flash_attn_tileILi64ELi64ELi2ELi1ELb0EEvPKcS1_S1_S1_S1_PKiPfP15HIP_vector_typeIfLj2EEffffjfiS5_IjLj3EEiiiiiiiiiiiliiliiiiil,"axG",@progbits,_ZL15flash_attn_tileILi64ELi64ELi2ELi1ELb0EEvPKcS1_S1_S1_S1_PKiPfP15HIP_vector_typeIfLj2EEffffjfiS5_IjLj3EEiiiiiiiiiiiliiliiiiil,comdat
.Lfunc_end68:
	.size	_ZL15flash_attn_tileILi64ELi64ELi2ELi1ELb0EEvPKcS1_S1_S1_S1_PKiPfP15HIP_vector_typeIfLj2EEffffjfiS5_IjLj3EEiiiiiiiiiiiliiliiiiil, .Lfunc_end68-_ZL15flash_attn_tileILi64ELi64ELi2ELi1ELb0EEvPKcS1_S1_S1_S1_PKiPfP15HIP_vector_typeIfLj2EEffffjfiS5_IjLj3EEiiiiiiiiiiiliiliiiiil
                                        ; -- End function
	.set _ZL15flash_attn_tileILi64ELi64ELi2ELi1ELb0EEvPKcS1_S1_S1_S1_PKiPfP15HIP_vector_typeIfLj2EEffffjfiS5_IjLj3EEiiiiiiiiiiiliiliiiiil.num_vgpr, 74
	.set _ZL15flash_attn_tileILi64ELi64ELi2ELi1ELb0EEvPKcS1_S1_S1_S1_PKiPfP15HIP_vector_typeIfLj2EEffffjfiS5_IjLj3EEiiiiiiiiiiiliiliiiiil.num_agpr, 0
	.set _ZL15flash_attn_tileILi64ELi64ELi2ELi1ELb0EEvPKcS1_S1_S1_S1_PKiPfP15HIP_vector_typeIfLj2EEffffjfiS5_IjLj3EEiiiiiiiiiiiliiliiiiil.numbered_sgpr, 48
	.set _ZL15flash_attn_tileILi64ELi64ELi2ELi1ELb0EEvPKcS1_S1_S1_S1_PKiPfP15HIP_vector_typeIfLj2EEffffjfiS5_IjLj3EEiiiiiiiiiiiliiliiiiil.num_named_barrier, 0
	.set _ZL15flash_attn_tileILi64ELi64ELi2ELi1ELb0EEvPKcS1_S1_S1_S1_PKiPfP15HIP_vector_typeIfLj2EEffffjfiS5_IjLj3EEiiiiiiiiiiiliiliiiiil.private_seg_size, 32
	.set _ZL15flash_attn_tileILi64ELi64ELi2ELi1ELb0EEvPKcS1_S1_S1_S1_PKiPfP15HIP_vector_typeIfLj2EEffffjfiS5_IjLj3EEiiiiiiiiiiiliiliiiiil.uses_vcc, 1
	.set _ZL15flash_attn_tileILi64ELi64ELi2ELi1ELb0EEvPKcS1_S1_S1_S1_PKiPfP15HIP_vector_typeIfLj2EEffffjfiS5_IjLj3EEiiiiiiiiiiiliiliiiiil.uses_flat_scratch, 0
	.set _ZL15flash_attn_tileILi64ELi64ELi2ELi1ELb0EEvPKcS1_S1_S1_S1_PKiPfP15HIP_vector_typeIfLj2EEffffjfiS5_IjLj3EEiiiiiiiiiiiliiliiiiil.has_dyn_sized_stack, 0
	.set _ZL15flash_attn_tileILi64ELi64ELi2ELi1ELb0EEvPKcS1_S1_S1_S1_PKiPfP15HIP_vector_typeIfLj2EEffffjfiS5_IjLj3EEiiiiiiiiiiiliiliiiiil.has_recursion, 0
	.set _ZL15flash_attn_tileILi64ELi64ELi2ELi1ELb0EEvPKcS1_S1_S1_S1_PKiPfP15HIP_vector_typeIfLj2EEffffjfiS5_IjLj3EEiiiiiiiiiiiliiliiiiil.has_indirect_call, 0
	.section	.AMDGPU.csdata,"",@progbits
; Kernel info:
; codeLenInByte = 8520
; TotalNumSgprs: 54
; NumVgprs: 74
; NumAgprs: 0
; TotalNumVgprs: 74
; ScratchSize: 32
; MemoryBound: 0
; FloatMode: 240
; IeeeMode: 1
; LDSByteSize: 4992 bytes/workgroup (compile time only)
; SGPRBlocks: 6
; VGPRBlocks: 9
; NumSGPRsForWavesPerEU: 54
; NumVGPRsForWavesPerEU: 74
; AccumOffset: 76
; Occupancy: 6
; WaveLimiterHint : 1
; COMPUTE_PGM_RSRC2:SCRATCH_EN: 1
; COMPUTE_PGM_RSRC2:USER_SGPR: 2
; COMPUTE_PGM_RSRC2:TRAP_HANDLER: 0
; COMPUTE_PGM_RSRC2:TGID_X_EN: 1
; COMPUTE_PGM_RSRC2:TGID_Y_EN: 1
; COMPUTE_PGM_RSRC2:TGID_Z_EN: 1
; COMPUTE_PGM_RSRC2:TIDIG_COMP_CNT: 1
; COMPUTE_PGM_RSRC3_GFX90A:ACCUM_OFFSET: 18
; COMPUTE_PGM_RSRC3_GFX90A:TG_SPLIT: 0
	.section	.text._ZL33flash_attn_stream_k_fixup_uniformILi64ELi2ELi1EEvPfPK15HIP_vector_typeIfLj2EEiiiiiiS1_IjLj3EES5_S5_,"axG",@progbits,_ZL33flash_attn_stream_k_fixup_uniformILi64ELi2ELi1EEvPfPK15HIP_vector_typeIfLj2EEiiiiiiS1_IjLj3EES5_S5_,comdat
	.globl	_ZL33flash_attn_stream_k_fixup_uniformILi64ELi2ELi1EEvPfPK15HIP_vector_typeIfLj2EEiiiiiiS1_IjLj3EES5_S5_ ; -- Begin function _ZL33flash_attn_stream_k_fixup_uniformILi64ELi2ELi1EEvPfPK15HIP_vector_typeIfLj2EEiiiiiiS1_IjLj3EES5_S5_
	.p2align	8
	.type	_ZL33flash_attn_stream_k_fixup_uniformILi64ELi2ELi1EEvPfPK15HIP_vector_typeIfLj2EEiiiiiiS1_IjLj3EES5_S5_,@function
_ZL33flash_attn_stream_k_fixup_uniformILi64ELi2ELi1EEvPfPK15HIP_vector_typeIfLj2EEiiiiiiS1_IjLj3EES5_S5_: ; @_ZL33flash_attn_stream_k_fixup_uniformILi64ELi2ELi1EEvPfPK15HIP_vector_typeIfLj2EEiiiiiiS1_IjLj3EES5_S5_
; %bb.0:
	s_load_dwordx8 s[8:15], s[0:1], 0x1c
	s_load_dwordx2 s[6:7], s[0:1], 0x10
	s_load_dwordx4 s[20:23], s[0:1], 0x3c
	s_waitcnt lgkmcnt(0)
	s_mul_hi_u32 s5, s11, s2
	s_add_i32 s5, s2, s5
	s_lshr_b32 s5, s5, s12
	s_mul_i32 s11, s5, s13
	s_sub_i32 s11, s2, s11
	s_mul_hi_u32 s12, s11, s14
	s_add_i32 s12, s11, s12
	s_lshr_b32 s16, s12, s15
	s_mul_i32 s12, s16, s20
	s_sub_i32 s12, s11, s12
	s_mul_hi_u32 s11, s12, s21
	s_add_i32 s11, s12, s11
	s_lshr_b32 s11, s11, s22
	s_mul_i32 s13, s11, s23
	s_sub_i32 s17, s12, s13
	s_lshl_b32 s12, s17, 1
	s_add_i32 s12, s12, s3
	s_cmp_lt_i32 s12, s6
	s_cselect_b64 s[12:13], -1, 0
	s_add_i32 s14, s11, s4
	s_cmp_lt_i32 s14, s9
	s_cselect_b64 s[14:15], -1, 0
	s_and_b64 s[12:13], s[12:13], s[14:15]
	s_andn2_b64 vcc, exec, s[12:13]
	s_cbranch_vccnz .LBB69_6
; %bb.1:
	s_load_dwordx4 s[12:15], s[0:1], 0x0
	s_mul_i32 s0, s5, s6
	s_add_i32 s0, s0, s3
	s_mul_i32 s0, s0, s7
	s_mul_i32 s16, s16, s9
	s_add_i32 s0, s0, s4
	s_add_i32 s0, s0, s16
	s_mul_i32 s1, s7, s17
	s_add_i32 s0, s0, s11
	s_lshl_b32 s1, s1, 7
	s_lshl_b32 s0, s0, 6
	s_add_i32 s1, s1, s0
	v_or_b32_e32 v4, s1, v0
	s_waitcnt lgkmcnt(0)
	v_mov_b32_e32 v2, s12
	v_mov_b32_e32 v3, s13
	v_ashrrev_i32_e32 v5, 31, v4
	v_lshl_add_u64 v[2:3], v[4:5], 2, v[2:3]
	global_load_dword v5, v[2:3], off
	s_mul_i32 s6, s10, s2
	s_add_i32 s7, s6, s10
	s_add_i32 s3, s3, s4
	s_lshl_b32 s0, s7, 1
	s_add_i32 s0, s3, s0
	s_add_i32 s0, s0, -2
	s_ashr_i32 s1, s0, 31
	s_lshl_b64 s[0:1], s[0:1], 3
	s_add_u32 s0, s14, s0
	s_addc_u32 s1, s15, s1
	s_load_dword s9, s[0:1], 0x4
	s_add_i32 s4, s7, -2
	s_cmp_lt_i32 s4, s6
	s_cbranch_scc1 .LBB69_4
; %bb.2:
	s_lshl_b32 s4, s8, 3
	s_ashr_i32 s5, s4, 31
	s_lshl_b64 s[4:5], s[4:5], 2
	s_add_u32 s4, s14, s4
	s_addc_u32 s5, s15, s5
	s_add_i32 s2, s2, 1
	s_mul_i32 s2, s10, s2
	s_load_dword s0, s[0:1], 0x0
	s_lshl_b32 s1, s3, 6
	s_lshl_b32 s10, s2, 7
	s_add_i32 s1, s1, s10
	v_or_b32_e32 v0, s1, v0
	s_lshl_b32 s1, s2, 1
	s_add_i32 s1, s3, s1
	s_lshl_b32 s2, s8, 1
	s_add_i32 s1, s1, s2
	s_add_i32 s7, s7, -1
	v_add_u32_e32 v0, 0xffffff00, v0
	s_add_i32 s2, s1, -4
	s_waitcnt lgkmcnt(0)
	v_mov_b32_e32 v7, s0
	v_mov_b32_e32 v4, s9
	s_mov_b32 s8, 0x3fb8aa3b
	s_mov_b32 s9, 0xc2ce8ed0
	;; [unrolled: 1-line block ×3, first 2 shown]
	v_mov_b32_e32 v6, 0x7f800000
	s_mov_b32 s11, 0xc1a00000
.LBB69_3:                               ; =>This Inner Loop Header: Depth=1
	v_ashrrev_i32_e32 v1, 31, v0
	v_lshl_add_u64 v[8:9], v[0:1], 2, s[4:5]
	global_load_dword v9, v[8:9], off
	s_ashr_i32 s3, s2, 31
	s_lshl_b64 s[0:1], s[2:3], 3
	s_add_u32 s0, s14, s0
	s_addc_u32 s1, s15, s1
	s_load_dwordx2 s[0:1], s[0:1], 0x0
	v_max_f32_e32 v1, v7, v7
	s_add_i32 s7, s7, -1
	s_add_i32 s2, s2, -2
	v_add_u32_e32 v0, 0xffffff80, v0
	s_waitcnt lgkmcnt(0)
	v_max_f32_e64 v10, s0, s0
	v_max_f32_e32 v1, v1, v10
	v_sub_f32_e32 v11, s0, v1
	v_sub_f32_e32 v10, v7, v1
	v_mul_f32_e32 v12, 0x3fb8aa3b, v11
	v_mov_b32_e32 v7, v1
	v_mul_f32_e32 v1, 0x3fb8aa3b, v10
	v_fma_f32 v15, v11, s8, -v12
	v_rndne_f32_e32 v16, v12
	v_fma_f32 v13, v10, s8, -v1
	v_rndne_f32_e32 v14, v1
	v_fmac_f32_e32 v15, 0x32a5705f, v11
	v_sub_f32_e32 v12, v12, v16
	v_fmac_f32_e32 v13, 0x32a5705f, v10
	v_sub_f32_e32 v1, v1, v14
	v_add_f32_e32 v12, v12, v15
	v_cvt_i32_f32_e32 v16, v16
	v_add_f32_e32 v1, v1, v13
	v_exp_f32_e32 v12, v12
	v_cvt_i32_f32_e32 v14, v14
	v_exp_f32_e32 v1, v1
	v_cmp_ngt_f32_e32 vcc, s9, v11
	v_ldexp_f32 v12, v12, v16
	v_mov_b32_e32 v8, s1
	v_ldexp_f32 v1, v1, v14
	v_cmp_ngt_f32_e64 s[0:1], s9, v10
	v_cndmask_b32_e32 v12, 0, v12, vcc
	v_cmp_nlt_f32_e32 vcc, s10, v11
	v_cndmask_b32_e64 v1, 0, v1, s[0:1]
	v_cmp_nlt_f32_e64 s[0:1], s10, v10
	v_cndmask_b32_e32 v12, v6, v12, vcc
	v_cmp_le_f32_e32 vcc, s11, v11
	v_cndmask_b32_e64 v1, v6, v1, s[0:1]
	v_cmp_le_f32_e64 s[0:1], s11, v10
	v_cndmask_b32_e32 v12, 0, v12, vcc
	s_cmp_le_i32 s7, s6
	v_cndmask_b32_e64 v10, 0, v1, s[0:1]
	s_waitcnt vmcnt(0)
	v_pk_mul_f32 v[8:9], v[8:9], v[12:13] op_sel_hi:[1,0]
	s_nop 0
	v_pk_fma_f32 v[4:5], v[4:5], v[10:11], v[8:9] op_sel_hi:[1,0,1]
	s_cbranch_scc0 .LBB69_3
	s_branch .LBB69_5
.LBB69_4:
	s_waitcnt lgkmcnt(0)
	v_mov_b32_e32 v4, s9
.LBB69_5:
	s_waitcnt vmcnt(0)
	v_div_scale_f32 v0, s[0:1], v4, v4, v5
	v_rcp_f32_e32 v1, v0
	v_div_scale_f32 v6, vcc, v5, v4, v5
	v_fma_f32 v7, -v0, v1, 1.0
	v_fmac_f32_e32 v1, v7, v1
	v_mul_f32_e32 v7, v6, v1
	v_fma_f32 v8, -v0, v7, v6
	v_fmac_f32_e32 v7, v8, v1
	v_fma_f32 v0, -v0, v7, v6
	v_div_fmas_f32 v0, v0, v1, v7
	v_div_fixup_f32 v0, v0, v4, v5
	global_store_dword v[2:3], v0, off
.LBB69_6:
	s_endpgm
	.section	.rodata,"a",@progbits
	.p2align	6, 0x0
	.amdhsa_kernel _ZL33flash_attn_stream_k_fixup_uniformILi64ELi2ELi1EEvPfPK15HIP_vector_typeIfLj2EEiiiiiiS1_IjLj3EES5_S5_
		.amdhsa_group_segment_fixed_size 0
		.amdhsa_private_segment_fixed_size 0
		.amdhsa_kernarg_size 76
		.amdhsa_user_sgpr_count 2
		.amdhsa_user_sgpr_dispatch_ptr 0
		.amdhsa_user_sgpr_queue_ptr 0
		.amdhsa_user_sgpr_kernarg_segment_ptr 1
		.amdhsa_user_sgpr_dispatch_id 0
		.amdhsa_user_sgpr_kernarg_preload_length 0
		.amdhsa_user_sgpr_kernarg_preload_offset 0
		.amdhsa_user_sgpr_private_segment_size 0
		.amdhsa_uses_dynamic_stack 0
		.amdhsa_enable_private_segment 0
		.amdhsa_system_sgpr_workgroup_id_x 1
		.amdhsa_system_sgpr_workgroup_id_y 1
		.amdhsa_system_sgpr_workgroup_id_z 1
		.amdhsa_system_sgpr_workgroup_info 0
		.amdhsa_system_vgpr_workitem_id 0
		.amdhsa_next_free_vgpr 17
		.amdhsa_next_free_sgpr 24
		.amdhsa_accum_offset 20
		.amdhsa_reserve_vcc 1
		.amdhsa_float_round_mode_32 0
		.amdhsa_float_round_mode_16_64 0
		.amdhsa_float_denorm_mode_32 3
		.amdhsa_float_denorm_mode_16_64 3
		.amdhsa_dx10_clamp 1
		.amdhsa_ieee_mode 1
		.amdhsa_fp16_overflow 0
		.amdhsa_tg_split 0
		.amdhsa_exception_fp_ieee_invalid_op 0
		.amdhsa_exception_fp_denorm_src 0
		.amdhsa_exception_fp_ieee_div_zero 0
		.amdhsa_exception_fp_ieee_overflow 0
		.amdhsa_exception_fp_ieee_underflow 0
		.amdhsa_exception_fp_ieee_inexact 0
		.amdhsa_exception_int_div_zero 0
	.end_amdhsa_kernel
	.section	.text._ZL33flash_attn_stream_k_fixup_uniformILi64ELi2ELi1EEvPfPK15HIP_vector_typeIfLj2EEiiiiiiS1_IjLj3EES5_S5_,"axG",@progbits,_ZL33flash_attn_stream_k_fixup_uniformILi64ELi2ELi1EEvPfPK15HIP_vector_typeIfLj2EEiiiiiiS1_IjLj3EES5_S5_,comdat
.Lfunc_end69:
	.size	_ZL33flash_attn_stream_k_fixup_uniformILi64ELi2ELi1EEvPfPK15HIP_vector_typeIfLj2EEiiiiiiS1_IjLj3EES5_S5_, .Lfunc_end69-_ZL33flash_attn_stream_k_fixup_uniformILi64ELi2ELi1EEvPfPK15HIP_vector_typeIfLj2EEiiiiiiS1_IjLj3EES5_S5_
                                        ; -- End function
	.set _ZL33flash_attn_stream_k_fixup_uniformILi64ELi2ELi1EEvPfPK15HIP_vector_typeIfLj2EEiiiiiiS1_IjLj3EES5_S5_.num_vgpr, 17
	.set _ZL33flash_attn_stream_k_fixup_uniformILi64ELi2ELi1EEvPfPK15HIP_vector_typeIfLj2EEiiiiiiS1_IjLj3EES5_S5_.num_agpr, 0
	.set _ZL33flash_attn_stream_k_fixup_uniformILi64ELi2ELi1EEvPfPK15HIP_vector_typeIfLj2EEiiiiiiS1_IjLj3EES5_S5_.numbered_sgpr, 24
	.set _ZL33flash_attn_stream_k_fixup_uniformILi64ELi2ELi1EEvPfPK15HIP_vector_typeIfLj2EEiiiiiiS1_IjLj3EES5_S5_.num_named_barrier, 0
	.set _ZL33flash_attn_stream_k_fixup_uniformILi64ELi2ELi1EEvPfPK15HIP_vector_typeIfLj2EEiiiiiiS1_IjLj3EES5_S5_.private_seg_size, 0
	.set _ZL33flash_attn_stream_k_fixup_uniformILi64ELi2ELi1EEvPfPK15HIP_vector_typeIfLj2EEiiiiiiS1_IjLj3EES5_S5_.uses_vcc, 1
	.set _ZL33flash_attn_stream_k_fixup_uniformILi64ELi2ELi1EEvPfPK15HIP_vector_typeIfLj2EEiiiiiiS1_IjLj3EES5_S5_.uses_flat_scratch, 0
	.set _ZL33flash_attn_stream_k_fixup_uniformILi64ELi2ELi1EEvPfPK15HIP_vector_typeIfLj2EEiiiiiiS1_IjLj3EES5_S5_.has_dyn_sized_stack, 0
	.set _ZL33flash_attn_stream_k_fixup_uniformILi64ELi2ELi1EEvPfPK15HIP_vector_typeIfLj2EEiiiiiiS1_IjLj3EES5_S5_.has_recursion, 0
	.set _ZL33flash_attn_stream_k_fixup_uniformILi64ELi2ELi1EEvPfPK15HIP_vector_typeIfLj2EEiiiiiiS1_IjLj3EES5_S5_.has_indirect_call, 0
	.section	.AMDGPU.csdata,"",@progbits
; Kernel info:
; codeLenInByte = 816
; TotalNumSgprs: 30
; NumVgprs: 17
; NumAgprs: 0
; TotalNumVgprs: 17
; ScratchSize: 0
; MemoryBound: 0
; FloatMode: 240
; IeeeMode: 1
; LDSByteSize: 0 bytes/workgroup (compile time only)
; SGPRBlocks: 3
; VGPRBlocks: 2
; NumSGPRsForWavesPerEU: 30
; NumVGPRsForWavesPerEU: 17
; AccumOffset: 20
; Occupancy: 8
; WaveLimiterHint : 0
; COMPUTE_PGM_RSRC2:SCRATCH_EN: 0
; COMPUTE_PGM_RSRC2:USER_SGPR: 2
; COMPUTE_PGM_RSRC2:TRAP_HANDLER: 0
; COMPUTE_PGM_RSRC2:TGID_X_EN: 1
; COMPUTE_PGM_RSRC2:TGID_Y_EN: 1
; COMPUTE_PGM_RSRC2:TGID_Z_EN: 1
; COMPUTE_PGM_RSRC2:TIDIG_COMP_CNT: 0
; COMPUTE_PGM_RSRC3_GFX90A:ACCUM_OFFSET: 4
; COMPUTE_PGM_RSRC3_GFX90A:TG_SPLIT: 0
	.section	.text._ZL33flash_attn_stream_k_fixup_generalILi64ELi2ELi1EEvPfPK15HIP_vector_typeIfLj2EEiiiiS1_IjLj3EES5_S5_S5_,"axG",@progbits,_ZL33flash_attn_stream_k_fixup_generalILi64ELi2ELi1EEvPfPK15HIP_vector_typeIfLj2EEiiiiS1_IjLj3EES5_S5_S5_,comdat
	.globl	_ZL33flash_attn_stream_k_fixup_generalILi64ELi2ELi1EEvPfPK15HIP_vector_typeIfLj2EEiiiiS1_IjLj3EES5_S5_S5_ ; -- Begin function _ZL33flash_attn_stream_k_fixup_generalILi64ELi2ELi1EEvPfPK15HIP_vector_typeIfLj2EEiiiiS1_IjLj3EES5_S5_S5_
	.p2align	8
	.type	_ZL33flash_attn_stream_k_fixup_generalILi64ELi2ELi1EEvPfPK15HIP_vector_typeIfLj2EEiiiiS1_IjLj3EES5_S5_S5_,@function
_ZL33flash_attn_stream_k_fixup_generalILi64ELi2ELi1EEvPfPK15HIP_vector_typeIfLj2EEiiiiS1_IjLj3EES5_S5_S5_: ; @_ZL33flash_attn_stream_k_fixup_generalILi64ELi2ELi1EEvPfPK15HIP_vector_typeIfLj2EEiiiiS1_IjLj3EES5_S5_S5_
; %bb.0:
	s_load_dwordx4 s[8:11], s[0:1], 0x10
	s_load_dword s22, s[0:1], 0x50
	s_mov_b32 s12, 0
	s_waitcnt lgkmcnt(0)
	s_mul_hi_i32 s13, s11, s2
	s_cmp_lg_u64 s[12:13], 0
	s_mul_i32 s5, s11, s2
	s_cbranch_scc0 .LBB70_20
; %bb.1:
	s_add_u32 s6, s22, 0
	s_addc_u32 s7, 0, 0
	s_xor_b64 s[6:7], s[6:7], 0
	v_cvt_f32_u32_e32 v1, s6
	v_cvt_f32_u32_e32 v2, s7
	s_sub_u32 s12, 0, s6
	s_subb_u32 s18, 0, s7
	v_fmamk_f32 v1, v2, 0x4f800000, v1
	v_rcp_f32_e32 v1, v1
	s_nop 0
	v_mul_f32_e32 v1, 0x5f7ffffc, v1
	v_mul_f32_e32 v2, 0x2f800000, v1
	v_trunc_f32_e32 v2, v2
	v_fmamk_f32 v1, v2, 0xcf800000, v1
	v_cvt_u32_f32_e32 v2, v2
	v_cvt_u32_f32_e32 v1, v1
	v_readfirstlane_b32 s19, v2
	v_readfirstlane_b32 s14, v1
	s_mul_i32 s15, s12, s19
	s_mul_hi_u32 s21, s12, s14
	s_mul_i32 s20, s18, s14
	s_add_i32 s15, s21, s15
	s_add_i32 s15, s15, s20
	s_mul_i32 s23, s12, s14
	s_mul_i32 s21, s14, s15
	s_mul_hi_u32 s24, s14, s23
	s_mul_hi_u32 s20, s14, s15
	s_add_u32 s21, s24, s21
	s_addc_u32 s20, 0, s20
	s_mul_hi_u32 s25, s19, s23
	s_mul_i32 s23, s19, s23
	s_add_u32 s21, s21, s23
	s_mul_hi_u32 s24, s19, s15
	s_addc_u32 s20, s20, s25
	s_addc_u32 s21, s24, 0
	s_mul_i32 s15, s19, s15
	s_add_u32 s15, s20, s15
	s_addc_u32 s20, 0, s21
	s_add_u32 s21, s14, s15
	s_cselect_b64 s[14:15], -1, 0
	s_cmp_lg_u64 s[14:15], 0
	s_addc_u32 s19, s19, s20
	s_mul_i32 s14, s12, s19
	s_mul_hi_u32 s15, s12, s21
	s_add_i32 s14, s15, s14
	s_mul_i32 s18, s18, s21
	s_add_i32 s14, s14, s18
	s_mul_i32 s12, s12, s21
	s_mul_hi_u32 s18, s19, s12
	s_mul_i32 s20, s19, s12
	s_mul_i32 s24, s21, s14
	s_mul_hi_u32 s12, s21, s12
	s_mul_hi_u32 s23, s21, s14
	s_add_u32 s12, s12, s24
	s_addc_u32 s23, 0, s23
	s_add_u32 s12, s12, s20
	s_mul_hi_u32 s15, s19, s14
	s_addc_u32 s12, s23, s18
	s_addc_u32 s15, s15, 0
	s_mul_i32 s14, s19, s14
	s_add_u32 s12, s12, s14
	s_addc_u32 s18, 0, s15
	s_add_u32 s20, s21, s12
	s_cselect_b64 s[14:15], -1, 0
	s_cmp_lg_u64 s[14:15], 0
	s_addc_u32 s18, s19, s18
	s_ashr_i32 s14, s13, 31
	s_add_u32 s12, s5, s14
	s_mov_b32 s15, s14
	s_addc_u32 s13, s13, s14
	s_xor_b64 s[12:13], s[12:13], s[14:15]
	s_mul_i32 s21, s12, s18
	s_mul_hi_u32 s23, s12, s20
	s_mul_hi_u32 s19, s12, s18
	s_add_u32 s21, s23, s21
	s_addc_u32 s19, 0, s19
	s_mul_hi_u32 s24, s13, s20
	s_mul_i32 s20, s13, s20
	s_add_u32 s20, s21, s20
	s_mul_hi_u32 s23, s13, s18
	s_addc_u32 s19, s19, s24
	s_addc_u32 s20, s23, 0
	s_mul_i32 s18, s13, s18
	s_add_u32 s23, s19, s18
	s_addc_u32 s24, 0, s20
	s_mul_i32 s18, s6, s24
	s_mul_hi_u32 s19, s6, s23
	s_add_i32 s18, s19, s18
	s_mul_i32 s19, s7, s23
	s_add_i32 s25, s18, s19
	s_sub_i32 s20, s13, s25
	s_mul_i32 s18, s6, s23
	s_sub_u32 s12, s12, s18
	s_cselect_b64 s[18:19], -1, 0
	s_cmp_lg_u64 s[18:19], 0
	s_subb_u32 s26, s20, s7
	s_sub_u32 s27, s12, s6
	s_cselect_b64 s[20:21], -1, 0
	s_cmp_lg_u64 s[20:21], 0
	s_subb_u32 s20, s26, 0
	s_cmp_ge_u32 s20, s7
	s_cselect_b32 s21, -1, 0
	s_cmp_ge_u32 s27, s6
	s_cselect_b32 s26, -1, 0
	s_cmp_eq_u32 s20, s7
	s_cselect_b32 s20, s26, s21
	s_add_u32 s21, s23, 1
	s_addc_u32 s26, s24, 0
	s_add_u32 s27, s23, 2
	s_addc_u32 s28, s24, 0
	s_cmp_lg_u32 s20, 0
	s_cselect_b32 s20, s27, s21
	s_cselect_b32 s21, s28, s26
	s_cmp_lg_u64 s[18:19], 0
	s_subb_u32 s13, s13, s25
	s_cmp_ge_u32 s13, s7
	s_cselect_b32 s18, -1, 0
	s_cmp_ge_u32 s12, s6
	s_cselect_b32 s6, -1, 0
	s_cmp_eq_u32 s13, s7
	s_cselect_b32 s6, s6, s18
	s_cmp_lg_u32 s6, 0
	s_cselect_b32 s7, s21, s24
	s_cselect_b32 s6, s20, s23
	s_xor_b64 s[12:13], s[14:15], 0
	s_xor_b64 s[6:7], s[6:7], s[12:13]
	s_sub_u32 s6, s6, s12
	s_load_dwordx4 s[12:15], s[0:1], 0x44
	s_cbranch_execnz .LBB70_3
.LBB70_2:
	v_cvt_f32_u32_e32 v1, s22
	s_sub_i32 s6, 0, s22
	v_rcp_iflag_f32_e32 v1, v1
	s_nop 0
	v_mul_f32_e32 v1, 0x4f7ffffe, v1
	v_cvt_u32_f32_e32 v1, v1
	s_nop 0
	v_readfirstlane_b32 s7, v1
	s_mul_i32 s6, s6, s7
	s_mul_hi_u32 s6, s7, s6
	s_add_i32 s7, s7, s6
	s_mul_hi_u32 s6, s5, s7
	s_waitcnt lgkmcnt(0)
	s_mul_i32 s15, s6, s22
	s_sub_i32 s5, s5, s15
	s_add_i32 s7, s6, 1
	s_sub_i32 s15, s5, s22
	s_cmp_ge_u32 s5, s22
	s_cselect_b32 s6, s7, s6
	s_cselect_b32 s5, s15, s5
	s_add_i32 s7, s6, 1
	s_cmp_ge_u32 s5, s22
	s_cselect_b32 s6, s7, s6
.LBB70_3:
	s_add_i32 s5, s2, 1
	s_mul_hi_i32 s21, s11, s5
	s_mov_b32 s20, 0
	s_cmp_lg_u64 s[20:21], 0
	s_mul_i32 s5, s11, s5
	s_cbranch_scc0 .LBB70_21
; %bb.4:
	s_add_u32 s16, s22, 0
	s_addc_u32 s17, 0, 0
	s_xor_b64 s[18:19], s[16:17], 0
	v_cvt_f32_u32_e32 v1, s18
	v_cvt_f32_u32_e32 v2, s19
	s_sub_u32 s7, 0, s18
	s_waitcnt lgkmcnt(0)
	s_subb_u32 s15, 0, s19
	v_fmamk_f32 v1, v2, 0x4f800000, v1
	v_rcp_f32_e32 v1, v1
	s_nop 0
	v_mul_f32_e32 v1, 0x5f7ffffc, v1
	v_mul_f32_e32 v2, 0x2f800000, v1
	v_trunc_f32_e32 v2, v2
	v_fmamk_f32 v1, v2, 0xcf800000, v1
	v_cvt_u32_f32_e32 v2, v2
	v_cvt_u32_f32_e32 v1, v1
	v_readfirstlane_b32 s20, v2
	v_readfirstlane_b32 s23, v1
	s_mul_i32 s24, s7, s20
	s_mul_hi_u32 s26, s7, s23
	s_mul_i32 s25, s15, s23
	s_add_i32 s24, s26, s24
	s_add_i32 s24, s24, s25
	s_mul_i32 s27, s7, s23
	s_mul_i32 s26, s23, s24
	s_mul_hi_u32 s28, s23, s27
	s_mul_hi_u32 s25, s23, s24
	s_add_u32 s26, s28, s26
	s_addc_u32 s25, 0, s25
	s_mul_hi_u32 s29, s20, s27
	s_mul_i32 s27, s20, s27
	s_add_u32 s26, s26, s27
	s_mul_hi_u32 s28, s20, s24
	s_addc_u32 s25, s25, s29
	s_addc_u32 s26, s28, 0
	s_mul_i32 s24, s20, s24
	s_add_u32 s24, s25, s24
	s_addc_u32 s26, 0, s26
	s_add_u32 s23, s23, s24
	s_cselect_b64 s[24:25], -1, 0
	s_cmp_lg_u64 s[24:25], 0
	s_addc_u32 s20, s20, s26
	s_mul_i32 s24, s7, s20
	s_mul_hi_u32 s25, s7, s23
	s_add_i32 s24, s25, s24
	s_mul_i32 s15, s15, s23
	s_add_i32 s24, s24, s15
	s_mul_i32 s7, s7, s23
	s_mul_hi_u32 s25, s20, s7
	s_mul_i32 s26, s20, s7
	s_mul_i32 s28, s23, s24
	s_mul_hi_u32 s7, s23, s7
	s_mul_hi_u32 s27, s23, s24
	s_add_u32 s7, s7, s28
	s_addc_u32 s27, 0, s27
	s_add_u32 s7, s7, s26
	s_mul_hi_u32 s15, s20, s24
	s_addc_u32 s7, s27, s25
	s_addc_u32 s15, s15, 0
	s_mul_i32 s24, s20, s24
	s_add_u32 s7, s7, s24
	s_addc_u32 s15, 0, s15
	s_add_u32 s7, s23, s7
	s_cselect_b64 s[24:25], -1, 0
	s_cmp_lg_u64 s[24:25], 0
	s_addc_u32 s15, s20, s15
	s_ashr_i32 s24, s21, 31
	s_add_u32 s20, s5, s24
	s_mov_b32 s25, s24
	s_addc_u32 s21, s21, s24
	s_xor_b64 s[20:21], s[20:21], s[24:25]
	s_mul_i32 s26, s20, s15
	s_mul_hi_u32 s27, s20, s7
	s_mul_hi_u32 s23, s20, s15
	s_add_u32 s26, s27, s26
	s_addc_u32 s23, 0, s23
	s_mul_hi_u32 s28, s21, s7
	s_mul_i32 s7, s21, s7
	s_add_u32 s7, s26, s7
	s_mul_hi_u32 s27, s21, s15
	s_addc_u32 s7, s23, s28
	s_addc_u32 s23, s27, 0
	s_mul_i32 s15, s21, s15
	s_add_u32 s7, s7, s15
	s_addc_u32 s15, 0, s23
	s_mul_i32 s23, s18, s15
	s_mul_hi_u32 s26, s18, s7
	s_add_i32 s23, s26, s23
	s_mul_i32 s26, s19, s7
	s_add_i32 s23, s23, s26
	s_sub_i32 s28, s21, s23
	s_mul_i32 s26, s18, s7
	s_sub_u32 s20, s20, s26
	s_cselect_b64 s[26:27], -1, 0
	s_cmp_lg_u64 s[26:27], 0
	s_subb_u32 s30, s28, s19
	s_sub_u32 s31, s20, s18
	s_cselect_b64 s[28:29], -1, 0
	s_cmp_lg_u64 s[28:29], 0
	s_subb_u32 s28, s30, 0
	s_cmp_ge_u32 s28, s19
	s_cselect_b32 s29, -1, 0
	s_cmp_ge_u32 s31, s18
	s_cselect_b32 s30, -1, 0
	s_cmp_eq_u32 s28, s19
	s_cselect_b32 s28, s30, s29
	s_add_u32 s29, s7, 1
	s_addc_u32 s30, s15, 0
	s_add_u32 s31, s7, 2
	s_addc_u32 s33, s15, 0
	s_cmp_lg_u32 s28, 0
	s_cselect_b32 s28, s31, s29
	s_cselect_b32 s29, s33, s30
	s_cmp_lg_u64 s[26:27], 0
	s_subb_u32 s21, s21, s23
	s_cmp_ge_u32 s21, s19
	s_cselect_b32 s23, -1, 0
	s_cmp_ge_u32 s20, s18
	s_cselect_b32 s18, -1, 0
	s_cmp_eq_u32 s21, s19
	s_cselect_b32 s18, s18, s23
	s_cmp_lg_u32 s18, 0
	s_cselect_b32 s19, s29, s15
	s_cselect_b32 s18, s28, s7
	s_xor_b64 s[20:21], s[24:25], 0
	s_xor_b64 s[18:19], s[18:19], s[20:21]
	s_sub_u32 s18, s18, s20
	s_cbranch_execnz .LBB70_6
.LBB70_5:
	v_cvt_f32_u32_e32 v1, s22
	s_sub_i32 s7, 0, s22
	v_rcp_iflag_f32_e32 v1, v1
	s_nop 0
	v_mul_f32_e32 v1, 0x4f7ffffe, v1
	v_cvt_u32_f32_e32 v1, v1
	s_waitcnt lgkmcnt(0)
	v_readfirstlane_b32 s15, v1
	s_mul_i32 s7, s7, s15
	s_mul_hi_u32 s7, s15, s7
	s_add_i32 s15, s15, s7
	s_mul_hi_u32 s7, s5, s15
	s_mul_i32 s16, s7, s22
	s_sub_i32 s5, s5, s16
	s_add_i32 s15, s7, 1
	s_sub_i32 s16, s5, s22
	s_cmp_ge_u32 s5, s22
	s_cselect_b32 s7, s15, s7
	s_cselect_b32 s5, s16, s5
	s_add_i32 s15, s7, 1
	s_cmp_ge_u32 s5, s22
	s_cselect_b32 s18, s15, s7
.LBB70_6:
	s_cmp_eq_u32 s6, s18
	s_waitcnt lgkmcnt(0)
	s_mul_hi_u32 s5, s6, s12
	s_cselect_b64 s[16:17], -1, 0
	s_add_i32 s5, s5, s6
	s_lshr_b32 s7, s5, s13
	s_mul_i32 s5, s7, s14
	s_cmp_eq_u32 s5, s6
	s_mul_hi_u32 s5, s18, s12
	s_cselect_b64 s[20:21], -1, 0
	s_add_i32 s5, s5, s18
	s_lshr_b32 s5, s5, s13
	s_cmp_eq_u32 s7, s5
	s_mul_i32 s5, s5, s14
	s_cselect_b64 s[24:25], -1, 0
	s_cmp_lg_u32 s5, s18
	s_cselect_b64 s[18:19], -1, 0
	s_and_b64 s[18:19], s[24:25], s[18:19]
	s_or_b64 s[16:17], s[16:17], s[20:21]
	s_or_b64 s[16:17], s[16:17], s[18:19]
	s_and_b64 vcc, exec, s[16:17]
	s_cbranch_vccnz .LBB70_23
; %bb.7:
	s_load_dwordx8 s[24:31], s[0:1], 0x20
	s_load_dword s15, s[0:1], 0x40
	s_waitcnt lgkmcnt(0)
	s_mul_hi_u32 s5, s6, s24
	s_add_i32 s5, s5, s6
	s_lshr_b32 s5, s5, s25
	s_mul_i32 s16, s5, s26
	s_sub_i32 s16, s6, s16
	s_mul_hi_u32 s17, s16, s27
	s_add_i32 s17, s16, s17
	s_lshr_b32 s21, s17, s28
	s_mul_i32 s17, s21, s29
	s_sub_i32 s16, s16, s17
	;; [unrolled: 5-line block ×3, first 2 shown]
	s_mul_hi_u32 s16, s15, s12
	s_add_i32 s15, s15, s16
	s_lshr_b32 s23, s15, s13
	s_lshl_b32 s15, s23, 1
	s_add_i32 s15, s15, s3
	s_cmp_lt_i32 s15, s8
	s_cselect_b64 s[16:17], -1, 0
	s_add_i32 s15, s20, s4
	s_cmp_lt_i32 s15, s10
	s_cselect_b64 s[18:19], -1, 0
	s_and_b64 s[16:17], s[16:17], s[18:19]
	s_andn2_b64 vcc, exec, s[16:17]
	s_cbranch_vccnz .LBB70_23
; %bb.8:
	s_load_dwordx4 s[16:19], s[0:1], 0x0
	s_mov_b32 s0, 0
	s_lshl_b32 s24, s22, 3
	s_mov_b32 s25, s0
	s_add_i32 s15, s3, s4
	s_waitcnt lgkmcnt(0)
	v_mov_b32_e32 v2, s16
	v_mov_b32_e32 v3, s17
	s_lshl_b64 s[16:17], s[24:25], 2
	s_add_u32 s16, s18, s16
	s_mul_i32 s1, s5, s8
	s_addc_u32 s17, s19, s17
	s_add_i32 s1, s1, s3
	s_mul_i32 s1, s1, s9
	s_mul_i32 s21, s21, s10
	s_add_i32 s1, s1, s4
	s_add_i32 s1, s1, s21
	s_mul_i32 s5, s9, s23
	s_add_i32 s1, s1, s20
	s_lshl_b32 s5, s5, 7
	s_lshl_b32 s1, s1, 6
	s_add_i32 s5, s5, s1
	v_or_b32_e32 v4, s5, v0
	v_ashrrev_i32_e32 v5, 31, v4
	v_lshl_add_u64 v[2:3], v[4:5], 2, v[2:3]
	global_load_dword v1, v[2:3], off
	v_cvt_f32_u32_e32 v4, s22
	s_lshl_b32 s1, s2, 1
	s_add_i32 s4, s1, s15
	s_ashr_i32 s5, s4, 31
	s_lshl_b64 s[4:5], s[4:5], 3
	v_rcp_iflag_f32_e32 v4, v4
	s_add_u32 s4, s18, s4
	s_addc_u32 s5, s19, s5
	s_load_dwordx2 s[4:5], s[4:5], 0x0
	v_mul_f32_e32 v4, 0x4f7ffffe, v4
	v_cvt_u32_f32_e32 v7, v4
	s_add_i32 s24, s2, -1
	v_lshl_or_b32 v6, s15, 6, v0
	s_waitcnt lgkmcnt(0)
	v_mov_b32_e32 v0, s5
	v_mov_b32_e32 v9, s4
	s_mov_b32 s10, 0x3fb8aa3b
	s_mov_b32 s20, 0xc2ce8ed0
	;; [unrolled: 1-line block ×4, first 2 shown]
	v_mov_b32_e32 v8, 0x7f800000
	s_mul_hi_i32 s1, s24, s11
	s_cmp_lg_u64 s[0:1], 0
	s_mul_i32 s8, s24, s11
	s_cbranch_scc0 .LBB70_19
.LBB70_9:
	s_add_u32 s2, s22, 0
	s_addc_u32 s3, 0, 0
	s_xor_b64 s[2:3], s[2:3], 0
	v_cvt_f32_u32_e32 v4, s2
	v_cvt_f32_u32_e32 v5, s3
	s_sub_u32 s9, 0, s2
	s_subb_u32 s25, 0, s3
	v_fmac_f32_e32 v4, 0x4f800000, v5
	v_rcp_f32_e32 v4, v4
	s_nop 0
	v_mul_f32_e32 v4, 0x5f7ffffc, v4
	v_mul_f32_e32 v5, 0x2f800000, v4
	v_trunc_f32_e32 v5, v5
	v_fmac_f32_e32 v4, 0xcf800000, v5
	v_cvt_u32_f32_e32 v5, v5
	v_cvt_u32_f32_e32 v4, v4
	v_readfirstlane_b32 s26, v5
	v_readfirstlane_b32 s4, v4
	s_mul_i32 s5, s9, s26
	s_mul_hi_u32 s28, s9, s4
	s_mul_i32 s27, s25, s4
	s_add_i32 s5, s28, s5
	s_mul_i32 s29, s9, s4
	s_add_i32 s5, s5, s27
	s_mul_i32 s28, s4, s5
	s_mul_hi_u32 s30, s4, s29
	s_mul_hi_u32 s27, s4, s5
	s_add_u32 s28, s30, s28
	s_addc_u32 s27, 0, s27
	s_mul_hi_u32 s31, s26, s29
	s_mul_i32 s29, s26, s29
	s_add_u32 s28, s28, s29
	s_mul_hi_u32 s30, s26, s5
	s_addc_u32 s27, s27, s31
	s_addc_u32 s28, s30, 0
	s_mul_i32 s5, s26, s5
	s_add_u32 s5, s27, s5
	s_addc_u32 s27, 0, s28
	s_add_u32 s28, s4, s5
	s_cselect_b64 s[4:5], -1, 0
	s_cmp_lg_u64 s[4:5], 0
	s_addc_u32 s26, s26, s27
	s_mul_i32 s4, s9, s26
	s_mul_hi_u32 s5, s9, s28
	s_add_i32 s4, s5, s4
	s_mul_i32 s25, s25, s28
	s_add_i32 s4, s4, s25
	s_mul_i32 s9, s9, s28
	s_mul_hi_u32 s25, s26, s9
	s_mul_i32 s27, s26, s9
	s_mul_i32 s30, s28, s4
	s_mul_hi_u32 s9, s28, s9
	s_mul_hi_u32 s29, s28, s4
	s_add_u32 s9, s9, s30
	s_addc_u32 s29, 0, s29
	s_add_u32 s9, s9, s27
	s_mul_hi_u32 s5, s26, s4
	s_addc_u32 s9, s29, s25
	s_addc_u32 s5, s5, 0
	s_mul_i32 s4, s26, s4
	s_add_u32 s4, s9, s4
	s_addc_u32 s9, 0, s5
	s_add_u32 s25, s28, s4
	s_cselect_b64 s[4:5], -1, 0
	s_cmp_lg_u64 s[4:5], 0
	s_addc_u32 s9, s26, s9
	s_ashr_i32 s4, s1, 31
	s_add_u32 s26, s8, s4
	s_mov_b32 s5, s4
	s_addc_u32 s27, s1, s4
	s_xor_b64 s[26:27], s[26:27], s[4:5]
	s_mul_i32 s28, s26, s9
	s_mul_hi_u32 s29, s26, s25
	s_mul_hi_u32 s1, s26, s9
	s_add_u32 s28, s29, s28
	s_addc_u32 s1, 0, s1
	s_mul_hi_u32 s30, s27, s25
	s_mul_i32 s25, s27, s25
	s_add_u32 s25, s28, s25
	s_mul_hi_u32 s29, s27, s9
	s_addc_u32 s1, s1, s30
	s_addc_u32 s25, s29, 0
	s_mul_i32 s9, s27, s9
	s_add_u32 s1, s1, s9
	s_addc_u32 s9, 0, s25
	s_mul_i32 s25, s2, s9
	s_mul_hi_u32 s28, s2, s1
	s_add_i32 s25, s28, s25
	s_mul_i32 s28, s3, s1
	s_add_i32 s25, s25, s28
	s_sub_i32 s30, s27, s25
	s_mul_i32 s28, s2, s1
	s_sub_u32 s26, s26, s28
	s_cselect_b64 s[28:29], -1, 0
	s_cmp_lg_u64 s[28:29], 0
	s_subb_u32 s33, s30, s3
	s_sub_u32 s34, s26, s2
	s_cselect_b64 s[30:31], -1, 0
	s_cmp_lg_u64 s[30:31], 0
	s_subb_u32 s30, s33, 0
	s_cmp_ge_u32 s30, s3
	s_cselect_b32 s31, -1, 0
	s_cmp_ge_u32 s34, s2
	s_cselect_b32 s33, -1, 0
	s_cmp_eq_u32 s30, s3
	s_cselect_b32 s30, s33, s31
	s_add_u32 s31, s1, 1
	s_addc_u32 s33, s9, 0
	s_add_u32 s34, s1, 2
	s_addc_u32 s35, s9, 0
	s_cmp_lg_u32 s30, 0
	s_cselect_b32 s30, s34, s31
	s_cselect_b32 s31, s35, s33
	s_cmp_lg_u64 s[28:29], 0
	s_subb_u32 s25, s27, s25
	s_cmp_ge_u32 s25, s3
	s_cselect_b32 s27, -1, 0
	s_cmp_ge_u32 s26, s2
	s_cselect_b32 s2, -1, 0
	s_cmp_eq_u32 s25, s3
	s_cselect_b32 s2, s2, s27
	s_cmp_lg_u32 s2, 0
	s_cselect_b32 s3, s31, s9
	s_cselect_b32 s2, s30, s1
	s_xor_b64 s[4:5], s[4:5], 0
	s_xor_b64 s[2:3], s[2:3], s[4:5]
	s_sub_u32 s4, s2, s4
	s_cbranch_execnz .LBB70_11
.LBB70_10:
	s_sub_i32 s1, 0, s22
	v_readfirstlane_b32 s2, v7
	s_mul_i32 s1, s1, s2
	s_mul_hi_u32 s1, s2, s1
	s_add_i32 s2, s2, s1
	s_mul_hi_u32 s1, s8, s2
	s_mul_i32 s3, s1, s22
	s_sub_i32 s3, s8, s3
	s_add_i32 s2, s1, 1
	s_sub_i32 s4, s3, s22
	s_cmp_ge_u32 s3, s22
	s_cselect_b32 s1, s2, s1
	s_cselect_b32 s3, s4, s3
	s_add_i32 s2, s1, 1
	s_cmp_ge_u32 s3, s22
	s_cselect_b32 s4, s2, s1
.LBB70_11:
	s_cmp_lg_u32 s6, s4
	s_cbranch_scc0 .LBB70_15
; %bb.12:
	s_add_i32 s1, s24, s22
	s_lshl_b32 s1, s1, 1
	s_add_i32 s2, s1, s15
	s_mov_b32 s3, s0
	s_lshl_b64 s[2:3], s[2:3], 3
	s_add_u32 s8, s18, s2
	s_mul_hi_u32 s1, s4, s12
	s_addc_u32 s9, s19, s3
	s_add_i32 s1, s1, s4
	s_lshr_b32 s1, s1, s13
	s_mul_i32 s2, s1, s14
	s_cmp_eq_u32 s2, s4
	s_cselect_b64 s[2:3], -1, 0
	s_cmp_lt_u32 s1, s7
	s_cselect_b64 s[26:27], -1, 0
	s_or_b64 s[26:27], s[26:27], s[2:3]
	s_mov_b64 s[2:3], -1
	s_and_b64 vcc, exec, s[26:27]
	s_mov_b32 s1, s24
	s_mov_b32 s25, s6
	s_cbranch_vccnz .LBB70_14
; %bb.13:
	s_add_i32 s1, s24, -1
	s_mov_b64 s[2:3], 0
	s_mov_b32 s25, s4
.LBB70_14:
	v_lshl_add_u32 v4, s24, 7, v6
	v_ashrrev_i32_e32 v5, 31, v4
	v_lshl_add_u64 v[4:5], v[4:5], 2, s[16:17]
	global_load_dword v5, v[4:5], off
	s_load_dwordx2 s[4:5], s[8:9], 0x0
	v_max_f32_e32 v4, v9, v9
	s_waitcnt lgkmcnt(0)
	v_max_f32_e64 v10, s4, s4
	v_max_f32_e32 v10, v4, v10
	v_sub_f32_e32 v11, v9, v10
	v_sub_f32_e32 v13, s4, v10
	v_mul_f32_e32 v4, 0x3fb8aa3b, v11
	v_mul_f32_e32 v12, 0x3fb8aa3b, v13
	v_fma_f32 v14, v11, s10, -v4
	v_rndne_f32_e32 v15, v4
	v_fma_f32 v16, v13, s10, -v12
	v_rndne_f32_e32 v17, v12
	v_fmac_f32_e32 v14, 0x32a5705f, v11
	v_sub_f32_e32 v4, v4, v15
	v_fmac_f32_e32 v16, 0x32a5705f, v13
	v_sub_f32_e32 v12, v12, v17
	v_add_f32_e32 v4, v4, v14
	v_cvt_i32_f32_e32 v15, v15
	v_add_f32_e32 v12, v12, v16
	v_exp_f32_e32 v14, v4
	v_cvt_i32_f32_e32 v17, v17
	v_exp_f32_e32 v12, v12
	v_cmp_ngt_f32_e32 vcc, s20, v11
	v_ldexp_f32 v14, v14, v15
	v_mov_b32_e32 v4, s5
	v_ldexp_f32 v12, v12, v17
	v_cndmask_b32_e32 v14, 0, v14, vcc
	v_cmp_ngt_f32_e32 vcc, s20, v13
	s_nop 1
	v_cndmask_b32_e32 v12, 0, v12, vcc
	v_cmp_nlt_f32_e32 vcc, s21, v11
	s_nop 1
	v_cndmask_b32_e32 v14, v8, v14, vcc
	v_cmp_nlt_f32_e32 vcc, s21, v13
	s_nop 1
	v_cndmask_b32_e32 v15, v8, v12, vcc
	v_cmp_le_f32_e32 vcc, s23, v11
	s_nop 1
	v_cndmask_b32_e32 v12, 0, v14, vcc
	v_cmp_le_f32_e32 vcc, s23, v13
	s_nop 1
	v_cndmask_b32_e32 v14, 0, v15, vcc
	s_waitcnt vmcnt(0)
	v_pk_mul_f32 v[4:5], v[4:5], v[14:15] op_sel_hi:[1,0]
	s_nop 0
	v_pk_fma_f32 v[4:5], v[0:1], v[12:13], v[4:5] op_sel_hi:[1,0,1]
	s_cbranch_execz .LBB70_16
	s_branch .LBB70_17
.LBB70_15:
                                        ; implicit-def: $vgpr4_vgpr5
                                        ; implicit-def: $sgpr2_sgpr3
                                        ; implicit-def: $vgpr10
                                        ; implicit-def: $sgpr1
                                        ; implicit-def: $sgpr25
.LBB70_16:
	s_add_i32 s1, s24, -1
	s_mov_b64 s[2:3], 0
	s_mov_b32 s25, s6
	v_mov_b32_e32 v10, v9
	s_waitcnt vmcnt(0)
	v_mov_b64_e32 v[4:5], v[0:1]
.LBB70_17:
	s_andn2_b64 vcc, exec, s[2:3]
	s_cbranch_vccz .LBB70_22
; %bb.18:
	s_mov_b32 s6, s25
	s_mov_b32 s24, s1
	v_mov_b32_e32 v9, v10
	s_waitcnt vmcnt(0)
	v_mov_b64_e32 v[0:1], v[4:5]
	s_mul_hi_i32 s1, s24, s11
	s_cmp_lg_u64 s[0:1], 0
	s_mul_i32 s8, s24, s11
	s_cbranch_scc1 .LBB70_9
.LBB70_19:
                                        ; implicit-def: $sgpr4_sgpr5
	s_branch .LBB70_10
.LBB70_20:
                                        ; implicit-def: $sgpr6_sgpr7
	s_load_dwordx4 s[12:15], s[0:1], 0x44
	s_branch .LBB70_2
.LBB70_21:
                                        ; implicit-def: $sgpr18_sgpr19
	s_branch .LBB70_5
.LBB70_22:
	v_div_scale_f32 v0, s[0:1], v4, v4, v5
	s_waitcnt vmcnt(0)
	v_rcp_f32_e32 v1, v0
	v_div_scale_f32 v6, vcc, v5, v4, v5
	v_fma_f32 v7, -v0, v1, 1.0
	v_fmac_f32_e32 v1, v7, v1
	v_mul_f32_e32 v7, v6, v1
	v_fma_f32 v8, -v0, v7, v6
	v_fmac_f32_e32 v7, v8, v1
	v_fma_f32 v0, -v0, v7, v6
	v_div_fmas_f32 v0, v0, v1, v7
	v_div_fixup_f32 v0, v0, v4, v5
	global_store_dword v[2:3], v0, off
.LBB70_23:
	s_endpgm
	.section	.rodata,"a",@progbits
	.p2align	6, 0x0
	.amdhsa_kernel _ZL33flash_attn_stream_k_fixup_generalILi64ELi2ELi1EEvPfPK15HIP_vector_typeIfLj2EEiiiiS1_IjLj3EES5_S5_S5_
		.amdhsa_group_segment_fixed_size 0
		.amdhsa_private_segment_fixed_size 0
		.amdhsa_kernarg_size 336
		.amdhsa_user_sgpr_count 2
		.amdhsa_user_sgpr_dispatch_ptr 0
		.amdhsa_user_sgpr_queue_ptr 0
		.amdhsa_user_sgpr_kernarg_segment_ptr 1
		.amdhsa_user_sgpr_dispatch_id 0
		.amdhsa_user_sgpr_kernarg_preload_length 0
		.amdhsa_user_sgpr_kernarg_preload_offset 0
		.amdhsa_user_sgpr_private_segment_size 0
		.amdhsa_uses_dynamic_stack 0
		.amdhsa_enable_private_segment 0
		.amdhsa_system_sgpr_workgroup_id_x 1
		.amdhsa_system_sgpr_workgroup_id_y 1
		.amdhsa_system_sgpr_workgroup_id_z 1
		.amdhsa_system_sgpr_workgroup_info 0
		.amdhsa_system_vgpr_workitem_id 0
		.amdhsa_next_free_vgpr 18
		.amdhsa_next_free_sgpr 36
		.amdhsa_accum_offset 20
		.amdhsa_reserve_vcc 1
		.amdhsa_float_round_mode_32 0
		.amdhsa_float_round_mode_16_64 0
		.amdhsa_float_denorm_mode_32 3
		.amdhsa_float_denorm_mode_16_64 3
		.amdhsa_dx10_clamp 1
		.amdhsa_ieee_mode 1
		.amdhsa_fp16_overflow 0
		.amdhsa_tg_split 0
		.amdhsa_exception_fp_ieee_invalid_op 0
		.amdhsa_exception_fp_denorm_src 0
		.amdhsa_exception_fp_ieee_div_zero 0
		.amdhsa_exception_fp_ieee_overflow 0
		.amdhsa_exception_fp_ieee_underflow 0
		.amdhsa_exception_fp_ieee_inexact 0
		.amdhsa_exception_int_div_zero 0
	.end_amdhsa_kernel
	.section	.text._ZL33flash_attn_stream_k_fixup_generalILi64ELi2ELi1EEvPfPK15HIP_vector_typeIfLj2EEiiiiS1_IjLj3EES5_S5_S5_,"axG",@progbits,_ZL33flash_attn_stream_k_fixup_generalILi64ELi2ELi1EEvPfPK15HIP_vector_typeIfLj2EEiiiiS1_IjLj3EES5_S5_S5_,comdat
.Lfunc_end70:
	.size	_ZL33flash_attn_stream_k_fixup_generalILi64ELi2ELi1EEvPfPK15HIP_vector_typeIfLj2EEiiiiS1_IjLj3EES5_S5_S5_, .Lfunc_end70-_ZL33flash_attn_stream_k_fixup_generalILi64ELi2ELi1EEvPfPK15HIP_vector_typeIfLj2EEiiiiS1_IjLj3EES5_S5_S5_
                                        ; -- End function
	.set _ZL33flash_attn_stream_k_fixup_generalILi64ELi2ELi1EEvPfPK15HIP_vector_typeIfLj2EEiiiiS1_IjLj3EES5_S5_S5_.num_vgpr, 18
	.set _ZL33flash_attn_stream_k_fixup_generalILi64ELi2ELi1EEvPfPK15HIP_vector_typeIfLj2EEiiiiS1_IjLj3EES5_S5_S5_.num_agpr, 0
	.set _ZL33flash_attn_stream_k_fixup_generalILi64ELi2ELi1EEvPfPK15HIP_vector_typeIfLj2EEiiiiS1_IjLj3EES5_S5_S5_.numbered_sgpr, 36
	.set _ZL33flash_attn_stream_k_fixup_generalILi64ELi2ELi1EEvPfPK15HIP_vector_typeIfLj2EEiiiiS1_IjLj3EES5_S5_S5_.num_named_barrier, 0
	.set _ZL33flash_attn_stream_k_fixup_generalILi64ELi2ELi1EEvPfPK15HIP_vector_typeIfLj2EEiiiiS1_IjLj3EES5_S5_S5_.private_seg_size, 0
	.set _ZL33flash_attn_stream_k_fixup_generalILi64ELi2ELi1EEvPfPK15HIP_vector_typeIfLj2EEiiiiS1_IjLj3EES5_S5_S5_.uses_vcc, 1
	.set _ZL33flash_attn_stream_k_fixup_generalILi64ELi2ELi1EEvPfPK15HIP_vector_typeIfLj2EEiiiiS1_IjLj3EES5_S5_S5_.uses_flat_scratch, 0
	.set _ZL33flash_attn_stream_k_fixup_generalILi64ELi2ELi1EEvPfPK15HIP_vector_typeIfLj2EEiiiiS1_IjLj3EES5_S5_S5_.has_dyn_sized_stack, 0
	.set _ZL33flash_attn_stream_k_fixup_generalILi64ELi2ELi1EEvPfPK15HIP_vector_typeIfLj2EEiiiiS1_IjLj3EES5_S5_S5_.has_recursion, 0
	.set _ZL33flash_attn_stream_k_fixup_generalILi64ELi2ELi1EEvPfPK15HIP_vector_typeIfLj2EEiiiiS1_IjLj3EES5_S5_S5_.has_indirect_call, 0
	.section	.AMDGPU.csdata,"",@progbits
; Kernel info:
; codeLenInByte = 2932
; TotalNumSgprs: 42
; NumVgprs: 18
; NumAgprs: 0
; TotalNumVgprs: 18
; ScratchSize: 0
; MemoryBound: 0
; FloatMode: 240
; IeeeMode: 1
; LDSByteSize: 0 bytes/workgroup (compile time only)
; SGPRBlocks: 5
; VGPRBlocks: 2
; NumSGPRsForWavesPerEU: 42
; NumVGPRsForWavesPerEU: 18
; AccumOffset: 20
; Occupancy: 8
; WaveLimiterHint : 0
; COMPUTE_PGM_RSRC2:SCRATCH_EN: 0
; COMPUTE_PGM_RSRC2:USER_SGPR: 2
; COMPUTE_PGM_RSRC2:TRAP_HANDLER: 0
; COMPUTE_PGM_RSRC2:TGID_X_EN: 1
; COMPUTE_PGM_RSRC2:TGID_Y_EN: 1
; COMPUTE_PGM_RSRC2:TGID_Z_EN: 1
; COMPUTE_PGM_RSRC2:TIDIG_COMP_CNT: 0
; COMPUTE_PGM_RSRC3_GFX90A:ACCUM_OFFSET: 4
; COMPUTE_PGM_RSRC3_GFX90A:TG_SPLIT: 0
	.text
	.p2align	2                               ; -- Begin function __ockl_printf_append_string_n
	.type	__ockl_printf_append_string_n,@function
__ockl_printf_append_string_n:          ; @__ockl_printf_append_string_n
; %bb.0:
	s_waitcnt vmcnt(0) expcnt(0) lgkmcnt(0)
	s_getpc_b64 s[0:1]
	s_add_u32 s0, s0, __FUNCTION__._ZL15flash_attn_tileILi64ELi64ELi8ELi8ELb1EEvPKcS1_S1_S1_S1_PKiPfP15HIP_vector_typeIfLj2EEffffjfiS5_IjLj3EEiiiiiiiiiiiliiliiiiil@rel32@lo+4
	s_addc_u32 s1, s1, __FUNCTION__._ZL15flash_attn_tileILi64ELi64ELi8ELi8ELb1EEvPKcS1_S1_S1_S1_PKiPfP15HIP_vector_typeIfLj2EEffffjfiS5_IjLj3EEiiiiiiiiiiiliiliiiiil@rel32@hi+12
	v_mov_b32_e32 v2, v0
	s_mov_b64 s[2:3], 0
	s_cmp_lg_u64 s[0:1], 0
	v_mbcnt_lo_u32_b32 v3, -1, 0
	s_cbranch_scc0 .LBB71_87
; %bb.1:
	s_load_dwordx2 s[4:5], s[8:9], 0x50
	v_and_b32_e32 v0, -3, v2
	s_getpc_b64 s[0:1]
	s_add_u32 s0, s0, __FUNCTION__._ZL15flash_attn_tileILi64ELi64ELi8ELi8ELb1EEvPKcS1_S1_S1_S1_PKiPfP15HIP_vector_typeIfLj2EEffffjfiS5_IjLj3EEiiiiiiiiiiiliiliiiiil@rel32@lo+4
	s_addc_u32 s1, s1, __FUNCTION__._ZL15flash_attn_tileILi64ELi64ELi8ELi8ELb1EEvPKcS1_S1_S1_S1_PKiPfP15HIP_vector_typeIfLj2EEffffjfiS5_IjLj3EEiiiiiiiiiiiliiliiiiil@rel32@hi+12
	v_and_b32_e32 v30, 2, v2
	s_mov_b32 s16, 0
	v_mov_b32_e32 v33, 0
	v_mbcnt_hi_u32_b32 v34, -1, v3
	v_mov_b64_e32 v[36:37], s[0:1]
	s_movk_i32 s17, 0x1e0
	v_mov_b32_e32 v12, 2
	v_mov_b32_e32 v13, 1
	v_mov_b64_e32 v[6:7], v[0:1]
	s_branch .LBB71_3
.LBB71_2:                               ;   in Loop: Header=BB71_3 Depth=1
	s_or_b64 exec, exec, s[10:11]
	v_sub_co_u32_e32 v4, vcc, v4, v38
	v_lshl_add_u64 v[36:37], v[36:37], 0, v[38:39]
	s_nop 0
	v_subb_co_u32_e32 v5, vcc, v5, v39, vcc
	v_cmp_eq_u64_e32 vcc, 0, v[4:5]
	s_or_b64 s[2:3], vcc, s[2:3]
	s_andn2_b64 exec, exec, s[2:3]
	s_cbranch_execz .LBB71_85
.LBB71_3:                               ; =>This Loop Header: Depth=1
                                        ;     Child Loop BB71_6 Depth 2
                                        ;     Child Loop BB71_14 Depth 2
	;; [unrolled: 1-line block ×11, first 2 shown]
	v_cmp_gt_u64_e32 vcc, 56, v[4:5]
	v_lshl_add_u64 v[16:17], v[36:37], 0, 8
	s_nop 0
	v_cndmask_b32_e32 v39, 0, v5, vcc
	v_cndmask_b32_e32 v38, 56, v4, vcc
	v_cmp_gt_u64_e32 vcc, 8, v[4:5]
	s_and_saveexec_b64 s[0:1], vcc
	s_xor_b64 s[0:1], exec, s[0:1]
	s_cbranch_execz .LBB71_9
; %bb.4:                                ;   in Loop: Header=BB71_3 Depth=1
	v_mov_b64_e32 v[8:9], 0
	v_cmp_ne_u64_e32 vcc, 0, v[4:5]
	s_and_saveexec_b64 s[6:7], vcc
	s_cbranch_execz .LBB71_8
; %bb.5:                                ;   in Loop: Header=BB71_3 Depth=1
	v_lshlrev_b64 v[10:11], 3, v[38:39]
	s_mov_b64 s[10:11], 0
	v_mov_b64_e32 v[8:9], 0
	v_mov_b64_e32 v[14:15], v[36:37]
	s_mov_b64 s[12:13], 0
.LBB71_6:                               ;   Parent Loop BB71_3 Depth=1
                                        ; =>  This Inner Loop Header: Depth=2
	global_load_ubyte v0, v[14:15], off
	v_mov_b32_e32 v17, s16
	v_lshl_add_u64 v[14:15], v[14:15], 0, 1
	s_waitcnt vmcnt(0)
	v_and_b32_e32 v16, 0xffff, v0
	v_lshlrev_b64 v[16:17], s12, v[16:17]
	s_add_u32 s12, s12, 8
	s_addc_u32 s13, s13, 0
	v_cmp_eq_u32_e32 vcc, s12, v10
	v_or_b32_e32 v9, v17, v9
	s_or_b64 s[10:11], vcc, s[10:11]
	v_or_b32_e32 v8, v16, v8
	s_andn2_b64 exec, exec, s[10:11]
	s_cbranch_execnz .LBB71_6
; %bb.7:                                ;   in Loop: Header=BB71_3 Depth=1
	s_or_b64 exec, exec, s[10:11]
.LBB71_8:                               ;   in Loop: Header=BB71_3 Depth=1
	s_or_b64 exec, exec, s[6:7]
	v_mov_b64_e32 v[16:17], v[36:37]
.LBB71_9:                               ;   in Loop: Header=BB71_3 Depth=1
	s_or_saveexec_b64 s[0:1], s[0:1]
	v_mov_b32_e32 v0, 0
	s_xor_b64 exec, exec, s[0:1]
	s_cbranch_execz .LBB71_11
; %bb.10:                               ;   in Loop: Header=BB71_3 Depth=1
	global_load_dwordx2 v[8:9], v[36:37], off
	v_add_u32_e32 v0, -8, v38
.LBB71_11:                              ;   in Loop: Header=BB71_3 Depth=1
	s_or_b64 exec, exec, s[0:1]
	v_cmp_gt_u32_e32 vcc, 8, v0
	v_lshl_add_u64 v[10:11], v[16:17], 0, 8
                                        ; implicit-def: $vgpr14_vgpr15
	s_and_saveexec_b64 s[0:1], vcc
	s_xor_b64 s[0:1], exec, s[0:1]
	s_cbranch_execz .LBB71_17
; %bb.12:                               ;   in Loop: Header=BB71_3 Depth=1
	v_cmp_ne_u32_e32 vcc, 0, v0
	v_mov_b64_e32 v[14:15], 0
	s_and_saveexec_b64 s[6:7], vcc
	s_cbranch_execz .LBB71_16
; %bb.13:                               ;   in Loop: Header=BB71_3 Depth=1
	s_mov_b64 s[10:11], 0
	v_mov_b64_e32 v[14:15], 0
	s_mov_b64 s[12:13], 0
	s_mov_b64 s[14:15], 0
.LBB71_14:                              ;   Parent Loop BB71_3 Depth=1
                                        ; =>  This Inner Loop Header: Depth=2
	v_lshl_add_u64 v[10:11], v[16:17], 0, s[14:15]
	global_load_ubyte v10, v[10:11], off
	s_add_u32 s14, s14, 1
	v_mov_b32_e32 v11, s16
	s_addc_u32 s15, s15, 0
	v_cmp_eq_u32_e32 vcc, s14, v0
	s_waitcnt vmcnt(0)
	v_and_b32_e32 v10, 0xffff, v10
	v_lshlrev_b64 v[10:11], s12, v[10:11]
	s_add_u32 s12, s12, 8
	s_addc_u32 s13, s13, 0
	v_or_b32_e32 v15, v11, v15
	s_or_b64 s[10:11], vcc, s[10:11]
	v_or_b32_e32 v14, v10, v14
	s_andn2_b64 exec, exec, s[10:11]
	s_cbranch_execnz .LBB71_14
; %bb.15:                               ;   in Loop: Header=BB71_3 Depth=1
	s_or_b64 exec, exec, s[10:11]
.LBB71_16:                              ;   in Loop: Header=BB71_3 Depth=1
	s_or_b64 exec, exec, s[6:7]
	v_mov_b64_e32 v[10:11], v[16:17]
                                        ; implicit-def: $vgpr0
.LBB71_17:                              ;   in Loop: Header=BB71_3 Depth=1
	s_or_saveexec_b64 s[0:1], s[0:1]
	v_mov_b32_e32 v18, 0
	s_xor_b64 exec, exec, s[0:1]
	s_cbranch_execz .LBB71_19
; %bb.18:                               ;   in Loop: Header=BB71_3 Depth=1
	global_load_dwordx2 v[14:15], v[16:17], off
	v_add_u32_e32 v18, -8, v0
.LBB71_19:                              ;   in Loop: Header=BB71_3 Depth=1
	s_or_b64 exec, exec, s[0:1]
	v_cmp_gt_u32_e32 vcc, 8, v18
	v_lshl_add_u64 v[20:21], v[10:11], 0, 8
	s_and_saveexec_b64 s[0:1], vcc
	s_xor_b64 s[0:1], exec, s[0:1]
	s_cbranch_execz .LBB71_25
; %bb.20:                               ;   in Loop: Header=BB71_3 Depth=1
	v_cmp_ne_u32_e32 vcc, 0, v18
	v_mov_b64_e32 v[16:17], 0
	s_and_saveexec_b64 s[6:7], vcc
	s_cbranch_execz .LBB71_24
; %bb.21:                               ;   in Loop: Header=BB71_3 Depth=1
	s_mov_b64 s[10:11], 0
	v_mov_b64_e32 v[16:17], 0
	s_mov_b64 s[12:13], 0
	s_mov_b64 s[14:15], 0
.LBB71_22:                              ;   Parent Loop BB71_3 Depth=1
                                        ; =>  This Inner Loop Header: Depth=2
	v_lshl_add_u64 v[20:21], v[10:11], 0, s[14:15]
	global_load_ubyte v0, v[20:21], off
	s_add_u32 s14, s14, 1
	v_mov_b32_e32 v21, s16
	s_addc_u32 s15, s15, 0
	v_cmp_eq_u32_e32 vcc, s14, v18
	s_waitcnt vmcnt(0)
	v_and_b32_e32 v20, 0xffff, v0
	v_lshlrev_b64 v[20:21], s12, v[20:21]
	s_add_u32 s12, s12, 8
	s_addc_u32 s13, s13, 0
	v_or_b32_e32 v17, v21, v17
	s_or_b64 s[10:11], vcc, s[10:11]
	v_or_b32_e32 v16, v20, v16
	s_andn2_b64 exec, exec, s[10:11]
	s_cbranch_execnz .LBB71_22
; %bb.23:                               ;   in Loop: Header=BB71_3 Depth=1
	s_or_b64 exec, exec, s[10:11]
.LBB71_24:                              ;   in Loop: Header=BB71_3 Depth=1
	s_or_b64 exec, exec, s[6:7]
	v_mov_b64_e32 v[20:21], v[10:11]
                                        ; implicit-def: $vgpr18
.LBB71_25:                              ;   in Loop: Header=BB71_3 Depth=1
	s_or_saveexec_b64 s[0:1], s[0:1]
	v_mov_b32_e32 v0, 0
	s_xor_b64 exec, exec, s[0:1]
	s_cbranch_execz .LBB71_27
; %bb.26:                               ;   in Loop: Header=BB71_3 Depth=1
	global_load_dwordx2 v[16:17], v[10:11], off
	v_add_u32_e32 v0, -8, v18
.LBB71_27:                              ;   in Loop: Header=BB71_3 Depth=1
	s_or_b64 exec, exec, s[0:1]
	v_cmp_gt_u32_e32 vcc, 8, v0
	v_lshl_add_u64 v[10:11], v[20:21], 0, 8
                                        ; implicit-def: $vgpr18_vgpr19
	s_and_saveexec_b64 s[0:1], vcc
	s_xor_b64 s[0:1], exec, s[0:1]
	s_cbranch_execz .LBB71_33
; %bb.28:                               ;   in Loop: Header=BB71_3 Depth=1
	v_cmp_ne_u32_e32 vcc, 0, v0
	v_mov_b64_e32 v[18:19], 0
	s_and_saveexec_b64 s[6:7], vcc
	s_cbranch_execz .LBB71_32
; %bb.29:                               ;   in Loop: Header=BB71_3 Depth=1
	s_mov_b64 s[10:11], 0
	v_mov_b64_e32 v[18:19], 0
	s_mov_b64 s[12:13], 0
	s_mov_b64 s[14:15], 0
.LBB71_30:                              ;   Parent Loop BB71_3 Depth=1
                                        ; =>  This Inner Loop Header: Depth=2
	v_lshl_add_u64 v[10:11], v[20:21], 0, s[14:15]
	global_load_ubyte v10, v[10:11], off
	s_add_u32 s14, s14, 1
	v_mov_b32_e32 v11, s16
	s_addc_u32 s15, s15, 0
	v_cmp_eq_u32_e32 vcc, s14, v0
	s_waitcnt vmcnt(0)
	v_and_b32_e32 v10, 0xffff, v10
	v_lshlrev_b64 v[10:11], s12, v[10:11]
	s_add_u32 s12, s12, 8
	s_addc_u32 s13, s13, 0
	v_or_b32_e32 v19, v11, v19
	s_or_b64 s[10:11], vcc, s[10:11]
	v_or_b32_e32 v18, v10, v18
	s_andn2_b64 exec, exec, s[10:11]
	s_cbranch_execnz .LBB71_30
; %bb.31:                               ;   in Loop: Header=BB71_3 Depth=1
	s_or_b64 exec, exec, s[10:11]
.LBB71_32:                              ;   in Loop: Header=BB71_3 Depth=1
	s_or_b64 exec, exec, s[6:7]
	v_mov_b64_e32 v[10:11], v[20:21]
                                        ; implicit-def: $vgpr0
.LBB71_33:                              ;   in Loop: Header=BB71_3 Depth=1
	s_or_saveexec_b64 s[0:1], s[0:1]
	v_mov_b32_e32 v22, 0
	s_xor_b64 exec, exec, s[0:1]
	s_cbranch_execz .LBB71_35
; %bb.34:                               ;   in Loop: Header=BB71_3 Depth=1
	global_load_dwordx2 v[18:19], v[20:21], off
	v_add_u32_e32 v22, -8, v0
.LBB71_35:                              ;   in Loop: Header=BB71_3 Depth=1
	s_or_b64 exec, exec, s[0:1]
	v_cmp_gt_u32_e32 vcc, 8, v22
	v_lshl_add_u64 v[24:25], v[10:11], 0, 8
	s_and_saveexec_b64 s[0:1], vcc
	s_xor_b64 s[0:1], exec, s[0:1]
	s_cbranch_execz .LBB71_41
; %bb.36:                               ;   in Loop: Header=BB71_3 Depth=1
	v_cmp_ne_u32_e32 vcc, 0, v22
	v_mov_b64_e32 v[20:21], 0
	s_and_saveexec_b64 s[6:7], vcc
	s_cbranch_execz .LBB71_40
; %bb.37:                               ;   in Loop: Header=BB71_3 Depth=1
	s_mov_b64 s[10:11], 0
	v_mov_b64_e32 v[20:21], 0
	s_mov_b64 s[12:13], 0
	s_mov_b64 s[14:15], 0
.LBB71_38:                              ;   Parent Loop BB71_3 Depth=1
                                        ; =>  This Inner Loop Header: Depth=2
	v_lshl_add_u64 v[24:25], v[10:11], 0, s[14:15]
	global_load_ubyte v0, v[24:25], off
	s_add_u32 s14, s14, 1
	v_mov_b32_e32 v25, s16
	s_addc_u32 s15, s15, 0
	v_cmp_eq_u32_e32 vcc, s14, v22
	s_waitcnt vmcnt(0)
	v_and_b32_e32 v24, 0xffff, v0
	v_lshlrev_b64 v[24:25], s12, v[24:25]
	s_add_u32 s12, s12, 8
	s_addc_u32 s13, s13, 0
	v_or_b32_e32 v21, v25, v21
	s_or_b64 s[10:11], vcc, s[10:11]
	v_or_b32_e32 v20, v24, v20
	s_andn2_b64 exec, exec, s[10:11]
	s_cbranch_execnz .LBB71_38
; %bb.39:                               ;   in Loop: Header=BB71_3 Depth=1
	s_or_b64 exec, exec, s[10:11]
.LBB71_40:                              ;   in Loop: Header=BB71_3 Depth=1
	s_or_b64 exec, exec, s[6:7]
	v_mov_b64_e32 v[24:25], v[10:11]
                                        ; implicit-def: $vgpr22
.LBB71_41:                              ;   in Loop: Header=BB71_3 Depth=1
	s_or_saveexec_b64 s[0:1], s[0:1]
	v_mov_b32_e32 v0, 0
	s_xor_b64 exec, exec, s[0:1]
	s_cbranch_execz .LBB71_43
; %bb.42:                               ;   in Loop: Header=BB71_3 Depth=1
	global_load_dwordx2 v[20:21], v[10:11], off
	v_add_u32_e32 v0, -8, v22
.LBB71_43:                              ;   in Loop: Header=BB71_3 Depth=1
	s_or_b64 exec, exec, s[0:1]
	v_cmp_gt_u32_e32 vcc, 8, v0
	v_lshl_add_u64 v[10:11], v[24:25], 0, 8
                                        ; implicit-def: $vgpr22_vgpr23
	s_and_saveexec_b64 s[0:1], vcc
	s_xor_b64 s[0:1], exec, s[0:1]
	s_cbranch_execz .LBB71_49
; %bb.44:                               ;   in Loop: Header=BB71_3 Depth=1
	v_cmp_ne_u32_e32 vcc, 0, v0
	v_mov_b64_e32 v[22:23], 0
	s_and_saveexec_b64 s[6:7], vcc
	s_cbranch_execz .LBB71_48
; %bb.45:                               ;   in Loop: Header=BB71_3 Depth=1
	s_mov_b64 s[10:11], 0
	v_mov_b64_e32 v[22:23], 0
	s_mov_b64 s[12:13], 0
	s_mov_b64 s[14:15], 0
.LBB71_46:                              ;   Parent Loop BB71_3 Depth=1
                                        ; =>  This Inner Loop Header: Depth=2
	v_lshl_add_u64 v[10:11], v[24:25], 0, s[14:15]
	global_load_ubyte v10, v[10:11], off
	s_add_u32 s14, s14, 1
	v_mov_b32_e32 v11, s16
	s_addc_u32 s15, s15, 0
	v_cmp_eq_u32_e32 vcc, s14, v0
	s_waitcnt vmcnt(0)
	v_and_b32_e32 v10, 0xffff, v10
	v_lshlrev_b64 v[10:11], s12, v[10:11]
	s_add_u32 s12, s12, 8
	s_addc_u32 s13, s13, 0
	v_or_b32_e32 v23, v11, v23
	s_or_b64 s[10:11], vcc, s[10:11]
	v_or_b32_e32 v22, v10, v22
	s_andn2_b64 exec, exec, s[10:11]
	s_cbranch_execnz .LBB71_46
; %bb.47:                               ;   in Loop: Header=BB71_3 Depth=1
	s_or_b64 exec, exec, s[10:11]
.LBB71_48:                              ;   in Loop: Header=BB71_3 Depth=1
	s_or_b64 exec, exec, s[6:7]
	v_mov_b64_e32 v[10:11], v[24:25]
                                        ; implicit-def: $vgpr0
.LBB71_49:                              ;   in Loop: Header=BB71_3 Depth=1
	s_or_saveexec_b64 s[0:1], s[0:1]
	v_mov_b32_e32 v26, 0
	s_xor_b64 exec, exec, s[0:1]
	s_cbranch_execz .LBB71_51
; %bb.50:                               ;   in Loop: Header=BB71_3 Depth=1
	global_load_dwordx2 v[22:23], v[24:25], off
	v_add_u32_e32 v26, -8, v0
.LBB71_51:                              ;   in Loop: Header=BB71_3 Depth=1
	s_or_b64 exec, exec, s[0:1]
	v_cmp_gt_u32_e32 vcc, 8, v26
	s_and_saveexec_b64 s[0:1], vcc
	s_xor_b64 s[0:1], exec, s[0:1]
	s_cbranch_execz .LBB71_57
; %bb.52:                               ;   in Loop: Header=BB71_3 Depth=1
	v_cmp_ne_u32_e32 vcc, 0, v26
	v_mov_b64_e32 v[24:25], 0
	s_and_saveexec_b64 s[6:7], vcc
	s_cbranch_execz .LBB71_56
; %bb.53:                               ;   in Loop: Header=BB71_3 Depth=1
	s_mov_b64 s[10:11], 0
	v_mov_b64_e32 v[24:25], 0
	s_mov_b64 s[12:13], 0
.LBB71_54:                              ;   Parent Loop BB71_3 Depth=1
                                        ; =>  This Inner Loop Header: Depth=2
	global_load_ubyte v0, v[10:11], off
	v_mov_b32_e32 v29, s16
	v_add_u32_e32 v26, -1, v26
	v_cmp_eq_u32_e32 vcc, 0, v26
	v_lshl_add_u64 v[10:11], v[10:11], 0, 1
	s_waitcnt vmcnt(0)
	v_and_b32_e32 v28, 0xffff, v0
	v_lshlrev_b64 v[28:29], s12, v[28:29]
	s_add_u32 s12, s12, 8
	s_addc_u32 s13, s13, 0
	v_or_b32_e32 v25, v29, v25
	s_or_b64 s[10:11], vcc, s[10:11]
	v_or_b32_e32 v24, v28, v24
	s_andn2_b64 exec, exec, s[10:11]
	s_cbranch_execnz .LBB71_54
; %bb.55:                               ;   in Loop: Header=BB71_3 Depth=1
	s_or_b64 exec, exec, s[10:11]
.LBB71_56:                              ;   in Loop: Header=BB71_3 Depth=1
	s_or_b64 exec, exec, s[6:7]
                                        ; implicit-def: $vgpr10_vgpr11
.LBB71_57:                              ;   in Loop: Header=BB71_3 Depth=1
	s_andn2_saveexec_b64 s[0:1], s[0:1]
	s_cbranch_execz .LBB71_59
; %bb.58:                               ;   in Loop: Header=BB71_3 Depth=1
	global_load_dwordx2 v[24:25], v[10:11], off
.LBB71_59:                              ;   in Loop: Header=BB71_3 Depth=1
	s_or_b64 exec, exec, s[0:1]
	v_readfirstlane_b32 s0, v34
	v_mov_b64_e32 v[10:11], 0
	s_nop 0
	v_cmp_eq_u32_e64 s[0:1], s0, v34
	s_and_saveexec_b64 s[6:7], s[0:1]
	s_cbranch_execz .LBB71_65
; %bb.60:                               ;   in Loop: Header=BB71_3 Depth=1
	s_waitcnt lgkmcnt(0)
	global_load_dwordx2 v[28:29], v33, s[4:5] offset:24 sc0 sc1
	s_waitcnt vmcnt(0)
	buffer_inv sc0 sc1
	global_load_dwordx2 v[10:11], v33, s[4:5] offset:40
	global_load_dwordx2 v[26:27], v33, s[4:5]
	s_waitcnt vmcnt(1)
	v_and_b32_e32 v0, v10, v28
	v_and_b32_e32 v10, v11, v29
	v_mul_lo_u32 v10, v10, 24
	v_mul_hi_u32 v11, v0, 24
	v_add_u32_e32 v11, v11, v10
	v_mul_lo_u32 v10, v0, 24
	s_waitcnt vmcnt(0)
	v_lshl_add_u64 v[10:11], v[26:27], 0, v[10:11]
	global_load_dwordx2 v[26:27], v[10:11], off sc0 sc1
	s_waitcnt vmcnt(0)
	global_atomic_cmpswap_x2 v[10:11], v33, v[26:29], s[4:5] offset:24 sc0 sc1
	s_waitcnt vmcnt(0)
	buffer_inv sc0 sc1
	v_cmp_ne_u64_e32 vcc, v[10:11], v[28:29]
	s_and_saveexec_b64 s[10:11], vcc
	s_cbranch_execz .LBB71_64
; %bb.61:                               ;   in Loop: Header=BB71_3 Depth=1
	s_mov_b64 s[12:13], 0
.LBB71_62:                              ;   Parent Loop BB71_3 Depth=1
                                        ; =>  This Inner Loop Header: Depth=2
	s_sleep 1
	global_load_dwordx2 v[26:27], v33, s[4:5] offset:40
	global_load_dwordx2 v[48:49], v33, s[4:5]
	v_mov_b64_e32 v[28:29], v[10:11]
	s_waitcnt vmcnt(1)
	v_and_b32_e32 v0, v26, v28
	s_waitcnt vmcnt(0)
	v_mad_u64_u32 v[10:11], s[14:15], v0, 24, v[48:49]
	v_and_b32_e32 v27, v27, v29
	v_mov_b32_e32 v0, v11
	v_mad_u64_u32 v[26:27], s[14:15], v27, 24, v[0:1]
	v_mov_b32_e32 v11, v26
	global_load_dwordx2 v[26:27], v[10:11], off sc0 sc1
	s_waitcnt vmcnt(0)
	global_atomic_cmpswap_x2 v[10:11], v33, v[26:29], s[4:5] offset:24 sc0 sc1
	s_waitcnt vmcnt(0)
	buffer_inv sc0 sc1
	v_cmp_eq_u64_e32 vcc, v[10:11], v[28:29]
	s_or_b64 s[12:13], vcc, s[12:13]
	s_andn2_b64 exec, exec, s[12:13]
	s_cbranch_execnz .LBB71_62
; %bb.63:                               ;   in Loop: Header=BB71_3 Depth=1
	s_or_b64 exec, exec, s[12:13]
.LBB71_64:                              ;   in Loop: Header=BB71_3 Depth=1
	s_or_b64 exec, exec, s[10:11]
.LBB71_65:                              ;   in Loop: Header=BB71_3 Depth=1
	s_or_b64 exec, exec, s[6:7]
	s_waitcnt lgkmcnt(0)
	global_load_dwordx2 v[48:49], v33, s[4:5] offset:40
	global_load_dwordx4 v[26:29], v33, s[4:5]
	v_readfirstlane_b32 s7, v11
	v_readfirstlane_b32 s6, v10
	s_mov_b64 s[10:11], exec
	s_waitcnt vmcnt(1)
	v_readfirstlane_b32 s12, v48
	v_readfirstlane_b32 s13, v49
	s_and_b64 s[12:13], s[12:13], s[6:7]
	s_mul_i32 s14, s13, 24
	s_mul_hi_u32 s15, s12, 24
	s_add_i32 s15, s15, s14
	s_mul_i32 s14, s12, 24
	s_waitcnt vmcnt(0)
	v_lshl_add_u64 v[48:49], v[26:27], 0, s[14:15]
	s_and_saveexec_b64 s[14:15], s[0:1]
	s_cbranch_execz .LBB71_67
; %bb.66:                               ;   in Loop: Header=BB71_3 Depth=1
	v_mov_b64_e32 v[10:11], s[10:11]
	global_store_dwordx4 v[48:49], v[10:13], off offset:8
.LBB71_67:                              ;   in Loop: Header=BB71_3 Depth=1
	s_or_b64 exec, exec, s[14:15]
	v_cmp_gt_u64_e32 vcc, 57, v[4:5]
	s_lshl_b64 s[10:11], s[12:13], 12
	v_and_b32_e32 v6, 0xffffff1f, v6
	v_cndmask_b32_e32 v0, 0, v30, vcc
	v_lshl_add_u64 v[10:11], v[28:29], 0, s[10:11]
	v_lshl_add_u32 v28, v38, 2, 28
	v_or_b32_e32 v0, v6, v0
	v_and_or_b32 v6, v28, s17, v0
	v_lshlrev_b32_e32 v32, 6, v34
	v_readfirstlane_b32 s10, v10
	v_readfirstlane_b32 s11, v11
	s_nop 4
	global_store_dwordx4 v32, v[6:9], s[10:11]
	global_store_dwordx4 v32, v[14:17], s[10:11] offset:16
	global_store_dwordx4 v32, v[18:21], s[10:11] offset:32
	;; [unrolled: 1-line block ×3, first 2 shown]
	s_and_saveexec_b64 s[10:11], s[0:1]
	s_cbranch_execz .LBB71_75
; %bb.68:                               ;   in Loop: Header=BB71_3 Depth=1
	global_load_dwordx2 v[18:19], v33, s[4:5] offset:32 sc0 sc1
	global_load_dwordx2 v[6:7], v33, s[4:5] offset:40
	v_mov_b32_e32 v16, s6
	v_mov_b32_e32 v17, s7
	s_waitcnt vmcnt(0)
	v_readfirstlane_b32 s12, v6
	v_readfirstlane_b32 s13, v7
	s_and_b64 s[12:13], s[12:13], s[6:7]
	s_mul_i32 s13, s13, 24
	s_mul_hi_u32 s14, s12, 24
	s_mul_i32 s12, s12, 24
	s_add_i32 s13, s14, s13
	v_lshl_add_u64 v[14:15], v[26:27], 0, s[12:13]
	global_store_dwordx2 v[14:15], v[18:19], off
	buffer_wbl2 sc0 sc1
	s_waitcnt vmcnt(0)
	global_atomic_cmpswap_x2 v[8:9], v33, v[16:19], s[4:5] offset:32 sc0 sc1
	s_waitcnt vmcnt(0)
	v_cmp_ne_u64_e32 vcc, v[8:9], v[18:19]
	s_and_saveexec_b64 s[12:13], vcc
	s_cbranch_execz .LBB71_71
; %bb.69:                               ;   in Loop: Header=BB71_3 Depth=1
	s_mov_b64 s[14:15], 0
.LBB71_70:                              ;   Parent Loop BB71_3 Depth=1
                                        ; =>  This Inner Loop Header: Depth=2
	s_sleep 1
	global_store_dwordx2 v[14:15], v[8:9], off
	v_mov_b32_e32 v6, s6
	v_mov_b32_e32 v7, s7
	buffer_wbl2 sc0 sc1
	s_waitcnt vmcnt(0)
	global_atomic_cmpswap_x2 v[6:7], v33, v[6:9], s[4:5] offset:32 sc0 sc1
	s_waitcnt vmcnt(0)
	v_cmp_eq_u64_e32 vcc, v[6:7], v[8:9]
	s_or_b64 s[14:15], vcc, s[14:15]
	v_mov_b64_e32 v[8:9], v[6:7]
	s_andn2_b64 exec, exec, s[14:15]
	s_cbranch_execnz .LBB71_70
.LBB71_71:                              ;   in Loop: Header=BB71_3 Depth=1
	s_or_b64 exec, exec, s[12:13]
	global_load_dwordx2 v[6:7], v33, s[4:5] offset:16
	s_mov_b64 s[14:15], exec
	v_mbcnt_lo_u32_b32 v0, s14, 0
	v_mbcnt_hi_u32_b32 v0, s15, v0
	v_cmp_eq_u32_e32 vcc, 0, v0
	s_and_saveexec_b64 s[12:13], vcc
	s_cbranch_execz .LBB71_73
; %bb.72:                               ;   in Loop: Header=BB71_3 Depth=1
	s_bcnt1_i32_b64 s14, s[14:15]
	v_mov_b32_e32 v8, s14
	v_mov_b32_e32 v9, v33
	buffer_wbl2 sc0 sc1
	s_waitcnt vmcnt(0)
	global_atomic_add_x2 v[6:7], v[8:9], off offset:8 sc1
.LBB71_73:                              ;   in Loop: Header=BB71_3 Depth=1
	s_or_b64 exec, exec, s[12:13]
	s_waitcnt vmcnt(0)
	global_load_dwordx2 v[8:9], v[6:7], off offset:16
	s_waitcnt vmcnt(0)
	v_cmp_eq_u64_e32 vcc, 0, v[8:9]
	s_cbranch_vccnz .LBB71_75
; %bb.74:                               ;   in Loop: Header=BB71_3 Depth=1
	global_load_dword v6, v[6:7], off offset:24
	v_mov_b32_e32 v7, v33
	s_waitcnt vmcnt(0)
	v_readfirstlane_b32 s12, v6
	s_and_b32 m0, s12, 0xffffff
	buffer_wbl2 sc0 sc1
	global_store_dwordx2 v[8:9], v[6:7], off sc0 sc1
	s_sendmsg sendmsg(MSG_INTERRUPT)
.LBB71_75:                              ;   in Loop: Header=BB71_3 Depth=1
	s_or_b64 exec, exec, s[10:11]
	v_lshl_add_u64 v[6:7], v[10:11], 0, v[32:33]
	s_branch .LBB71_79
.LBB71_76:                              ;   in Loop: Header=BB71_79 Depth=2
	s_or_b64 exec, exec, s[10:11]
	v_readfirstlane_b32 s10, v0
	s_cmp_eq_u32 s10, 0
	s_cbranch_scc1 .LBB71_78
; %bb.77:                               ;   in Loop: Header=BB71_79 Depth=2
	s_sleep 1
	s_cbranch_execnz .LBB71_79
	s_branch .LBB71_81
.LBB71_78:                              ;   in Loop: Header=BB71_3 Depth=1
	s_branch .LBB71_81
.LBB71_79:                              ;   Parent Loop BB71_3 Depth=1
                                        ; =>  This Inner Loop Header: Depth=2
	v_mov_b32_e32 v0, 1
	s_and_saveexec_b64 s[10:11], s[0:1]
	s_cbranch_execz .LBB71_76
; %bb.80:                               ;   in Loop: Header=BB71_79 Depth=2
	global_load_dword v0, v[48:49], off offset:20 sc0 sc1
	s_waitcnt vmcnt(0)
	buffer_inv sc0 sc1
	v_and_b32_e32 v0, 1, v0
	s_branch .LBB71_76
.LBB71_81:                              ;   in Loop: Header=BB71_3 Depth=1
	global_load_dwordx2 v[6:7], v[6:7], off
	s_and_saveexec_b64 s[10:11], s[0:1]
	s_cbranch_execz .LBB71_2
; %bb.82:                               ;   in Loop: Header=BB71_3 Depth=1
	global_load_dwordx2 v[8:9], v33, s[4:5] offset:40
	global_load_dwordx2 v[18:19], v33, s[4:5] offset:24 sc0 sc1
	global_load_dwordx2 v[10:11], v33, s[4:5]
	s_waitcnt vmcnt(2)
	v_readfirstlane_b32 s12, v8
	v_readfirstlane_b32 s13, v9
	s_add_u32 s14, s12, 1
	s_addc_u32 s15, s13, 0
	s_add_u32 s0, s14, s6
	s_addc_u32 s1, s15, s7
	s_cmp_eq_u64 s[0:1], 0
	s_cselect_b32 s1, s15, s1
	s_cselect_b32 s0, s14, s0
	s_and_b64 s[6:7], s[0:1], s[12:13]
	s_mul_i32 s7, s7, 24
	s_mul_hi_u32 s12, s6, 24
	s_mul_i32 s6, s6, 24
	s_add_i32 s7, s12, s7
	s_waitcnt vmcnt(0)
	v_lshl_add_u64 v[14:15], v[10:11], 0, s[6:7]
	v_mov_b32_e32 v16, s0
	global_store_dwordx2 v[14:15], v[18:19], off
	v_mov_b32_e32 v17, s1
	buffer_wbl2 sc0 sc1
	s_waitcnt vmcnt(0)
	global_atomic_cmpswap_x2 v[10:11], v33, v[16:19], s[4:5] offset:24 sc0 sc1
	s_waitcnt vmcnt(0)
	v_cmp_ne_u64_e32 vcc, v[10:11], v[18:19]
	s_and_b64 exec, exec, vcc
	s_cbranch_execz .LBB71_2
; %bb.83:                               ;   in Loop: Header=BB71_3 Depth=1
	s_mov_b64 s[6:7], 0
.LBB71_84:                              ;   Parent Loop BB71_3 Depth=1
                                        ; =>  This Inner Loop Header: Depth=2
	s_sleep 1
	global_store_dwordx2 v[14:15], v[10:11], off
	v_mov_b32_e32 v8, s0
	v_mov_b32_e32 v9, s1
	buffer_wbl2 sc0 sc1
	s_waitcnt vmcnt(0)
	global_atomic_cmpswap_x2 v[8:9], v33, v[8:11], s[4:5] offset:24 sc0 sc1
	s_waitcnt vmcnt(0)
	v_cmp_eq_u64_e32 vcc, v[8:9], v[10:11]
	s_or_b64 s[6:7], vcc, s[6:7]
	v_mov_b64_e32 v[10:11], v[8:9]
	s_andn2_b64 exec, exec, s[6:7]
	s_cbranch_execnz .LBB71_84
	s_branch .LBB71_2
.LBB71_85:
	s_or_b64 exec, exec, s[2:3]
.LBB71_86:
	s_waitcnt vmcnt(0)
	v_mov_b32_e32 v0, v6
	v_mov_b32_e32 v1, v7
	s_waitcnt lgkmcnt(0)
	s_setpc_b64 s[30:31]
.LBB71_87:
                                        ; implicit-def: $vgpr6_vgpr7
	s_cbranch_execz .LBB71_86
; %bb.88:
	s_load_dwordx2 s[2:3], s[8:9], 0x50
	v_mbcnt_hi_u32_b32 v3, -1, v3
	v_mov_b64_e32 v[8:9], 0
	v_readfirstlane_b32 s0, v3
	s_nop 1
	v_cmp_eq_u32_e64 s[0:1], s0, v3
	s_and_saveexec_b64 s[4:5], s[0:1]
	s_cbranch_execz .LBB71_94
; %bb.89:
	v_mov_b32_e32 v0, 0
	s_waitcnt lgkmcnt(0)
	global_load_dwordx2 v[6:7], v0, s[2:3] offset:24 sc0 sc1
	s_waitcnt vmcnt(0)
	buffer_inv sc0 sc1
	global_load_dwordx2 v[4:5], v0, s[2:3] offset:40
	global_load_dwordx2 v[8:9], v0, s[2:3]
	s_waitcnt vmcnt(1)
	v_and_b32_e32 v4, v4, v6
	v_and_b32_e32 v5, v5, v7
	v_mul_lo_u32 v5, v5, 24
	v_mul_hi_u32 v10, v4, 24
	v_add_u32_e32 v5, v10, v5
	v_mul_lo_u32 v4, v4, 24
	s_waitcnt vmcnt(0)
	v_lshl_add_u64 v[4:5], v[8:9], 0, v[4:5]
	global_load_dwordx2 v[4:5], v[4:5], off sc0 sc1
	s_waitcnt vmcnt(0)
	global_atomic_cmpswap_x2 v[8:9], v0, v[4:7], s[2:3] offset:24 sc0 sc1
	s_waitcnt vmcnt(0)
	buffer_inv sc0 sc1
	v_cmp_ne_u64_e32 vcc, v[8:9], v[6:7]
	s_and_saveexec_b64 s[6:7], vcc
	s_cbranch_execz .LBB71_93
; %bb.90:
	s_mov_b64 s[8:9], 0
.LBB71_91:                              ; =>This Inner Loop Header: Depth=1
	s_sleep 1
	global_load_dwordx2 v[4:5], v0, s[2:3] offset:40
	global_load_dwordx2 v[10:11], v0, s[2:3]
	v_mov_b64_e32 v[6:7], v[8:9]
	s_waitcnt vmcnt(1)
	v_and_b32_e32 v4, v4, v6
	v_and_b32_e32 v9, v5, v7
	s_waitcnt vmcnt(0)
	v_mad_u64_u32 v[4:5], s[10:11], v4, 24, v[10:11]
	v_mov_b32_e32 v8, v5
	v_mad_u64_u32 v[8:9], s[10:11], v9, 24, v[8:9]
	v_mov_b32_e32 v5, v8
	global_load_dwordx2 v[4:5], v[4:5], off sc0 sc1
	s_waitcnt vmcnt(0)
	global_atomic_cmpswap_x2 v[8:9], v0, v[4:7], s[2:3] offset:24 sc0 sc1
	s_waitcnt vmcnt(0)
	buffer_inv sc0 sc1
	v_cmp_eq_u64_e32 vcc, v[8:9], v[6:7]
	s_or_b64 s[8:9], vcc, s[8:9]
	s_andn2_b64 exec, exec, s[8:9]
	s_cbranch_execnz .LBB71_91
; %bb.92:
	s_or_b64 exec, exec, s[8:9]
.LBB71_93:
	s_or_b64 exec, exec, s[6:7]
.LBB71_94:
	s_or_b64 exec, exec, s[4:5]
	v_mov_b32_e32 v11, 0
	s_waitcnt lgkmcnt(0)
	global_load_dwordx2 v[12:13], v11, s[2:3] offset:40
	global_load_dwordx4 v[4:7], v11, s[2:3]
	v_readfirstlane_b32 s5, v9
	v_readfirstlane_b32 s4, v8
	s_mov_b64 s[6:7], exec
	s_waitcnt vmcnt(1)
	v_readfirstlane_b32 s8, v12
	v_readfirstlane_b32 s9, v13
	s_and_b64 s[8:9], s[8:9], s[4:5]
	s_mul_i32 s10, s9, 24
	s_mul_hi_u32 s11, s8, 24
	s_add_i32 s11, s11, s10
	s_mul_i32 s10, s8, 24
	s_waitcnt vmcnt(0)
	v_lshl_add_u64 v[8:9], v[4:5], 0, s[10:11]
	s_and_saveexec_b64 s[10:11], s[0:1]
	s_cbranch_execz .LBB71_96
; %bb.95:
	v_mov_b64_e32 v[12:13], s[6:7]
	v_mov_b32_e32 v14, 2
	v_mov_b32_e32 v15, 1
	global_store_dwordx4 v[8:9], v[12:15], off offset:8
.LBB71_96:
	s_or_b64 exec, exec, s[10:11]
	s_lshl_b64 s[6:7], s[8:9], 12
	v_lshl_add_u64 v[6:7], v[6:7], 0, s[6:7]
	s_movk_i32 s6, 0xff1f
	s_mov_b32 s8, 0
	v_and_or_b32 v0, v2, s6, 32
	v_lshlrev_b32_e32 v10, 6, v3
	v_mov_b32_e32 v2, v11
	v_mov_b32_e32 v3, v11
	v_readfirstlane_b32 s6, v6
	v_readfirstlane_b32 s7, v7
	s_mov_b32 s9, s8
	s_mov_b32 s10, s8
	;; [unrolled: 1-line block ×3, first 2 shown]
	s_nop 1
	global_store_dwordx4 v10, v[0:3], s[6:7]
	s_nop 1
	v_mov_b64_e32 v[0:1], s[8:9]
	v_mov_b64_e32 v[2:3], s[10:11]
	global_store_dwordx4 v10, v[0:3], s[6:7] offset:16
	global_store_dwordx4 v10, v[0:3], s[6:7] offset:32
	;; [unrolled: 1-line block ×3, first 2 shown]
	s_and_saveexec_b64 s[6:7], s[0:1]
	s_cbranch_execz .LBB71_104
; %bb.97:
	v_mov_b32_e32 v12, 0
	global_load_dwordx2 v[16:17], v12, s[2:3] offset:32 sc0 sc1
	global_load_dwordx2 v[0:1], v12, s[2:3] offset:40
	v_mov_b32_e32 v14, s4
	v_mov_b32_e32 v15, s5
	s_waitcnt vmcnt(0)
	v_and_b32_e32 v0, s4, v0
	v_and_b32_e32 v1, s5, v1
	v_mul_lo_u32 v1, v1, 24
	v_mul_hi_u32 v2, v0, 24
	v_mul_lo_u32 v0, v0, 24
	v_add_u32_e32 v1, v2, v1
	v_lshl_add_u64 v[4:5], v[4:5], 0, v[0:1]
	global_store_dwordx2 v[4:5], v[16:17], off
	buffer_wbl2 sc0 sc1
	s_waitcnt vmcnt(0)
	global_atomic_cmpswap_x2 v[2:3], v12, v[14:17], s[2:3] offset:32 sc0 sc1
	s_waitcnt vmcnt(0)
	v_cmp_ne_u64_e32 vcc, v[2:3], v[16:17]
	s_and_saveexec_b64 s[8:9], vcc
	s_cbranch_execz .LBB71_100
; %bb.98:
	s_mov_b64 s[10:11], 0
.LBB71_99:                              ; =>This Inner Loop Header: Depth=1
	s_sleep 1
	global_store_dwordx2 v[4:5], v[2:3], off
	v_mov_b32_e32 v0, s4
	v_mov_b32_e32 v1, s5
	buffer_wbl2 sc0 sc1
	s_waitcnt vmcnt(0)
	global_atomic_cmpswap_x2 v[0:1], v12, v[0:3], s[2:3] offset:32 sc0 sc1
	s_waitcnt vmcnt(0)
	v_cmp_eq_u64_e32 vcc, v[0:1], v[2:3]
	s_or_b64 s[10:11], vcc, s[10:11]
	v_mov_b64_e32 v[2:3], v[0:1]
	s_andn2_b64 exec, exec, s[10:11]
	s_cbranch_execnz .LBB71_99
.LBB71_100:
	s_or_b64 exec, exec, s[8:9]
	v_mov_b32_e32 v3, 0
	global_load_dwordx2 v[0:1], v3, s[2:3] offset:16
	s_mov_b64 s[8:9], exec
	v_mbcnt_lo_u32_b32 v2, s8, 0
	v_mbcnt_hi_u32_b32 v2, s9, v2
	v_cmp_eq_u32_e32 vcc, 0, v2
	s_and_saveexec_b64 s[10:11], vcc
	s_cbranch_execz .LBB71_102
; %bb.101:
	s_bcnt1_i32_b64 s8, s[8:9]
	v_mov_b32_e32 v2, s8
	buffer_wbl2 sc0 sc1
	s_waitcnt vmcnt(0)
	global_atomic_add_x2 v[0:1], v[2:3], off offset:8 sc1
.LBB71_102:
	s_or_b64 exec, exec, s[10:11]
	s_waitcnt vmcnt(0)
	global_load_dwordx2 v[2:3], v[0:1], off offset:16
	s_waitcnt vmcnt(0)
	v_cmp_eq_u64_e32 vcc, 0, v[2:3]
	s_cbranch_vccnz .LBB71_104
; %bb.103:
	global_load_dword v0, v[0:1], off offset:24
	v_mov_b32_e32 v1, 0
	s_waitcnt vmcnt(0)
	v_readfirstlane_b32 s8, v0
	s_and_b32 m0, s8, 0xffffff
	buffer_wbl2 sc0 sc1
	global_store_dwordx2 v[2:3], v[0:1], off sc0 sc1
	s_sendmsg sendmsg(MSG_INTERRUPT)
.LBB71_104:
	s_or_b64 exec, exec, s[6:7]
	v_lshl_add_u64 v[0:1], v[6:7], 0, v[10:11]
	s_branch .LBB71_108
.LBB71_105:                             ;   in Loop: Header=BB71_108 Depth=1
	s_or_b64 exec, exec, s[6:7]
	v_readfirstlane_b32 s6, v2
	s_cmp_eq_u32 s6, 0
	s_cbranch_scc1 .LBB71_107
; %bb.106:                              ;   in Loop: Header=BB71_108 Depth=1
	s_sleep 1
	s_cbranch_execnz .LBB71_108
	s_branch .LBB71_110
.LBB71_107:
	s_branch .LBB71_110
.LBB71_108:                             ; =>This Inner Loop Header: Depth=1
	v_mov_b32_e32 v2, 1
	s_and_saveexec_b64 s[6:7], s[0:1]
	s_cbranch_execz .LBB71_105
; %bb.109:                              ;   in Loop: Header=BB71_108 Depth=1
	global_load_dword v2, v[8:9], off offset:20 sc0 sc1
	s_waitcnt vmcnt(0)
	buffer_inv sc0 sc1
	v_and_b32_e32 v2, 1, v2
	s_branch .LBB71_105
.LBB71_110:
	global_load_dwordx2 v[6:7], v[0:1], off
	s_and_saveexec_b64 s[6:7], s[0:1]
	s_cbranch_execz .LBB71_113
; %bb.111:
	v_mov_b32_e32 v8, 0
	global_load_dwordx2 v[0:1], v8, s[2:3] offset:40
	global_load_dwordx2 v[12:13], v8, s[2:3] offset:24 sc0 sc1
	global_load_dwordx2 v[2:3], v8, s[2:3]
	s_waitcnt vmcnt(2)
	v_readfirstlane_b32 s8, v0
	v_readfirstlane_b32 s9, v1
	s_add_u32 s10, s8, 1
	s_addc_u32 s11, s9, 0
	s_add_u32 s0, s10, s4
	s_addc_u32 s1, s11, s5
	s_cmp_eq_u64 s[0:1], 0
	s_cselect_b32 s1, s11, s1
	s_cselect_b32 s0, s10, s0
	s_and_b64 s[4:5], s[0:1], s[8:9]
	s_mul_i32 s5, s5, 24
	s_mul_hi_u32 s8, s4, 24
	s_mul_i32 s4, s4, 24
	s_add_i32 s5, s8, s5
	s_waitcnt vmcnt(0)
	v_lshl_add_u64 v[4:5], v[2:3], 0, s[4:5]
	v_mov_b32_e32 v10, s0
	global_store_dwordx2 v[4:5], v[12:13], off
	v_mov_b32_e32 v11, s1
	buffer_wbl2 sc0 sc1
	s_waitcnt vmcnt(0)
	global_atomic_cmpswap_x2 v[2:3], v8, v[10:13], s[2:3] offset:24 sc0 sc1
	s_mov_b64 s[4:5], 0
	s_waitcnt vmcnt(0)
	v_cmp_ne_u64_e32 vcc, v[2:3], v[12:13]
	s_and_b64 exec, exec, vcc
	s_cbranch_execz .LBB71_113
.LBB71_112:                             ; =>This Inner Loop Header: Depth=1
	s_sleep 1
	global_store_dwordx2 v[4:5], v[2:3], off
	v_mov_b32_e32 v0, s0
	v_mov_b32_e32 v1, s1
	buffer_wbl2 sc0 sc1
	s_waitcnt vmcnt(0)
	global_atomic_cmpswap_x2 v[0:1], v8, v[0:3], s[2:3] offset:24 sc0 sc1
	s_waitcnt vmcnt(0)
	v_cmp_eq_u64_e32 vcc, v[0:1], v[2:3]
	s_or_b64 s[4:5], vcc, s[4:5]
	v_mov_b64_e32 v[2:3], v[0:1]
	s_andn2_b64 exec, exec, s[4:5]
	s_cbranch_execnz .LBB71_112
.LBB71_113:
	s_or_b64 exec, exec, s[6:7]
	s_waitcnt vmcnt(0)
	v_mov_b32_e32 v0, v6
	v_mov_b32_e32 v1, v7
	s_waitcnt lgkmcnt(0)
	s_setpc_b64 s[30:31]
.Lfunc_end71:
	.size	__ockl_printf_append_string_n, .Lfunc_end71-__ockl_printf_append_string_n
                                        ; -- End function
	.set .L__ockl_printf_append_string_n.num_vgpr, 50
	.set .L__ockl_printf_append_string_n.num_agpr, 0
	.set .L__ockl_printf_append_string_n.numbered_sgpr, 32
	.set .L__ockl_printf_append_string_n.num_named_barrier, 0
	.set .L__ockl_printf_append_string_n.private_seg_size, 0
	.set .L__ockl_printf_append_string_n.uses_vcc, 1
	.set .L__ockl_printf_append_string_n.uses_flat_scratch, 0
	.set .L__ockl_printf_append_string_n.has_dyn_sized_stack, 0
	.set .L__ockl_printf_append_string_n.has_recursion, 0
	.set .L__ockl_printf_append_string_n.has_indirect_call, 0
	.section	.AMDGPU.csdata,"",@progbits
; Function info:
; codeLenInByte = 3812
; TotalNumSgprs: 38
; NumVgprs: 50
; NumAgprs: 0
; TotalNumVgprs: 50
; ScratchSize: 0
; MemoryBound: 0
	.text
	.p2align	2                               ; -- Begin function __ockl_printf_append_args
	.type	__ockl_printf_append_args,@function
__ockl_printf_append_args:              ; @__ockl_printf_append_args
; %bb.0:
	s_waitcnt vmcnt(0) expcnt(0) lgkmcnt(0)
	s_load_dwordx2 s[2:3], s[8:9], 0x50
	v_mbcnt_lo_u32_b32 v5, -1, 0
	v_mbcnt_hi_u32_b32 v5, -1, v5
	v_mov_b64_e32 v[10:11], 0
	v_readfirstlane_b32 s0, v5
	s_nop 1
	v_cmp_eq_u32_e64 s[0:1], s0, v5
	s_and_saveexec_b64 s[4:5], s[0:1]
	s_cbranch_execz .LBB72_6
; %bb.1:
	v_mov_b32_e32 v6, 0
	s_waitcnt lgkmcnt(0)
	global_load_dwordx2 v[12:13], v6, s[2:3] offset:24 sc0 sc1
	s_waitcnt vmcnt(0)
	buffer_inv sc0 sc1
	global_load_dwordx2 v[8:9], v6, s[2:3] offset:40
	global_load_dwordx2 v[10:11], v6, s[2:3]
	s_waitcnt vmcnt(1)
	v_and_b32_e32 v7, v8, v12
	v_and_b32_e32 v8, v9, v13
	v_mul_lo_u32 v8, v8, 24
	v_mul_hi_u32 v9, v7, 24
	v_add_u32_e32 v9, v9, v8
	v_mul_lo_u32 v8, v7, 24
	s_waitcnt vmcnt(0)
	v_lshl_add_u64 v[8:9], v[10:11], 0, v[8:9]
	global_load_dwordx2 v[10:11], v[8:9], off sc0 sc1
	s_waitcnt vmcnt(0)
	global_atomic_cmpswap_x2 v[10:11], v6, v[10:13], s[2:3] offset:24 sc0 sc1
	s_waitcnt vmcnt(0)
	buffer_inv sc0 sc1
	v_cmp_ne_u64_e32 vcc, v[10:11], v[12:13]
	s_and_saveexec_b64 s[6:7], vcc
	s_cbranch_execz .LBB72_5
; %bb.2:
	s_mov_b64 s[8:9], 0
.LBB72_3:                               ; =>This Inner Loop Header: Depth=1
	s_sleep 1
	global_load_dwordx2 v[8:9], v6, s[2:3] offset:40
	global_load_dwordx2 v[14:15], v6, s[2:3]
	v_mov_b64_e32 v[12:13], v[10:11]
	s_waitcnt vmcnt(1)
	v_and_b32_e32 v8, v8, v12
	v_and_b32_e32 v7, v9, v13
	s_waitcnt vmcnt(0)
	v_mad_u64_u32 v[8:9], s[10:11], v8, 24, v[14:15]
	v_mov_b32_e32 v10, v9
	v_mad_u64_u32 v[10:11], s[10:11], v7, 24, v[10:11]
	v_mov_b32_e32 v9, v10
	global_load_dwordx2 v[10:11], v[8:9], off sc0 sc1
	s_waitcnt vmcnt(0)
	global_atomic_cmpswap_x2 v[10:11], v6, v[10:13], s[2:3] offset:24 sc0 sc1
	s_waitcnt vmcnt(0)
	buffer_inv sc0 sc1
	v_cmp_eq_u64_e32 vcc, v[10:11], v[12:13]
	s_or_b64 s[8:9], vcc, s[8:9]
	s_andn2_b64 exec, exec, s[8:9]
	s_cbranch_execnz .LBB72_3
; %bb.4:
	s_or_b64 exec, exec, s[8:9]
.LBB72_5:
	s_or_b64 exec, exec, s[6:7]
.LBB72_6:
	s_or_b64 exec, exec, s[4:5]
	v_mov_b32_e32 v14, 0
	s_waitcnt lgkmcnt(0)
	global_load_dwordx2 v[12:13], v14, s[2:3] offset:40
	global_load_dwordx4 v[6:9], v14, s[2:3]
	v_readfirstlane_b32 s5, v11
	v_readfirstlane_b32 s4, v10
	s_mov_b64 s[6:7], exec
	s_waitcnt vmcnt(1)
	v_readfirstlane_b32 s8, v12
	v_readfirstlane_b32 s9, v13
	s_and_b64 s[8:9], s[8:9], s[4:5]
	s_mul_i32 s10, s9, 24
	s_mul_hi_u32 s11, s8, 24
	s_add_i32 s11, s11, s10
	s_mul_i32 s10, s8, 24
	s_waitcnt vmcnt(0)
	v_lshl_add_u64 v[10:11], v[6:7], 0, s[10:11]
	s_and_saveexec_b64 s[10:11], s[0:1]
	s_cbranch_execz .LBB72_8
; %bb.7:
	v_mov_b64_e32 v[12:13], s[6:7]
	v_mov_b32_e32 v14, 2
	v_mov_b32_e32 v15, 1
	global_store_dwordx4 v[10:11], v[12:15], off offset:8
.LBB72_8:
	s_or_b64 exec, exec, s[10:11]
	s_lshl_b64 s[6:7], s[8:9], 12
	v_or_b32_e32 v12, 2, v0
	v_cmp_eq_u32_e32 vcc, 0, v4
	v_lshl_add_u64 v[8:9], v[8:9], 0, s[6:7]
	s_mov_b32 s8, 0
	v_cndmask_b32_e32 v0, v12, v0, vcc
	s_movk_i32 s6, 0xff1f
	v_and_or_b32 v0, v0, s6, 32
	v_lshlrev_b32_e32 v4, 6, v5
	v_readfirstlane_b32 s6, v8
	v_readfirstlane_b32 s7, v9
	s_mov_b32 s9, s8
	s_mov_b32 s10, s8
	;; [unrolled: 1-line block ×3, first 2 shown]
	s_nop 1
	global_store_dwordx4 v4, v[0:3], s[6:7]
	s_nop 1
	v_mov_b64_e32 v[0:1], s[8:9]
	v_mov_b64_e32 v[2:3], s[10:11]
	global_store_dwordx4 v4, v[0:3], s[6:7] offset:16
	global_store_dwordx4 v4, v[0:3], s[6:7] offset:32
	;; [unrolled: 1-line block ×3, first 2 shown]
	s_and_saveexec_b64 s[6:7], s[0:1]
	s_cbranch_execz .LBB72_16
; %bb.9:
	v_mov_b32_e32 v8, 0
	global_load_dwordx2 v[14:15], v8, s[2:3] offset:32 sc0 sc1
	global_load_dwordx2 v[0:1], v8, s[2:3] offset:40
	v_mov_b32_e32 v12, s4
	v_mov_b32_e32 v13, s5
	s_waitcnt vmcnt(0)
	v_and_b32_e32 v0, s4, v0
	v_and_b32_e32 v1, s5, v1
	v_mul_lo_u32 v1, v1, 24
	v_mul_hi_u32 v2, v0, 24
	v_mul_lo_u32 v0, v0, 24
	v_add_u32_e32 v1, v2, v1
	v_lshl_add_u64 v[4:5], v[6:7], 0, v[0:1]
	global_store_dwordx2 v[4:5], v[14:15], off
	buffer_wbl2 sc0 sc1
	s_waitcnt vmcnt(0)
	global_atomic_cmpswap_x2 v[2:3], v8, v[12:15], s[2:3] offset:32 sc0 sc1
	s_waitcnt vmcnt(0)
	v_cmp_ne_u64_e32 vcc, v[2:3], v[14:15]
	s_and_saveexec_b64 s[8:9], vcc
	s_cbranch_execz .LBB72_12
; %bb.10:
	s_mov_b64 s[10:11], 0
.LBB72_11:                              ; =>This Inner Loop Header: Depth=1
	s_sleep 1
	global_store_dwordx2 v[4:5], v[2:3], off
	v_mov_b32_e32 v0, s4
	v_mov_b32_e32 v1, s5
	buffer_wbl2 sc0 sc1
	s_waitcnt vmcnt(0)
	global_atomic_cmpswap_x2 v[0:1], v8, v[0:3], s[2:3] offset:32 sc0 sc1
	s_waitcnt vmcnt(0)
	v_cmp_eq_u64_e32 vcc, v[0:1], v[2:3]
	s_or_b64 s[10:11], vcc, s[10:11]
	v_mov_b64_e32 v[2:3], v[0:1]
	s_andn2_b64 exec, exec, s[10:11]
	s_cbranch_execnz .LBB72_11
.LBB72_12:
	s_or_b64 exec, exec, s[8:9]
	v_mov_b32_e32 v3, 0
	global_load_dwordx2 v[0:1], v3, s[2:3] offset:16
	s_mov_b64 s[8:9], exec
	v_mbcnt_lo_u32_b32 v2, s8, 0
	v_mbcnt_hi_u32_b32 v2, s9, v2
	v_cmp_eq_u32_e32 vcc, 0, v2
	s_and_saveexec_b64 s[10:11], vcc
	s_cbranch_execz .LBB72_14
; %bb.13:
	s_bcnt1_i32_b64 s8, s[8:9]
	v_mov_b32_e32 v2, s8
	buffer_wbl2 sc0 sc1
	s_waitcnt vmcnt(0)
	global_atomic_add_x2 v[0:1], v[2:3], off offset:8 sc1
.LBB72_14:
	s_or_b64 exec, exec, s[10:11]
	s_waitcnt vmcnt(0)
	global_load_dwordx2 v[2:3], v[0:1], off offset:16
	s_waitcnt vmcnt(0)
	v_cmp_eq_u64_e32 vcc, 0, v[2:3]
	s_cbranch_vccnz .LBB72_16
; %bb.15:
	global_load_dword v0, v[0:1], off offset:24
	v_mov_b32_e32 v1, 0
	s_waitcnt vmcnt(0)
	v_readfirstlane_b32 s8, v0
	s_and_b32 m0, s8, 0xffffff
	buffer_wbl2 sc0 sc1
	global_store_dwordx2 v[2:3], v[0:1], off sc0 sc1
	s_sendmsg sendmsg(MSG_INTERRUPT)
.LBB72_16:
	s_or_b64 exec, exec, s[6:7]
	s_branch .LBB72_20
.LBB72_17:                              ;   in Loop: Header=BB72_20 Depth=1
	s_or_b64 exec, exec, s[6:7]
	v_readfirstlane_b32 s6, v0
	s_cmp_eq_u32 s6, 0
	s_cbranch_scc1 .LBB72_19
; %bb.18:                               ;   in Loop: Header=BB72_20 Depth=1
	s_sleep 1
	s_cbranch_execnz .LBB72_20
	s_branch .LBB72_22
.LBB72_19:
	s_branch .LBB72_22
.LBB72_20:                              ; =>This Inner Loop Header: Depth=1
	v_mov_b32_e32 v0, 1
	s_and_saveexec_b64 s[6:7], s[0:1]
	s_cbranch_execz .LBB72_17
; %bb.21:                               ;   in Loop: Header=BB72_20 Depth=1
	global_load_dword v0, v[10:11], off offset:20 sc0 sc1
	s_waitcnt vmcnt(0)
	buffer_inv sc0 sc1
	v_and_b32_e32 v0, 1, v0
	s_branch .LBB72_17
.LBB72_22:
	s_and_saveexec_b64 s[6:7], s[0:1]
	s_cbranch_execz .LBB72_25
; %bb.23:
	v_mov_b32_e32 v6, 0
	global_load_dwordx2 v[0:1], v6, s[2:3] offset:40
	global_load_dwordx2 v[10:11], v6, s[2:3] offset:24 sc0 sc1
	global_load_dwordx2 v[2:3], v6, s[2:3]
	s_waitcnt vmcnt(2)
	v_readfirstlane_b32 s8, v0
	v_readfirstlane_b32 s9, v1
	s_add_u32 s10, s8, 1
	s_addc_u32 s11, s9, 0
	s_add_u32 s0, s10, s4
	s_addc_u32 s1, s11, s5
	s_cmp_eq_u64 s[0:1], 0
	s_cselect_b32 s1, s11, s1
	s_cselect_b32 s0, s10, s0
	s_and_b64 s[4:5], s[0:1], s[8:9]
	s_mul_i32 s5, s5, 24
	s_mul_hi_u32 s8, s4, 24
	s_mul_i32 s4, s4, 24
	s_add_i32 s5, s8, s5
	s_waitcnt vmcnt(0)
	v_lshl_add_u64 v[4:5], v[2:3], 0, s[4:5]
	v_mov_b32_e32 v8, s0
	global_store_dwordx2 v[4:5], v[10:11], off
	v_mov_b32_e32 v9, s1
	buffer_wbl2 sc0 sc1
	s_waitcnt vmcnt(0)
	global_atomic_cmpswap_x2 v[2:3], v6, v[8:11], s[2:3] offset:24 sc0 sc1
	s_mov_b64 s[4:5], 0
	s_waitcnt vmcnt(0)
	v_cmp_ne_u64_e32 vcc, v[2:3], v[10:11]
	s_and_b64 exec, exec, vcc
	s_cbranch_execz .LBB72_25
.LBB72_24:                              ; =>This Inner Loop Header: Depth=1
	s_sleep 1
	global_store_dwordx2 v[4:5], v[2:3], off
	v_mov_b32_e32 v0, s0
	v_mov_b32_e32 v1, s1
	buffer_wbl2 sc0 sc1
	s_waitcnt vmcnt(0)
	global_atomic_cmpswap_x2 v[0:1], v6, v[0:3], s[2:3] offset:24 sc0 sc1
	s_waitcnt vmcnt(0)
	v_cmp_eq_u64_e32 vcc, v[0:1], v[2:3]
	s_or_b64 s[4:5], vcc, s[4:5]
	v_mov_b64_e32 v[2:3], v[0:1]
	s_andn2_b64 exec, exec, s[4:5]
	s_cbranch_execnz .LBB72_24
.LBB72_25:
	s_or_b64 exec, exec, s[6:7]
	s_waitcnt vmcnt(0) lgkmcnt(0)
	s_setpc_b64 s[30:31]
.Lfunc_end72:
	.size	__ockl_printf_append_args, .Lfunc_end72-__ockl_printf_append_args
                                        ; -- End function
	.set .L__ockl_printf_append_args.num_vgpr, 16
	.set .L__ockl_printf_append_args.num_agpr, 0
	.set .L__ockl_printf_append_args.numbered_sgpr, 32
	.set .L__ockl_printf_append_args.num_named_barrier, 0
	.set .L__ockl_printf_append_args.private_seg_size, 0
	.set .L__ockl_printf_append_args.uses_vcc, 1
	.set .L__ockl_printf_append_args.uses_flat_scratch, 0
	.set .L__ockl_printf_append_args.has_dyn_sized_stack, 0
	.set .L__ockl_printf_append_args.has_recursion, 0
	.set .L__ockl_printf_append_args.has_indirect_call, 0
	.section	.AMDGPU.csdata,"",@progbits
; Function info:
; codeLenInByte = 1216
; TotalNumSgprs: 38
; NumVgprs: 16
; NumAgprs: 0
; TotalNumVgprs: 16
; ScratchSize: 0
; MemoryBound: 0
	.text
	.p2align	2                               ; -- Begin function _ZL14no_device_codePKciS0_iS0_
	.type	_ZL14no_device_codePKciS0_iS0_,@function
_ZL14no_device_codePKciS0_iS0_:         ; @_ZL14no_device_codePKciS0_iS0_
; %bb.0:
	s_waitcnt vmcnt(0) expcnt(0) lgkmcnt(0)
	s_mov_b32 s20, s33
	s_mov_b32 s33, s32
	s_xor_saveexec_b64 s[0:1], -1
	scratch_store_dword off, v35, s33       ; 4-byte Folded Spill
	s_mov_b64 exec, s[0:1]
	v_writelane_b32 v35, s30, 0
	s_add_i32 s32, s32, 16
	s_nop 0
	v_writelane_b32 v35, s31, 1
	s_load_dwordx2 s[2:3], s[8:9], 0x50
	v_mbcnt_lo_u32_b32 v0, -1, 0
	v_mbcnt_hi_u32_b32 v29, -1, v0
	v_mov_b64_e32 v[4:5], 0
	v_readfirstlane_b32 s0, v29
	s_nop 1
	v_cmp_eq_u32_e64 s[0:1], s0, v29
	s_and_saveexec_b64 s[4:5], s[0:1]
	s_cbranch_execz .LBB73_6
; %bb.1:
	v_mov_b32_e32 v0, 0
	s_waitcnt lgkmcnt(0)
	global_load_dwordx2 v[6:7], v0, s[2:3] offset:24 sc0 sc1
	s_waitcnt vmcnt(0)
	buffer_inv sc0 sc1
	global_load_dwordx2 v[2:3], v0, s[2:3] offset:40
	global_load_dwordx2 v[4:5], v0, s[2:3]
	s_waitcnt vmcnt(1)
	v_and_b32_e32 v1, v2, v6
	v_and_b32_e32 v2, v3, v7
	v_mul_lo_u32 v2, v2, 24
	v_mul_hi_u32 v3, v1, 24
	v_add_u32_e32 v3, v3, v2
	v_mul_lo_u32 v2, v1, 24
	s_waitcnt vmcnt(0)
	v_lshl_add_u64 v[2:3], v[4:5], 0, v[2:3]
	global_load_dwordx2 v[4:5], v[2:3], off sc0 sc1
	s_waitcnt vmcnt(0)
	global_atomic_cmpswap_x2 v[4:5], v0, v[4:7], s[2:3] offset:24 sc0 sc1
	s_waitcnt vmcnt(0)
	buffer_inv sc0 sc1
	v_cmp_ne_u64_e32 vcc, v[4:5], v[6:7]
	s_and_saveexec_b64 s[6:7], vcc
	s_cbranch_execz .LBB73_5
; %bb.2:
	s_mov_b64 s[10:11], 0
.LBB73_3:                               ; =>This Inner Loop Header: Depth=1
	s_sleep 1
	global_load_dwordx2 v[2:3], v0, s[2:3] offset:40
	global_load_dwordx2 v[8:9], v0, s[2:3]
	v_mov_b64_e32 v[6:7], v[4:5]
	s_waitcnt vmcnt(1)
	v_and_b32_e32 v2, v2, v6
	v_and_b32_e32 v1, v3, v7
	s_waitcnt vmcnt(0)
	v_mad_u64_u32 v[2:3], s[12:13], v2, 24, v[8:9]
	v_mov_b32_e32 v4, v3
	v_mad_u64_u32 v[4:5], s[12:13], v1, 24, v[4:5]
	v_mov_b32_e32 v3, v4
	global_load_dwordx2 v[4:5], v[2:3], off sc0 sc1
	s_waitcnt vmcnt(0)
	global_atomic_cmpswap_x2 v[4:5], v0, v[4:7], s[2:3] offset:24 sc0 sc1
	s_waitcnt vmcnt(0)
	buffer_inv sc0 sc1
	v_cmp_eq_u64_e32 vcc, v[4:5], v[6:7]
	s_or_b64 s[10:11], vcc, s[10:11]
	s_andn2_b64 exec, exec, s[10:11]
	s_cbranch_execnz .LBB73_3
; %bb.4:
	s_or_b64 exec, exec, s[10:11]
.LBB73_5:
	s_or_b64 exec, exec, s[6:7]
.LBB73_6:
	s_or_b64 exec, exec, s[4:5]
	v_mov_b32_e32 v27, 0
	s_waitcnt lgkmcnt(0)
	global_load_dwordx2 v[6:7], v27, s[2:3] offset:40
	global_load_dwordx4 v[0:3], v27, s[2:3]
	v_readfirstlane_b32 s5, v5
	v_readfirstlane_b32 s4, v4
	s_mov_b64 s[6:7], exec
	s_waitcnt vmcnt(1)
	v_readfirstlane_b32 s10, v6
	v_readfirstlane_b32 s11, v7
	s_and_b64 s[10:11], s[10:11], s[4:5]
	s_mul_i32 s12, s11, 24
	s_mul_hi_u32 s13, s10, 24
	s_add_i32 s13, s13, s12
	s_mul_i32 s12, s10, 24
	s_waitcnt vmcnt(0)
	v_lshl_add_u64 v[4:5], v[0:1], 0, s[12:13]
	s_and_saveexec_b64 s[12:13], s[0:1]
	s_cbranch_execz .LBB73_8
; %bb.7:
	v_mov_b64_e32 v[6:7], s[6:7]
	v_mov_b32_e32 v8, 2
	v_mov_b32_e32 v9, 1
	global_store_dwordx4 v[4:5], v[6:9], off offset:8
.LBB73_8:
	s_or_b64 exec, exec, s[12:13]
	s_lshl_b64 s[6:7], s[10:11], 12
	v_lshl_add_u64 v[6:7], v[2:3], 0, s[6:7]
	s_mov_b32 s12, 0
	v_lshlrev_b32_e32 v26, 6, v29
	v_mov_b32_e32 v8, 33
	v_mov_b32_e32 v9, v27
	;; [unrolled: 1-line block ×4, first 2 shown]
	v_readfirstlane_b32 s6, v6
	v_readfirstlane_b32 s7, v7
	s_mov_b32 s13, s12
	s_mov_b32 s14, s12
	s_mov_b32 s15, s12
	s_nop 1
	global_store_dwordx4 v26, v[8:11], s[6:7]
	s_nop 1
	v_mov_b64_e32 v[8:9], s[12:13]
	v_mov_b64_e32 v[10:11], s[14:15]
	global_store_dwordx4 v26, v[8:11], s[6:7] offset:16
	global_store_dwordx4 v26, v[8:11], s[6:7] offset:32
	;; [unrolled: 1-line block ×3, first 2 shown]
	s_and_saveexec_b64 s[6:7], s[0:1]
	s_cbranch_execz .LBB73_16
; %bb.9:
	v_mov_b32_e32 v10, 0
	global_load_dwordx2 v[14:15], v10, s[2:3] offset:32 sc0 sc1
	global_load_dwordx2 v[2:3], v10, s[2:3] offset:40
	v_mov_b32_e32 v12, s4
	v_mov_b32_e32 v13, s5
	s_waitcnt vmcnt(0)
	v_and_b32_e32 v2, s4, v2
	v_and_b32_e32 v3, s5, v3
	v_mul_lo_u32 v3, v3, 24
	v_mul_hi_u32 v8, v2, 24
	v_mul_lo_u32 v2, v2, 24
	v_add_u32_e32 v3, v8, v3
	v_lshl_add_u64 v[8:9], v[0:1], 0, v[2:3]
	global_store_dwordx2 v[8:9], v[14:15], off
	buffer_wbl2 sc0 sc1
	s_waitcnt vmcnt(0)
	global_atomic_cmpswap_x2 v[2:3], v10, v[12:15], s[2:3] offset:32 sc0 sc1
	s_waitcnt vmcnt(0)
	v_cmp_ne_u64_e32 vcc, v[2:3], v[14:15]
	s_and_saveexec_b64 s[10:11], vcc
	s_cbranch_execz .LBB73_12
; %bb.10:
	s_mov_b64 s[12:13], 0
.LBB73_11:                              ; =>This Inner Loop Header: Depth=1
	s_sleep 1
	global_store_dwordx2 v[8:9], v[2:3], off
	v_mov_b32_e32 v0, s4
	v_mov_b32_e32 v1, s5
	buffer_wbl2 sc0 sc1
	s_waitcnt vmcnt(0)
	global_atomic_cmpswap_x2 v[0:1], v10, v[0:3], s[2:3] offset:32 sc0 sc1
	s_waitcnt vmcnt(0)
	v_cmp_eq_u64_e32 vcc, v[0:1], v[2:3]
	s_or_b64 s[12:13], vcc, s[12:13]
	v_mov_b64_e32 v[2:3], v[0:1]
	s_andn2_b64 exec, exec, s[12:13]
	s_cbranch_execnz .LBB73_11
.LBB73_12:
	s_or_b64 exec, exec, s[10:11]
	v_mov_b32_e32 v3, 0
	global_load_dwordx2 v[0:1], v3, s[2:3] offset:16
	s_mov_b64 s[10:11], exec
	v_mbcnt_lo_u32_b32 v2, s10, 0
	v_mbcnt_hi_u32_b32 v2, s11, v2
	v_cmp_eq_u32_e32 vcc, 0, v2
	s_and_saveexec_b64 s[12:13], vcc
	s_cbranch_execz .LBB73_14
; %bb.13:
	s_bcnt1_i32_b64 s10, s[10:11]
	v_mov_b32_e32 v2, s10
	buffer_wbl2 sc0 sc1
	s_waitcnt vmcnt(0)
	global_atomic_add_x2 v[0:1], v[2:3], off offset:8 sc1
.LBB73_14:
	s_or_b64 exec, exec, s[12:13]
	s_waitcnt vmcnt(0)
	global_load_dwordx2 v[2:3], v[0:1], off offset:16
	s_waitcnt vmcnt(0)
	v_cmp_eq_u64_e32 vcc, 0, v[2:3]
	s_cbranch_vccnz .LBB73_16
; %bb.15:
	global_load_dword v0, v[0:1], off offset:24
	v_mov_b32_e32 v1, 0
	s_waitcnt vmcnt(0)
	v_readfirstlane_b32 s10, v0
	s_and_b32 m0, s10, 0xffffff
	buffer_wbl2 sc0 sc1
	global_store_dwordx2 v[2:3], v[0:1], off sc0 sc1
	s_sendmsg sendmsg(MSG_INTERRUPT)
.LBB73_16:
	s_or_b64 exec, exec, s[6:7]
	v_lshl_add_u64 v[0:1], v[6:7], 0, v[26:27]
	s_branch .LBB73_20
.LBB73_17:                              ;   in Loop: Header=BB73_20 Depth=1
	s_or_b64 exec, exec, s[6:7]
	v_readfirstlane_b32 s6, v2
	s_cmp_eq_u32 s6, 0
	s_cbranch_scc1 .LBB73_19
; %bb.18:                               ;   in Loop: Header=BB73_20 Depth=1
	s_sleep 1
	s_cbranch_execnz .LBB73_20
	s_branch .LBB73_22
.LBB73_19:
	s_branch .LBB73_22
.LBB73_20:                              ; =>This Inner Loop Header: Depth=1
	v_mov_b32_e32 v2, 1
	s_and_saveexec_b64 s[6:7], s[0:1]
	s_cbranch_execz .LBB73_17
; %bb.21:                               ;   in Loop: Header=BB73_20 Depth=1
	global_load_dword v2, v[4:5], off offset:20 sc0 sc1
	s_waitcnt vmcnt(0)
	buffer_inv sc0 sc1
	v_and_b32_e32 v2, 1, v2
	s_branch .LBB73_17
.LBB73_22:
	global_load_dwordx2 v[4:5], v[0:1], off
	s_and_saveexec_b64 s[6:7], s[0:1]
	s_cbranch_execz .LBB73_25
; %bb.23:
	v_mov_b32_e32 v8, 0
	global_load_dwordx2 v[0:1], v8, s[2:3] offset:40
	global_load_dwordx2 v[12:13], v8, s[2:3] offset:24 sc0 sc1
	global_load_dwordx2 v[2:3], v8, s[2:3]
	s_waitcnt vmcnt(2)
	v_readfirstlane_b32 s10, v0
	v_readfirstlane_b32 s11, v1
	s_add_u32 s12, s10, 1
	s_addc_u32 s13, s11, 0
	s_add_u32 s0, s12, s4
	s_addc_u32 s1, s13, s5
	s_cmp_eq_u64 s[0:1], 0
	s_cselect_b32 s1, s13, s1
	s_cselect_b32 s0, s12, s0
	s_and_b64 s[4:5], s[0:1], s[10:11]
	s_mul_i32 s5, s5, 24
	s_mul_hi_u32 s10, s4, 24
	s_mul_i32 s4, s4, 24
	s_add_i32 s5, s10, s5
	s_waitcnt vmcnt(0)
	v_lshl_add_u64 v[6:7], v[2:3], 0, s[4:5]
	v_mov_b32_e32 v10, s0
	global_store_dwordx2 v[6:7], v[12:13], off
	v_mov_b32_e32 v11, s1
	buffer_wbl2 sc0 sc1
	s_waitcnt vmcnt(0)
	global_atomic_cmpswap_x2 v[2:3], v8, v[10:13], s[2:3] offset:24 sc0 sc1
	s_mov_b64 s[4:5], 0
	s_waitcnt vmcnt(0)
	v_cmp_ne_u64_e32 vcc, v[2:3], v[12:13]
	s_and_b64 exec, exec, vcc
	s_cbranch_execz .LBB73_25
.LBB73_24:                              ; =>This Inner Loop Header: Depth=1
	s_sleep 1
	global_store_dwordx2 v[6:7], v[2:3], off
	v_mov_b32_e32 v0, s0
	v_mov_b32_e32 v1, s1
	buffer_wbl2 sc0 sc1
	s_waitcnt vmcnt(0)
	global_atomic_cmpswap_x2 v[0:1], v8, v[0:3], s[2:3] offset:24 sc0 sc1
	s_waitcnt vmcnt(0)
	v_cmp_eq_u64_e32 vcc, v[0:1], v[2:3]
	s_or_b64 s[4:5], vcc, s[4:5]
	v_mov_b64_e32 v[2:3], v[0:1]
	s_andn2_b64 exec, exec, s[4:5]
	s_cbranch_execnz .LBB73_24
.LBB73_25:
	s_or_b64 exec, exec, s[6:7]
	s_getpc_b64 s[4:5]
	s_add_u32 s4, s4, .str.5@rel32@lo+4
	s_addc_u32 s5, s5, .str.5@rel32@hi+12
	s_cmp_lg_u64 s[4:5], 0
	s_cbranch_scc0 .LBB73_110
; %bb.26:
	s_waitcnt vmcnt(0)
	v_and_b32_e32 v28, 2, v4
	v_mov_b32_e32 v31, 0
	v_and_b32_e32 v0, -3, v4
	v_mov_b32_e32 v1, v5
	s_mov_b64 s[6:7], 0x4d
	v_mov_b32_e32 v8, 2
	v_mov_b32_e32 v9, 1
	s_branch .LBB73_28
.LBB73_27:                              ;   in Loop: Header=BB73_28 Depth=1
	s_or_b64 exec, exec, s[14:15]
	s_sub_u32 s6, s6, s10
	s_subb_u32 s7, s7, s11
	s_add_u32 s4, s4, s10
	s_addc_u32 s5, s5, s11
	s_cmp_lg_u64 s[6:7], 0
	s_cbranch_scc0 .LBB73_111
.LBB73_28:                              ; =>This Loop Header: Depth=1
                                        ;     Child Loop BB73_31 Depth 2
                                        ;     Child Loop BB73_39 Depth 2
	;; [unrolled: 1-line block ×11, first 2 shown]
	v_cmp_lt_u64_e64 s[0:1], s[6:7], 56
	s_and_b64 s[0:1], s[0:1], exec
	s_cselect_b32 s11, s7, 0
	s_cselect_b32 s10, s6, 56
	v_cmp_gt_u64_e64 s[12:13], s[6:7], 7
	s_add_u32 s0, s4, 8
	s_addc_u32 s1, s5, 0
	s_and_b64 vcc, exec, s[12:13]
	s_cbranch_vccnz .LBB73_32
; %bb.29:                               ;   in Loop: Header=BB73_28 Depth=1
	s_cmp_eq_u64 s[6:7], 0
	s_cbranch_scc1 .LBB73_33
; %bb.30:                               ;   in Loop: Header=BB73_28 Depth=1
	s_lshl_b64 s[0:1], s[10:11], 3
	s_mov_b64 s[12:13], 0
	v_mov_b64_e32 v[2:3], 0
	s_mov_b64 s[14:15], s[4:5]
.LBB73_31:                              ;   Parent Loop BB73_28 Depth=1
                                        ; =>  This Inner Loop Header: Depth=2
	global_load_ubyte v6, v31, s[14:15]
	s_waitcnt vmcnt(0)
	v_and_b32_e32 v30, 0xffff, v6
	v_lshlrev_b64 v[6:7], s12, v[30:31]
	s_add_u32 s12, s12, 8
	s_addc_u32 s13, s13, 0
	s_add_u32 s14, s14, 1
	s_addc_u32 s15, s15, 0
	v_or_b32_e32 v2, v6, v2
	s_cmp_lg_u32 s0, s12
	v_or_b32_e32 v3, v7, v3
	s_cbranch_scc1 .LBB73_31
	s_branch .LBB73_34
.LBB73_32:                              ;   in Loop: Header=BB73_28 Depth=1
	s_mov_b32 s16, 0
	s_branch .LBB73_35
.LBB73_33:                              ;   in Loop: Header=BB73_28 Depth=1
	v_mov_b64_e32 v[2:3], 0
.LBB73_34:                              ;   in Loop: Header=BB73_28 Depth=1
	s_mov_b64 s[0:1], s[4:5]
	s_mov_b32 s16, 0
	s_cbranch_execnz .LBB73_36
.LBB73_35:                              ;   in Loop: Header=BB73_28 Depth=1
	global_load_dwordx2 v[2:3], v31, s[4:5]
	s_add_i32 s16, s10, -8
.LBB73_36:                              ;   in Loop: Header=BB73_28 Depth=1
	s_add_u32 s12, s0, 8
	s_addc_u32 s13, s1, 0
	s_cmp_gt_u32 s16, 7
	s_cbranch_scc1 .LBB73_40
; %bb.37:                               ;   in Loop: Header=BB73_28 Depth=1
	s_cmp_eq_u32 s16, 0
	s_cbranch_scc1 .LBB73_41
; %bb.38:                               ;   in Loop: Header=BB73_28 Depth=1
	s_mov_b64 s[12:13], 0
	v_mov_b64_e32 v[10:11], 0
	s_mov_b64 s[14:15], 0
.LBB73_39:                              ;   Parent Loop BB73_28 Depth=1
                                        ; =>  This Inner Loop Header: Depth=2
	s_add_u32 s18, s0, s14
	s_addc_u32 s19, s1, s15
	global_load_ubyte v6, v31, s[18:19]
	s_add_u32 s14, s14, 1
	s_addc_u32 s15, s15, 0
	s_waitcnt vmcnt(0)
	v_and_b32_e32 v30, 0xffff, v6
	v_lshlrev_b64 v[6:7], s12, v[30:31]
	s_add_u32 s12, s12, 8
	s_addc_u32 s13, s13, 0
	v_or_b32_e32 v10, v6, v10
	s_cmp_lg_u32 s16, s14
	v_or_b32_e32 v11, v7, v11
	s_cbranch_scc1 .LBB73_39
	s_branch .LBB73_42
.LBB73_40:                              ;   in Loop: Header=BB73_28 Depth=1
                                        ; implicit-def: $vgpr10_vgpr11
	s_mov_b32 s17, 0
	s_branch .LBB73_43
.LBB73_41:                              ;   in Loop: Header=BB73_28 Depth=1
	v_mov_b64_e32 v[10:11], 0
.LBB73_42:                              ;   in Loop: Header=BB73_28 Depth=1
	s_mov_b64 s[12:13], s[0:1]
	s_mov_b32 s17, 0
	s_cbranch_execnz .LBB73_44
.LBB73_43:                              ;   in Loop: Header=BB73_28 Depth=1
	global_load_dwordx2 v[10:11], v31, s[0:1]
	s_add_i32 s17, s16, -8
.LBB73_44:                              ;   in Loop: Header=BB73_28 Depth=1
	s_add_u32 s0, s12, 8
	s_addc_u32 s1, s13, 0
	s_cmp_gt_u32 s17, 7
	s_cbranch_scc1 .LBB73_48
; %bb.45:                               ;   in Loop: Header=BB73_28 Depth=1
	s_cmp_eq_u32 s17, 0
	s_cbranch_scc1 .LBB73_49
; %bb.46:                               ;   in Loop: Header=BB73_28 Depth=1
	s_mov_b64 s[0:1], 0
	v_mov_b64_e32 v[12:13], 0
	s_mov_b64 s[14:15], 0
.LBB73_47:                              ;   Parent Loop BB73_28 Depth=1
                                        ; =>  This Inner Loop Header: Depth=2
	s_add_u32 s18, s12, s14
	s_addc_u32 s19, s13, s15
	global_load_ubyte v6, v31, s[18:19]
	s_add_u32 s14, s14, 1
	s_addc_u32 s15, s15, 0
	s_waitcnt vmcnt(0)
	v_and_b32_e32 v30, 0xffff, v6
	v_lshlrev_b64 v[6:7], s0, v[30:31]
	s_add_u32 s0, s0, 8
	s_addc_u32 s1, s1, 0
	v_or_b32_e32 v12, v6, v12
	s_cmp_lg_u32 s17, s14
	v_or_b32_e32 v13, v7, v13
	s_cbranch_scc1 .LBB73_47
	s_branch .LBB73_50
.LBB73_48:                              ;   in Loop: Header=BB73_28 Depth=1
	s_mov_b32 s16, 0
	s_branch .LBB73_51
.LBB73_49:                              ;   in Loop: Header=BB73_28 Depth=1
	v_mov_b64_e32 v[12:13], 0
.LBB73_50:                              ;   in Loop: Header=BB73_28 Depth=1
	s_mov_b64 s[0:1], s[12:13]
	s_mov_b32 s16, 0
	s_cbranch_execnz .LBB73_52
.LBB73_51:                              ;   in Loop: Header=BB73_28 Depth=1
	global_load_dwordx2 v[12:13], v31, s[12:13]
	s_add_i32 s16, s17, -8
.LBB73_52:                              ;   in Loop: Header=BB73_28 Depth=1
	s_add_u32 s12, s0, 8
	s_addc_u32 s13, s1, 0
	s_cmp_gt_u32 s16, 7
	s_cbranch_scc1 .LBB73_56
; %bb.53:                               ;   in Loop: Header=BB73_28 Depth=1
	s_cmp_eq_u32 s16, 0
	s_cbranch_scc1 .LBB73_57
; %bb.54:                               ;   in Loop: Header=BB73_28 Depth=1
	s_mov_b64 s[12:13], 0
	v_mov_b64_e32 v[14:15], 0
	s_mov_b64 s[14:15], 0
.LBB73_55:                              ;   Parent Loop BB73_28 Depth=1
                                        ; =>  This Inner Loop Header: Depth=2
	s_add_u32 s18, s0, s14
	s_addc_u32 s19, s1, s15
	global_load_ubyte v6, v31, s[18:19]
	s_add_u32 s14, s14, 1
	s_addc_u32 s15, s15, 0
	s_waitcnt vmcnt(0)
	v_and_b32_e32 v30, 0xffff, v6
	v_lshlrev_b64 v[6:7], s12, v[30:31]
	s_add_u32 s12, s12, 8
	s_addc_u32 s13, s13, 0
	v_or_b32_e32 v14, v6, v14
	s_cmp_lg_u32 s16, s14
	v_or_b32_e32 v15, v7, v15
	s_cbranch_scc1 .LBB73_55
	s_branch .LBB73_58
.LBB73_56:                              ;   in Loop: Header=BB73_28 Depth=1
                                        ; implicit-def: $vgpr14_vgpr15
	s_mov_b32 s17, 0
	s_branch .LBB73_59
.LBB73_57:                              ;   in Loop: Header=BB73_28 Depth=1
	v_mov_b64_e32 v[14:15], 0
.LBB73_58:                              ;   in Loop: Header=BB73_28 Depth=1
	s_mov_b64 s[12:13], s[0:1]
	s_mov_b32 s17, 0
	s_cbranch_execnz .LBB73_60
.LBB73_59:                              ;   in Loop: Header=BB73_28 Depth=1
	global_load_dwordx2 v[14:15], v31, s[0:1]
	s_add_i32 s17, s16, -8
.LBB73_60:                              ;   in Loop: Header=BB73_28 Depth=1
	s_add_u32 s0, s12, 8
	s_addc_u32 s1, s13, 0
	s_cmp_gt_u32 s17, 7
	s_cbranch_scc1 .LBB73_64
; %bb.61:                               ;   in Loop: Header=BB73_28 Depth=1
	s_cmp_eq_u32 s17, 0
	s_cbranch_scc1 .LBB73_65
; %bb.62:                               ;   in Loop: Header=BB73_28 Depth=1
	s_mov_b64 s[0:1], 0
	v_mov_b64_e32 v[16:17], 0
	s_mov_b64 s[14:15], 0
.LBB73_63:                              ;   Parent Loop BB73_28 Depth=1
                                        ; =>  This Inner Loop Header: Depth=2
	s_add_u32 s18, s12, s14
	s_addc_u32 s19, s13, s15
	global_load_ubyte v6, v31, s[18:19]
	s_add_u32 s14, s14, 1
	s_addc_u32 s15, s15, 0
	s_waitcnt vmcnt(0)
	v_and_b32_e32 v30, 0xffff, v6
	v_lshlrev_b64 v[6:7], s0, v[30:31]
	s_add_u32 s0, s0, 8
	s_addc_u32 s1, s1, 0
	v_or_b32_e32 v16, v6, v16
	s_cmp_lg_u32 s17, s14
	v_or_b32_e32 v17, v7, v17
	s_cbranch_scc1 .LBB73_63
	s_branch .LBB73_66
.LBB73_64:                              ;   in Loop: Header=BB73_28 Depth=1
	s_mov_b32 s16, 0
	s_branch .LBB73_67
.LBB73_65:                              ;   in Loop: Header=BB73_28 Depth=1
	v_mov_b64_e32 v[16:17], 0
.LBB73_66:                              ;   in Loop: Header=BB73_28 Depth=1
	s_mov_b64 s[0:1], s[12:13]
	s_mov_b32 s16, 0
	s_cbranch_execnz .LBB73_68
.LBB73_67:                              ;   in Loop: Header=BB73_28 Depth=1
	global_load_dwordx2 v[16:17], v31, s[12:13]
	s_add_i32 s16, s17, -8
.LBB73_68:                              ;   in Loop: Header=BB73_28 Depth=1
	s_add_u32 s12, s0, 8
	s_addc_u32 s13, s1, 0
	s_cmp_gt_u32 s16, 7
	s_cbranch_scc1 .LBB73_72
; %bb.69:                               ;   in Loop: Header=BB73_28 Depth=1
	s_cmp_eq_u32 s16, 0
	s_cbranch_scc1 .LBB73_73
; %bb.70:                               ;   in Loop: Header=BB73_28 Depth=1
	s_mov_b64 s[12:13], 0
	v_mov_b64_e32 v[18:19], 0
	s_mov_b64 s[14:15], 0
.LBB73_71:                              ;   Parent Loop BB73_28 Depth=1
                                        ; =>  This Inner Loop Header: Depth=2
	s_add_u32 s18, s0, s14
	s_addc_u32 s19, s1, s15
	global_load_ubyte v6, v31, s[18:19]
	s_add_u32 s14, s14, 1
	s_addc_u32 s15, s15, 0
	s_waitcnt vmcnt(0)
	v_and_b32_e32 v30, 0xffff, v6
	v_lshlrev_b64 v[6:7], s12, v[30:31]
	s_add_u32 s12, s12, 8
	s_addc_u32 s13, s13, 0
	v_or_b32_e32 v18, v6, v18
	s_cmp_lg_u32 s16, s14
	v_or_b32_e32 v19, v7, v19
	s_cbranch_scc1 .LBB73_71
	s_branch .LBB73_74
.LBB73_72:                              ;   in Loop: Header=BB73_28 Depth=1
                                        ; implicit-def: $vgpr18_vgpr19
	s_mov_b32 s17, 0
	s_branch .LBB73_75
.LBB73_73:                              ;   in Loop: Header=BB73_28 Depth=1
	v_mov_b64_e32 v[18:19], 0
.LBB73_74:                              ;   in Loop: Header=BB73_28 Depth=1
	s_mov_b64 s[12:13], s[0:1]
	s_mov_b32 s17, 0
	s_cbranch_execnz .LBB73_76
.LBB73_75:                              ;   in Loop: Header=BB73_28 Depth=1
	global_load_dwordx2 v[18:19], v31, s[0:1]
	s_add_i32 s17, s16, -8
.LBB73_76:                              ;   in Loop: Header=BB73_28 Depth=1
	s_cmp_gt_u32 s17, 7
	s_cbranch_scc1 .LBB73_80
; %bb.77:                               ;   in Loop: Header=BB73_28 Depth=1
	s_cmp_eq_u32 s17, 0
	s_cbranch_scc1 .LBB73_81
; %bb.78:                               ;   in Loop: Header=BB73_28 Depth=1
	s_mov_b64 s[0:1], 0
	v_mov_b64_e32 v[20:21], 0
	s_mov_b64 s[14:15], s[12:13]
.LBB73_79:                              ;   Parent Loop BB73_28 Depth=1
                                        ; =>  This Inner Loop Header: Depth=2
	global_load_ubyte v6, v31, s[14:15]
	s_add_i32 s17, s17, -1
	s_waitcnt vmcnt(0)
	v_and_b32_e32 v30, 0xffff, v6
	v_lshlrev_b64 v[6:7], s0, v[30:31]
	s_add_u32 s0, s0, 8
	s_addc_u32 s1, s1, 0
	s_add_u32 s14, s14, 1
	s_addc_u32 s15, s15, 0
	v_or_b32_e32 v20, v6, v20
	s_cmp_lg_u32 s17, 0
	v_or_b32_e32 v21, v7, v21
	s_cbranch_scc1 .LBB73_79
	s_branch .LBB73_82
.LBB73_80:                              ;   in Loop: Header=BB73_28 Depth=1
	s_branch .LBB73_83
.LBB73_81:                              ;   in Loop: Header=BB73_28 Depth=1
	v_mov_b64_e32 v[20:21], 0
.LBB73_82:                              ;   in Loop: Header=BB73_28 Depth=1
	s_cbranch_execnz .LBB73_84
.LBB73_83:                              ;   in Loop: Header=BB73_28 Depth=1
	global_load_dwordx2 v[20:21], v31, s[12:13]
.LBB73_84:                              ;   in Loop: Header=BB73_28 Depth=1
	v_readfirstlane_b32 s0, v29
	v_mov_b64_e32 v[6:7], 0
	s_nop 0
	v_cmp_eq_u32_e64 s[0:1], s0, v29
	s_and_saveexec_b64 s[12:13], s[0:1]
	s_cbranch_execz .LBB73_90
; %bb.85:                               ;   in Loop: Header=BB73_28 Depth=1
	global_load_dwordx2 v[24:25], v31, s[2:3] offset:24 sc0 sc1
	s_waitcnt vmcnt(0)
	buffer_inv sc0 sc1
	global_load_dwordx2 v[6:7], v31, s[2:3] offset:40
	global_load_dwordx2 v[22:23], v31, s[2:3]
	s_waitcnt vmcnt(1)
	v_and_b32_e32 v6, v6, v24
	v_and_b32_e32 v7, v7, v25
	v_mul_lo_u32 v7, v7, 24
	v_mul_hi_u32 v27, v6, 24
	v_add_u32_e32 v7, v27, v7
	v_mul_lo_u32 v6, v6, 24
	s_waitcnt vmcnt(0)
	v_lshl_add_u64 v[6:7], v[22:23], 0, v[6:7]
	global_load_dwordx2 v[22:23], v[6:7], off sc0 sc1
	s_waitcnt vmcnt(0)
	global_atomic_cmpswap_x2 v[6:7], v31, v[22:25], s[2:3] offset:24 sc0 sc1
	s_waitcnt vmcnt(0)
	buffer_inv sc0 sc1
	v_cmp_ne_u64_e32 vcc, v[6:7], v[24:25]
	s_and_saveexec_b64 s[14:15], vcc
	s_cbranch_execz .LBB73_89
; %bb.86:                               ;   in Loop: Header=BB73_28 Depth=1
	s_mov_b64 s[16:17], 0
.LBB73_87:                              ;   Parent Loop BB73_28 Depth=1
                                        ; =>  This Inner Loop Header: Depth=2
	s_sleep 1
	global_load_dwordx2 v[22:23], v31, s[2:3] offset:40
	global_load_dwordx2 v[32:33], v31, s[2:3]
	v_mov_b64_e32 v[24:25], v[6:7]
	s_waitcnt vmcnt(1)
	v_and_b32_e32 v6, v22, v24
	s_waitcnt vmcnt(0)
	v_mad_u64_u32 v[6:7], s[18:19], v6, 24, v[32:33]
	v_and_b32_e32 v23, v23, v25
	v_mov_b32_e32 v22, v7
	v_mad_u64_u32 v[22:23], s[18:19], v23, 24, v[22:23]
	v_mov_b32_e32 v7, v22
	global_load_dwordx2 v[22:23], v[6:7], off sc0 sc1
	s_waitcnt vmcnt(0)
	global_atomic_cmpswap_x2 v[6:7], v31, v[22:25], s[2:3] offset:24 sc0 sc1
	s_waitcnt vmcnt(0)
	buffer_inv sc0 sc1
	v_cmp_eq_u64_e32 vcc, v[6:7], v[24:25]
	s_or_b64 s[16:17], vcc, s[16:17]
	s_andn2_b64 exec, exec, s[16:17]
	s_cbranch_execnz .LBB73_87
; %bb.88:                               ;   in Loop: Header=BB73_28 Depth=1
	s_or_b64 exec, exec, s[16:17]
.LBB73_89:                              ;   in Loop: Header=BB73_28 Depth=1
	s_or_b64 exec, exec, s[14:15]
.LBB73_90:                              ;   in Loop: Header=BB73_28 Depth=1
	s_or_b64 exec, exec, s[12:13]
	global_load_dwordx2 v[32:33], v31, s[2:3] offset:40
	global_load_dwordx4 v[22:25], v31, s[2:3]
	v_readfirstlane_b32 s13, v7
	v_readfirstlane_b32 s12, v6
	s_mov_b64 s[14:15], exec
	s_waitcnt vmcnt(1)
	v_readfirstlane_b32 s16, v32
	v_readfirstlane_b32 s17, v33
	s_and_b64 s[16:17], s[16:17], s[12:13]
	s_mul_i32 s18, s17, 24
	s_mul_hi_u32 s19, s16, 24
	s_add_i32 s19, s19, s18
	s_mul_i32 s18, s16, 24
	s_waitcnt vmcnt(0)
	v_lshl_add_u64 v[32:33], v[22:23], 0, s[18:19]
	s_and_saveexec_b64 s[18:19], s[0:1]
	s_cbranch_execz .LBB73_92
; %bb.91:                               ;   in Loop: Header=BB73_28 Depth=1
	v_mov_b64_e32 v[6:7], s[14:15]
	global_store_dwordx4 v[32:33], v[6:9], off offset:8
.LBB73_92:                              ;   in Loop: Header=BB73_28 Depth=1
	s_or_b64 exec, exec, s[18:19]
	s_lshl_b64 s[14:15], s[16:17], 12
	v_lshl_add_u64 v[6:7], v[24:25], 0, s[14:15]
	v_cmp_lt_u64_e64 vcc, s[6:7], 57
	s_lshl_b32 s14, s10, 2
	s_add_i32 s14, s14, 28
	v_cndmask_b32_e32 v24, 0, v28, vcc
	v_and_b32_e32 v0, 0xffffff1f, v0
	s_and_b32 s14, s14, 0x1e0
	v_or_b32_e32 v0, v0, v24
	v_or_b32_e32 v0, s14, v0
	v_readfirstlane_b32 s14, v6
	v_readfirstlane_b32 s15, v7
	s_nop 4
	global_store_dwordx4 v26, v[0:3], s[14:15]
	global_store_dwordx4 v26, v[10:13], s[14:15] offset:16
	global_store_dwordx4 v26, v[14:17], s[14:15] offset:32
	global_store_dwordx4 v26, v[18:21], s[14:15] offset:48
	s_and_saveexec_b64 s[14:15], s[0:1]
	s_cbranch_execz .LBB73_100
; %bb.93:                               ;   in Loop: Header=BB73_28 Depth=1
	global_load_dwordx2 v[14:15], v31, s[2:3] offset:32 sc0 sc1
	global_load_dwordx2 v[0:1], v31, s[2:3] offset:40
	v_mov_b32_e32 v12, s12
	v_mov_b32_e32 v13, s13
	s_waitcnt vmcnt(0)
	v_readfirstlane_b32 s16, v0
	v_readfirstlane_b32 s17, v1
	s_and_b64 s[16:17], s[16:17], s[12:13]
	s_mul_i32 s17, s17, 24
	s_mul_hi_u32 s18, s16, 24
	s_mul_i32 s16, s16, 24
	s_add_i32 s17, s18, s17
	v_lshl_add_u64 v[10:11], v[22:23], 0, s[16:17]
	global_store_dwordx2 v[10:11], v[14:15], off
	buffer_wbl2 sc0 sc1
	s_waitcnt vmcnt(0)
	global_atomic_cmpswap_x2 v[2:3], v31, v[12:15], s[2:3] offset:32 sc0 sc1
	s_waitcnt vmcnt(0)
	v_cmp_ne_u64_e32 vcc, v[2:3], v[14:15]
	s_and_saveexec_b64 s[16:17], vcc
	s_cbranch_execz .LBB73_96
; %bb.94:                               ;   in Loop: Header=BB73_28 Depth=1
	s_mov_b64 s[18:19], 0
.LBB73_95:                              ;   Parent Loop BB73_28 Depth=1
                                        ; =>  This Inner Loop Header: Depth=2
	s_sleep 1
	global_store_dwordx2 v[10:11], v[2:3], off
	v_mov_b32_e32 v0, s12
	v_mov_b32_e32 v1, s13
	buffer_wbl2 sc0 sc1
	s_waitcnt vmcnt(0)
	global_atomic_cmpswap_x2 v[0:1], v31, v[0:3], s[2:3] offset:32 sc0 sc1
	s_waitcnt vmcnt(0)
	v_cmp_eq_u64_e32 vcc, v[0:1], v[2:3]
	s_or_b64 s[18:19], vcc, s[18:19]
	v_mov_b64_e32 v[2:3], v[0:1]
	s_andn2_b64 exec, exec, s[18:19]
	s_cbranch_execnz .LBB73_95
.LBB73_96:                              ;   in Loop: Header=BB73_28 Depth=1
	s_or_b64 exec, exec, s[16:17]
	global_load_dwordx2 v[0:1], v31, s[2:3] offset:16
	s_mov_b64 s[18:19], exec
	v_mbcnt_lo_u32_b32 v2, s18, 0
	v_mbcnt_hi_u32_b32 v2, s19, v2
	v_cmp_eq_u32_e32 vcc, 0, v2
	s_and_saveexec_b64 s[16:17], vcc
	s_cbranch_execz .LBB73_98
; %bb.97:                               ;   in Loop: Header=BB73_28 Depth=1
	s_bcnt1_i32_b64 s18, s[18:19]
	v_mov_b32_e32 v30, s18
	buffer_wbl2 sc0 sc1
	s_waitcnt vmcnt(0)
	global_atomic_add_x2 v[0:1], v[30:31], off offset:8 sc1
.LBB73_98:                              ;   in Loop: Header=BB73_28 Depth=1
	s_or_b64 exec, exec, s[16:17]
	s_waitcnt vmcnt(0)
	global_load_dwordx2 v[2:3], v[0:1], off offset:16
	s_waitcnt vmcnt(0)
	v_cmp_eq_u64_e32 vcc, 0, v[2:3]
	s_cbranch_vccnz .LBB73_100
; %bb.99:                               ;   in Loop: Header=BB73_28 Depth=1
	global_load_dword v30, v[0:1], off offset:24
	s_waitcnt vmcnt(0)
	v_readfirstlane_b32 s16, v30
	s_and_b32 m0, s16, 0xffffff
	buffer_wbl2 sc0 sc1
	global_store_dwordx2 v[2:3], v[30:31], off sc0 sc1
	s_sendmsg sendmsg(MSG_INTERRUPT)
.LBB73_100:                             ;   in Loop: Header=BB73_28 Depth=1
	s_or_b64 exec, exec, s[14:15]
	v_mov_b32_e32 v27, v31
	v_lshl_add_u64 v[0:1], v[6:7], 0, v[26:27]
	s_branch .LBB73_104
.LBB73_101:                             ;   in Loop: Header=BB73_104 Depth=2
	s_or_b64 exec, exec, s[14:15]
	v_readfirstlane_b32 s14, v2
	s_cmp_eq_u32 s14, 0
	s_cbranch_scc1 .LBB73_103
; %bb.102:                              ;   in Loop: Header=BB73_104 Depth=2
	s_sleep 1
	s_cbranch_execnz .LBB73_104
	s_branch .LBB73_106
.LBB73_103:                             ;   in Loop: Header=BB73_28 Depth=1
	s_branch .LBB73_106
.LBB73_104:                             ;   Parent Loop BB73_28 Depth=1
                                        ; =>  This Inner Loop Header: Depth=2
	v_mov_b32_e32 v2, 1
	s_and_saveexec_b64 s[14:15], s[0:1]
	s_cbranch_execz .LBB73_101
; %bb.105:                              ;   in Loop: Header=BB73_104 Depth=2
	global_load_dword v2, v[32:33], off offset:20 sc0 sc1
	s_waitcnt vmcnt(0)
	buffer_inv sc0 sc1
	v_and_b32_e32 v2, 1, v2
	s_branch .LBB73_101
.LBB73_106:                             ;   in Loop: Header=BB73_28 Depth=1
	global_load_dwordx2 v[0:1], v[0:1], off
	s_and_saveexec_b64 s[14:15], s[0:1]
	s_cbranch_execz .LBB73_27
; %bb.107:                              ;   in Loop: Header=BB73_28 Depth=1
	global_load_dwordx2 v[2:3], v31, s[2:3] offset:40
	global_load_dwordx2 v[14:15], v31, s[2:3] offset:24 sc0 sc1
	global_load_dwordx2 v[6:7], v31, s[2:3]
	s_waitcnt vmcnt(2)
	v_readfirstlane_b32 s16, v2
	v_readfirstlane_b32 s17, v3
	s_add_u32 s18, s16, 1
	s_addc_u32 s19, s17, 0
	s_add_u32 s0, s18, s12
	s_addc_u32 s1, s19, s13
	s_cmp_eq_u64 s[0:1], 0
	s_cselect_b32 s1, s19, s1
	s_cselect_b32 s0, s18, s0
	s_and_b64 s[12:13], s[0:1], s[16:17]
	s_mul_i32 s13, s13, 24
	s_mul_hi_u32 s16, s12, 24
	s_mul_i32 s12, s12, 24
	s_add_i32 s13, s16, s13
	s_waitcnt vmcnt(0)
	v_lshl_add_u64 v[2:3], v[6:7], 0, s[12:13]
	v_mov_b32_e32 v12, s0
	global_store_dwordx2 v[2:3], v[14:15], off
	v_mov_b32_e32 v13, s1
	buffer_wbl2 sc0 sc1
	s_waitcnt vmcnt(0)
	global_atomic_cmpswap_x2 v[12:13], v31, v[12:15], s[2:3] offset:24 sc0 sc1
	s_waitcnt vmcnt(0)
	v_cmp_ne_u64_e32 vcc, v[12:13], v[14:15]
	s_and_b64 exec, exec, vcc
	s_cbranch_execz .LBB73_27
; %bb.108:                              ;   in Loop: Header=BB73_28 Depth=1
	s_mov_b64 s[12:13], 0
.LBB73_109:                             ;   Parent Loop BB73_28 Depth=1
                                        ; =>  This Inner Loop Header: Depth=2
	s_sleep 1
	global_store_dwordx2 v[2:3], v[12:13], off
	v_mov_b32_e32 v10, s0
	v_mov_b32_e32 v11, s1
	buffer_wbl2 sc0 sc1
	s_waitcnt vmcnt(0)
	global_atomic_cmpswap_x2 v[6:7], v31, v[10:13], s[2:3] offset:24 sc0 sc1
	s_waitcnt vmcnt(0)
	v_cmp_eq_u64_e32 vcc, v[6:7], v[12:13]
	s_or_b64 s[12:13], vcc, s[12:13]
	v_mov_b64_e32 v[12:13], v[6:7]
	s_andn2_b64 exec, exec, s[12:13]
	s_cbranch_execnz .LBB73_109
	s_branch .LBB73_27
.LBB73_110:
                                        ; implicit-def: $vgpr0_vgpr1
	s_cbranch_execnz .LBB73_112
	s_branch .LBB73_138
.LBB73_111:
	s_branch .LBB73_138
.LBB73_112:
	v_readfirstlane_b32 s0, v29
	v_mov_b64_e32 v[6:7], 0
	s_nop 0
	v_cmp_eq_u32_e64 s[0:1], s0, v29
	s_and_saveexec_b64 s[4:5], s[0:1]
	s_cbranch_execz .LBB73_118
; %bb.113:
	s_waitcnt vmcnt(0)
	v_mov_b32_e32 v0, 0
	global_load_dwordx2 v[8:9], v0, s[2:3] offset:24 sc0 sc1
	s_waitcnt vmcnt(0)
	buffer_inv sc0 sc1
	global_load_dwordx2 v[2:3], v0, s[2:3] offset:40
	global_load_dwordx2 v[6:7], v0, s[2:3]
	s_waitcnt vmcnt(1)
	v_and_b32_e32 v1, v2, v8
	v_and_b32_e32 v2, v3, v9
	v_mul_lo_u32 v2, v2, 24
	v_mul_hi_u32 v3, v1, 24
	v_add_u32_e32 v3, v3, v2
	v_mul_lo_u32 v2, v1, 24
	s_waitcnt vmcnt(0)
	v_lshl_add_u64 v[2:3], v[6:7], 0, v[2:3]
	global_load_dwordx2 v[6:7], v[2:3], off sc0 sc1
	s_waitcnt vmcnt(0)
	global_atomic_cmpswap_x2 v[6:7], v0, v[6:9], s[2:3] offset:24 sc0 sc1
	s_waitcnt vmcnt(0)
	buffer_inv sc0 sc1
	v_cmp_ne_u64_e32 vcc, v[6:7], v[8:9]
	s_and_saveexec_b64 s[6:7], vcc
	s_cbranch_execz .LBB73_117
; %bb.114:
	s_mov_b64 s[10:11], 0
.LBB73_115:                             ; =>This Inner Loop Header: Depth=1
	s_sleep 1
	global_load_dwordx2 v[2:3], v0, s[2:3] offset:40
	global_load_dwordx2 v[10:11], v0, s[2:3]
	v_mov_b64_e32 v[8:9], v[6:7]
	s_waitcnt vmcnt(1)
	v_and_b32_e32 v2, v2, v8
	v_and_b32_e32 v1, v3, v9
	s_waitcnt vmcnt(0)
	v_mad_u64_u32 v[2:3], s[12:13], v2, 24, v[10:11]
	v_mov_b32_e32 v6, v3
	v_mad_u64_u32 v[6:7], s[12:13], v1, 24, v[6:7]
	v_mov_b32_e32 v3, v6
	global_load_dwordx2 v[6:7], v[2:3], off sc0 sc1
	s_waitcnt vmcnt(0)
	global_atomic_cmpswap_x2 v[6:7], v0, v[6:9], s[2:3] offset:24 sc0 sc1
	s_waitcnt vmcnt(0)
	buffer_inv sc0 sc1
	v_cmp_eq_u64_e32 vcc, v[6:7], v[8:9]
	s_or_b64 s[10:11], vcc, s[10:11]
	s_andn2_b64 exec, exec, s[10:11]
	s_cbranch_execnz .LBB73_115
; %bb.116:
	s_or_b64 exec, exec, s[10:11]
.LBB73_117:
	s_or_b64 exec, exec, s[6:7]
.LBB73_118:
	s_or_b64 exec, exec, s[4:5]
	v_mov_b32_e32 v27, 0
	global_load_dwordx2 v[8:9], v27, s[2:3] offset:40
	global_load_dwordx4 v[0:3], v27, s[2:3]
	v_readfirstlane_b32 s5, v7
	v_readfirstlane_b32 s4, v6
	s_mov_b64 s[6:7], exec
	s_waitcnt vmcnt(1)
	v_readfirstlane_b32 s10, v8
	v_readfirstlane_b32 s11, v9
	s_and_b64 s[10:11], s[10:11], s[4:5]
	s_mul_i32 s12, s11, 24
	s_mul_hi_u32 s13, s10, 24
	s_add_i32 s13, s13, s12
	s_mul_i32 s12, s10, 24
	s_waitcnt vmcnt(0)
	v_lshl_add_u64 v[8:9], v[0:1], 0, s[12:13]
	s_and_saveexec_b64 s[12:13], s[0:1]
	s_cbranch_execz .LBB73_120
; %bb.119:
	v_mov_b64_e32 v[10:11], s[6:7]
	v_mov_b32_e32 v12, 2
	v_mov_b32_e32 v13, 1
	global_store_dwordx4 v[8:9], v[10:13], off offset:8
.LBB73_120:
	s_or_b64 exec, exec, s[12:13]
	s_lshl_b64 s[6:7], s[10:11], 12
	v_lshl_add_u64 v[10:11], v[2:3], 0, s[6:7]
	s_movk_i32 s6, 0xff1f
	s_mov_b32 s12, 0
	v_and_or_b32 v4, v4, s6, 32
	v_mov_b32_e32 v6, v27
	v_mov_b32_e32 v7, v27
	v_readfirstlane_b32 s6, v10
	v_readfirstlane_b32 s7, v11
	s_mov_b32 s13, s12
	s_mov_b32 s14, s12
	;; [unrolled: 1-line block ×3, first 2 shown]
	s_nop 1
	global_store_dwordx4 v26, v[4:7], s[6:7]
	v_mov_b64_e32 v[2:3], s[12:13]
	s_nop 0
	v_mov_b64_e32 v[4:5], s[14:15]
	global_store_dwordx4 v26, v[2:5], s[6:7] offset:16
	global_store_dwordx4 v26, v[2:5], s[6:7] offset:32
	;; [unrolled: 1-line block ×3, first 2 shown]
	s_and_saveexec_b64 s[6:7], s[0:1]
	s_cbranch_execz .LBB73_128
; %bb.121:
	v_mov_b32_e32 v6, 0
	global_load_dwordx2 v[14:15], v6, s[2:3] offset:32 sc0 sc1
	global_load_dwordx2 v[2:3], v6, s[2:3] offset:40
	v_mov_b32_e32 v12, s4
	v_mov_b32_e32 v13, s5
	s_waitcnt vmcnt(0)
	v_readfirstlane_b32 s10, v2
	v_readfirstlane_b32 s11, v3
	s_and_b64 s[10:11], s[10:11], s[4:5]
	s_mul_i32 s11, s11, 24
	s_mul_hi_u32 s12, s10, 24
	s_mul_i32 s10, s10, 24
	s_add_i32 s11, s12, s11
	v_lshl_add_u64 v[4:5], v[0:1], 0, s[10:11]
	global_store_dwordx2 v[4:5], v[14:15], off
	buffer_wbl2 sc0 sc1
	s_waitcnt vmcnt(0)
	global_atomic_cmpswap_x2 v[2:3], v6, v[12:15], s[2:3] offset:32 sc0 sc1
	s_waitcnt vmcnt(0)
	v_cmp_ne_u64_e32 vcc, v[2:3], v[14:15]
	s_and_saveexec_b64 s[10:11], vcc
	s_cbranch_execz .LBB73_124
; %bb.122:
	s_mov_b64 s[12:13], 0
.LBB73_123:                             ; =>This Inner Loop Header: Depth=1
	s_sleep 1
	global_store_dwordx2 v[4:5], v[2:3], off
	v_mov_b32_e32 v0, s4
	v_mov_b32_e32 v1, s5
	buffer_wbl2 sc0 sc1
	s_waitcnt vmcnt(0)
	global_atomic_cmpswap_x2 v[0:1], v6, v[0:3], s[2:3] offset:32 sc0 sc1
	s_waitcnt vmcnt(0)
	v_cmp_eq_u64_e32 vcc, v[0:1], v[2:3]
	s_or_b64 s[12:13], vcc, s[12:13]
	v_mov_b64_e32 v[2:3], v[0:1]
	s_andn2_b64 exec, exec, s[12:13]
	s_cbranch_execnz .LBB73_123
.LBB73_124:
	s_or_b64 exec, exec, s[10:11]
	v_mov_b32_e32 v3, 0
	global_load_dwordx2 v[0:1], v3, s[2:3] offset:16
	s_mov_b64 s[10:11], exec
	v_mbcnt_lo_u32_b32 v2, s10, 0
	v_mbcnt_hi_u32_b32 v2, s11, v2
	v_cmp_eq_u32_e32 vcc, 0, v2
	s_and_saveexec_b64 s[12:13], vcc
	s_cbranch_execz .LBB73_126
; %bb.125:
	s_bcnt1_i32_b64 s10, s[10:11]
	v_mov_b32_e32 v2, s10
	buffer_wbl2 sc0 sc1
	s_waitcnt vmcnt(0)
	global_atomic_add_x2 v[0:1], v[2:3], off offset:8 sc1
.LBB73_126:
	s_or_b64 exec, exec, s[12:13]
	s_waitcnt vmcnt(0)
	global_load_dwordx2 v[2:3], v[0:1], off offset:16
	s_waitcnt vmcnt(0)
	v_cmp_eq_u64_e32 vcc, 0, v[2:3]
	s_cbranch_vccnz .LBB73_128
; %bb.127:
	global_load_dword v0, v[0:1], off offset:24
	v_mov_b32_e32 v1, 0
	s_waitcnt vmcnt(0)
	v_readfirstlane_b32 s10, v0
	s_and_b32 m0, s10, 0xffffff
	buffer_wbl2 sc0 sc1
	global_store_dwordx2 v[2:3], v[0:1], off sc0 sc1
	s_sendmsg sendmsg(MSG_INTERRUPT)
.LBB73_128:
	s_or_b64 exec, exec, s[6:7]
	v_lshl_add_u64 v[0:1], v[10:11], 0, v[26:27]
	s_branch .LBB73_132
.LBB73_129:                             ;   in Loop: Header=BB73_132 Depth=1
	s_or_b64 exec, exec, s[6:7]
	v_readfirstlane_b32 s6, v2
	s_cmp_eq_u32 s6, 0
	s_cbranch_scc1 .LBB73_131
; %bb.130:                              ;   in Loop: Header=BB73_132 Depth=1
	s_sleep 1
	s_cbranch_execnz .LBB73_132
	s_branch .LBB73_134
.LBB73_131:
	s_branch .LBB73_134
.LBB73_132:                             ; =>This Inner Loop Header: Depth=1
	v_mov_b32_e32 v2, 1
	s_and_saveexec_b64 s[6:7], s[0:1]
	s_cbranch_execz .LBB73_129
; %bb.133:                              ;   in Loop: Header=BB73_132 Depth=1
	global_load_dword v2, v[8:9], off offset:20 sc0 sc1
	s_waitcnt vmcnt(0)
	buffer_inv sc0 sc1
	v_and_b32_e32 v2, 1, v2
	s_branch .LBB73_129
.LBB73_134:
	global_load_dwordx2 v[0:1], v[0:1], off
	s_and_saveexec_b64 s[6:7], s[0:1]
	s_cbranch_execz .LBB73_137
; %bb.135:
	v_mov_b32_e32 v8, 0
	global_load_dwordx2 v[2:3], v8, s[2:3] offset:40
	global_load_dwordx2 v[12:13], v8, s[2:3] offset:24 sc0 sc1
	global_load_dwordx2 v[4:5], v8, s[2:3]
	s_waitcnt vmcnt(2)
	v_readfirstlane_b32 s10, v2
	v_readfirstlane_b32 s11, v3
	s_add_u32 s12, s10, 1
	s_addc_u32 s13, s11, 0
	s_add_u32 s0, s12, s4
	s_addc_u32 s1, s13, s5
	s_cmp_eq_u64 s[0:1], 0
	s_cselect_b32 s1, s13, s1
	s_cselect_b32 s0, s12, s0
	s_and_b64 s[4:5], s[0:1], s[10:11]
	s_mul_i32 s5, s5, 24
	s_mul_hi_u32 s10, s4, 24
	s_mul_i32 s4, s4, 24
	s_add_i32 s5, s10, s5
	s_waitcnt vmcnt(0)
	v_lshl_add_u64 v[6:7], v[4:5], 0, s[4:5]
	v_mov_b32_e32 v10, s0
	global_store_dwordx2 v[6:7], v[12:13], off
	v_mov_b32_e32 v11, s1
	buffer_wbl2 sc0 sc1
	s_waitcnt vmcnt(0)
	global_atomic_cmpswap_x2 v[4:5], v8, v[10:13], s[2:3] offset:24 sc0 sc1
	s_mov_b64 s[4:5], 0
	s_waitcnt vmcnt(0)
	v_cmp_ne_u64_e32 vcc, v[4:5], v[12:13]
	s_and_b64 exec, exec, vcc
	s_cbranch_execz .LBB73_137
.LBB73_136:                             ; =>This Inner Loop Header: Depth=1
	s_sleep 1
	global_store_dwordx2 v[6:7], v[4:5], off
	v_mov_b32_e32 v2, s0
	v_mov_b32_e32 v3, s1
	buffer_wbl2 sc0 sc1
	s_waitcnt vmcnt(0)
	global_atomic_cmpswap_x2 v[2:3], v8, v[2:5], s[2:3] offset:24 sc0 sc1
	s_waitcnt vmcnt(0)
	v_cmp_eq_u64_e32 vcc, v[2:3], v[4:5]
	s_or_b64 s[4:5], vcc, s[4:5]
	v_mov_b64_e32 v[4:5], v[2:3]
	s_andn2_b64 exec, exec, s[4:5]
	s_cbranch_execnz .LBB73_136
.LBB73_137:
	s_or_b64 exec, exec, s[6:7]
.LBB73_138:
	s_getpc_b64 s[4:5]
	s_add_u32 s4, s4, .str.3@rel32@lo+4
	s_addc_u32 s5, s5, .str.3@rel32@hi+12
	s_cmp_lg_u64 s[4:5], 0
	s_cselect_b64 s[0:1], -1, 0
	s_cmp_eq_u64 s[4:5], 0
	s_mov_b64 s[4:5], 0
	s_cbranch_scc1 .LBB73_142
; %bb.139:
	v_mov_b32_e32 v2, 0
	s_getpc_b64 s[4:5]
	s_add_u32 s4, s4, .str.3@rel32@lo+3
	s_addc_u32 s5, s5, .str.3@rel32@hi+11
.LBB73_140:                             ; =>This Inner Loop Header: Depth=1
	global_load_ubyte v3, v2, s[4:5] offset:1
	s_add_u32 s6, s4, 1
	s_addc_u32 s7, s5, 0
	s_mov_b64 s[4:5], s[6:7]
	s_waitcnt vmcnt(0)
	v_cmp_ne_u32_e32 vcc, 0, v3
	s_cbranch_vccnz .LBB73_140
; %bb.141:
	s_getpc_b64 s[4:5]
	s_add_u32 s4, s4, .str.3@rel32@lo+4
	s_addc_u32 s5, s5, .str.3@rel32@hi+12
	s_sub_u32 s4, s6, s4
	s_subb_u32 s5, s7, s5
	s_add_u32 s4, s4, 1
	s_addc_u32 s5, s5, 0
.LBB73_142:
	s_and_b64 vcc, exec, s[0:1]
	s_cbranch_vccz .LBB73_227
; %bb.143:
	s_waitcnt vmcnt(0)
	v_and_b32_e32 v28, 2, v0
	v_mov_b32_e32 v31, 0
	v_and_b32_e32 v2, -3, v0
	v_mov_b32_e32 v3, v1
	v_mov_b32_e32 v8, 2
	;; [unrolled: 1-line block ×3, first 2 shown]
	s_getpc_b64 s[6:7]
	s_add_u32 s6, s6, .str.3@rel32@lo+4
	s_addc_u32 s7, s7, .str.3@rel32@hi+12
	s_branch .LBB73_145
.LBB73_144:                             ;   in Loop: Header=BB73_145 Depth=1
	s_or_b64 exec, exec, s[14:15]
	s_sub_u32 s4, s4, s10
	s_subb_u32 s5, s5, s11
	s_add_u32 s6, s6, s10
	s_addc_u32 s7, s7, s11
	s_cmp_lg_u64 s[4:5], 0
	s_cbranch_scc0 .LBB73_228
.LBB73_145:                             ; =>This Loop Header: Depth=1
                                        ;     Child Loop BB73_148 Depth 2
                                        ;     Child Loop BB73_156 Depth 2
	;; [unrolled: 1-line block ×11, first 2 shown]
	v_cmp_lt_u64_e64 s[0:1], s[4:5], 56
	s_and_b64 s[0:1], s[0:1], exec
	s_cselect_b32 s11, s5, 0
	s_cselect_b32 s10, s4, 56
	v_cmp_gt_u64_e64 s[12:13], s[4:5], 7
	s_add_u32 s0, s6, 8
	s_addc_u32 s1, s7, 0
	s_and_b64 vcc, exec, s[12:13]
	s_cbranch_vccnz .LBB73_149
; %bb.146:                              ;   in Loop: Header=BB73_145 Depth=1
	s_cmp_eq_u64 s[4:5], 0
	s_cbranch_scc1 .LBB73_150
; %bb.147:                              ;   in Loop: Header=BB73_145 Depth=1
	s_lshl_b64 s[0:1], s[10:11], 3
	s_mov_b64 s[12:13], 0
	v_mov_b64_e32 v[4:5], 0
	s_mov_b64 s[14:15], s[6:7]
.LBB73_148:                             ;   Parent Loop BB73_145 Depth=1
                                        ; =>  This Inner Loop Header: Depth=2
	global_load_ubyte v6, v31, s[14:15]
	s_waitcnt vmcnt(0)
	v_and_b32_e32 v30, 0xffff, v6
	v_lshlrev_b64 v[6:7], s12, v[30:31]
	s_add_u32 s12, s12, 8
	s_addc_u32 s13, s13, 0
	s_add_u32 s14, s14, 1
	s_addc_u32 s15, s15, 0
	v_or_b32_e32 v4, v6, v4
	s_cmp_lg_u32 s0, s12
	v_or_b32_e32 v5, v7, v5
	s_cbranch_scc1 .LBB73_148
	s_branch .LBB73_151
.LBB73_149:                             ;   in Loop: Header=BB73_145 Depth=1
	s_mov_b32 s16, 0
	s_branch .LBB73_152
.LBB73_150:                             ;   in Loop: Header=BB73_145 Depth=1
	v_mov_b64_e32 v[4:5], 0
.LBB73_151:                             ;   in Loop: Header=BB73_145 Depth=1
	s_mov_b64 s[0:1], s[6:7]
	s_mov_b32 s16, 0
	s_cbranch_execnz .LBB73_153
.LBB73_152:                             ;   in Loop: Header=BB73_145 Depth=1
	global_load_dwordx2 v[4:5], v31, s[6:7]
	s_add_i32 s16, s10, -8
.LBB73_153:                             ;   in Loop: Header=BB73_145 Depth=1
	s_add_u32 s12, s0, 8
	s_addc_u32 s13, s1, 0
	s_cmp_gt_u32 s16, 7
	s_cbranch_scc1 .LBB73_157
; %bb.154:                              ;   in Loop: Header=BB73_145 Depth=1
	s_cmp_eq_u32 s16, 0
	s_cbranch_scc1 .LBB73_158
; %bb.155:                              ;   in Loop: Header=BB73_145 Depth=1
	s_mov_b64 s[12:13], 0
	v_mov_b64_e32 v[10:11], 0
	s_mov_b64 s[14:15], 0
.LBB73_156:                             ;   Parent Loop BB73_145 Depth=1
                                        ; =>  This Inner Loop Header: Depth=2
	s_add_u32 s18, s0, s14
	s_addc_u32 s19, s1, s15
	global_load_ubyte v6, v31, s[18:19]
	s_add_u32 s14, s14, 1
	s_addc_u32 s15, s15, 0
	s_waitcnt vmcnt(0)
	v_and_b32_e32 v30, 0xffff, v6
	v_lshlrev_b64 v[6:7], s12, v[30:31]
	s_add_u32 s12, s12, 8
	s_addc_u32 s13, s13, 0
	v_or_b32_e32 v10, v6, v10
	s_cmp_lg_u32 s16, s14
	v_or_b32_e32 v11, v7, v11
	s_cbranch_scc1 .LBB73_156
	s_branch .LBB73_159
.LBB73_157:                             ;   in Loop: Header=BB73_145 Depth=1
                                        ; implicit-def: $vgpr10_vgpr11
	s_mov_b32 s17, 0
	s_branch .LBB73_160
.LBB73_158:                             ;   in Loop: Header=BB73_145 Depth=1
	v_mov_b64_e32 v[10:11], 0
.LBB73_159:                             ;   in Loop: Header=BB73_145 Depth=1
	s_mov_b64 s[12:13], s[0:1]
	s_mov_b32 s17, 0
	s_cbranch_execnz .LBB73_161
.LBB73_160:                             ;   in Loop: Header=BB73_145 Depth=1
	global_load_dwordx2 v[10:11], v31, s[0:1]
	s_add_i32 s17, s16, -8
.LBB73_161:                             ;   in Loop: Header=BB73_145 Depth=1
	s_add_u32 s0, s12, 8
	s_addc_u32 s1, s13, 0
	s_cmp_gt_u32 s17, 7
	s_cbranch_scc1 .LBB73_165
; %bb.162:                              ;   in Loop: Header=BB73_145 Depth=1
	s_cmp_eq_u32 s17, 0
	s_cbranch_scc1 .LBB73_166
; %bb.163:                              ;   in Loop: Header=BB73_145 Depth=1
	s_mov_b64 s[0:1], 0
	v_mov_b64_e32 v[12:13], 0
	s_mov_b64 s[14:15], 0
.LBB73_164:                             ;   Parent Loop BB73_145 Depth=1
                                        ; =>  This Inner Loop Header: Depth=2
	s_add_u32 s18, s12, s14
	s_addc_u32 s19, s13, s15
	global_load_ubyte v6, v31, s[18:19]
	s_add_u32 s14, s14, 1
	s_addc_u32 s15, s15, 0
	s_waitcnt vmcnt(0)
	v_and_b32_e32 v30, 0xffff, v6
	v_lshlrev_b64 v[6:7], s0, v[30:31]
	s_add_u32 s0, s0, 8
	s_addc_u32 s1, s1, 0
	v_or_b32_e32 v12, v6, v12
	s_cmp_lg_u32 s17, s14
	v_or_b32_e32 v13, v7, v13
	s_cbranch_scc1 .LBB73_164
	s_branch .LBB73_167
.LBB73_165:                             ;   in Loop: Header=BB73_145 Depth=1
	s_mov_b32 s16, 0
	s_branch .LBB73_168
.LBB73_166:                             ;   in Loop: Header=BB73_145 Depth=1
	v_mov_b64_e32 v[12:13], 0
.LBB73_167:                             ;   in Loop: Header=BB73_145 Depth=1
	s_mov_b64 s[0:1], s[12:13]
	s_mov_b32 s16, 0
	s_cbranch_execnz .LBB73_169
.LBB73_168:                             ;   in Loop: Header=BB73_145 Depth=1
	global_load_dwordx2 v[12:13], v31, s[12:13]
	s_add_i32 s16, s17, -8
.LBB73_169:                             ;   in Loop: Header=BB73_145 Depth=1
	s_add_u32 s12, s0, 8
	s_addc_u32 s13, s1, 0
	s_cmp_gt_u32 s16, 7
	s_cbranch_scc1 .LBB73_173
; %bb.170:                              ;   in Loop: Header=BB73_145 Depth=1
	s_cmp_eq_u32 s16, 0
	s_cbranch_scc1 .LBB73_174
; %bb.171:                              ;   in Loop: Header=BB73_145 Depth=1
	s_mov_b64 s[12:13], 0
	v_mov_b64_e32 v[14:15], 0
	s_mov_b64 s[14:15], 0
.LBB73_172:                             ;   Parent Loop BB73_145 Depth=1
                                        ; =>  This Inner Loop Header: Depth=2
	s_add_u32 s18, s0, s14
	s_addc_u32 s19, s1, s15
	global_load_ubyte v6, v31, s[18:19]
	s_add_u32 s14, s14, 1
	s_addc_u32 s15, s15, 0
	s_waitcnt vmcnt(0)
	v_and_b32_e32 v30, 0xffff, v6
	v_lshlrev_b64 v[6:7], s12, v[30:31]
	s_add_u32 s12, s12, 8
	s_addc_u32 s13, s13, 0
	v_or_b32_e32 v14, v6, v14
	s_cmp_lg_u32 s16, s14
	v_or_b32_e32 v15, v7, v15
	s_cbranch_scc1 .LBB73_172
	s_branch .LBB73_175
.LBB73_173:                             ;   in Loop: Header=BB73_145 Depth=1
                                        ; implicit-def: $vgpr14_vgpr15
	s_mov_b32 s17, 0
	s_branch .LBB73_176
.LBB73_174:                             ;   in Loop: Header=BB73_145 Depth=1
	v_mov_b64_e32 v[14:15], 0
.LBB73_175:                             ;   in Loop: Header=BB73_145 Depth=1
	s_mov_b64 s[12:13], s[0:1]
	s_mov_b32 s17, 0
	s_cbranch_execnz .LBB73_177
.LBB73_176:                             ;   in Loop: Header=BB73_145 Depth=1
	global_load_dwordx2 v[14:15], v31, s[0:1]
	s_add_i32 s17, s16, -8
.LBB73_177:                             ;   in Loop: Header=BB73_145 Depth=1
	s_add_u32 s0, s12, 8
	s_addc_u32 s1, s13, 0
	s_cmp_gt_u32 s17, 7
	s_cbranch_scc1 .LBB73_181
; %bb.178:                              ;   in Loop: Header=BB73_145 Depth=1
	s_cmp_eq_u32 s17, 0
	s_cbranch_scc1 .LBB73_182
; %bb.179:                              ;   in Loop: Header=BB73_145 Depth=1
	s_mov_b64 s[0:1], 0
	v_mov_b64_e32 v[16:17], 0
	s_mov_b64 s[14:15], 0
.LBB73_180:                             ;   Parent Loop BB73_145 Depth=1
                                        ; =>  This Inner Loop Header: Depth=2
	s_add_u32 s18, s12, s14
	s_addc_u32 s19, s13, s15
	global_load_ubyte v6, v31, s[18:19]
	s_add_u32 s14, s14, 1
	s_addc_u32 s15, s15, 0
	s_waitcnt vmcnt(0)
	v_and_b32_e32 v30, 0xffff, v6
	v_lshlrev_b64 v[6:7], s0, v[30:31]
	s_add_u32 s0, s0, 8
	s_addc_u32 s1, s1, 0
	v_or_b32_e32 v16, v6, v16
	s_cmp_lg_u32 s17, s14
	v_or_b32_e32 v17, v7, v17
	s_cbranch_scc1 .LBB73_180
	s_branch .LBB73_183
.LBB73_181:                             ;   in Loop: Header=BB73_145 Depth=1
	s_mov_b32 s16, 0
	s_branch .LBB73_184
.LBB73_182:                             ;   in Loop: Header=BB73_145 Depth=1
	v_mov_b64_e32 v[16:17], 0
.LBB73_183:                             ;   in Loop: Header=BB73_145 Depth=1
	s_mov_b64 s[0:1], s[12:13]
	s_mov_b32 s16, 0
	s_cbranch_execnz .LBB73_185
.LBB73_184:                             ;   in Loop: Header=BB73_145 Depth=1
	global_load_dwordx2 v[16:17], v31, s[12:13]
	s_add_i32 s16, s17, -8
.LBB73_185:                             ;   in Loop: Header=BB73_145 Depth=1
	s_add_u32 s12, s0, 8
	s_addc_u32 s13, s1, 0
	s_cmp_gt_u32 s16, 7
	s_cbranch_scc1 .LBB73_189
; %bb.186:                              ;   in Loop: Header=BB73_145 Depth=1
	s_cmp_eq_u32 s16, 0
	s_cbranch_scc1 .LBB73_190
; %bb.187:                              ;   in Loop: Header=BB73_145 Depth=1
	s_mov_b64 s[12:13], 0
	v_mov_b64_e32 v[18:19], 0
	s_mov_b64 s[14:15], 0
.LBB73_188:                             ;   Parent Loop BB73_145 Depth=1
                                        ; =>  This Inner Loop Header: Depth=2
	s_add_u32 s18, s0, s14
	s_addc_u32 s19, s1, s15
	global_load_ubyte v6, v31, s[18:19]
	s_add_u32 s14, s14, 1
	s_addc_u32 s15, s15, 0
	s_waitcnt vmcnt(0)
	v_and_b32_e32 v30, 0xffff, v6
	v_lshlrev_b64 v[6:7], s12, v[30:31]
	s_add_u32 s12, s12, 8
	s_addc_u32 s13, s13, 0
	v_or_b32_e32 v18, v6, v18
	s_cmp_lg_u32 s16, s14
	v_or_b32_e32 v19, v7, v19
	s_cbranch_scc1 .LBB73_188
	s_branch .LBB73_191
.LBB73_189:                             ;   in Loop: Header=BB73_145 Depth=1
                                        ; implicit-def: $vgpr18_vgpr19
	s_mov_b32 s17, 0
	s_branch .LBB73_192
.LBB73_190:                             ;   in Loop: Header=BB73_145 Depth=1
	v_mov_b64_e32 v[18:19], 0
.LBB73_191:                             ;   in Loop: Header=BB73_145 Depth=1
	s_mov_b64 s[12:13], s[0:1]
	s_mov_b32 s17, 0
	s_cbranch_execnz .LBB73_193
.LBB73_192:                             ;   in Loop: Header=BB73_145 Depth=1
	global_load_dwordx2 v[18:19], v31, s[0:1]
	s_add_i32 s17, s16, -8
.LBB73_193:                             ;   in Loop: Header=BB73_145 Depth=1
	s_cmp_gt_u32 s17, 7
	s_cbranch_scc1 .LBB73_197
; %bb.194:                              ;   in Loop: Header=BB73_145 Depth=1
	s_cmp_eq_u32 s17, 0
	s_cbranch_scc1 .LBB73_198
; %bb.195:                              ;   in Loop: Header=BB73_145 Depth=1
	s_mov_b64 s[0:1], 0
	v_mov_b64_e32 v[20:21], 0
	s_mov_b64 s[14:15], s[12:13]
.LBB73_196:                             ;   Parent Loop BB73_145 Depth=1
                                        ; =>  This Inner Loop Header: Depth=2
	global_load_ubyte v6, v31, s[14:15]
	s_add_i32 s17, s17, -1
	s_waitcnt vmcnt(0)
	v_and_b32_e32 v30, 0xffff, v6
	v_lshlrev_b64 v[6:7], s0, v[30:31]
	s_add_u32 s0, s0, 8
	s_addc_u32 s1, s1, 0
	s_add_u32 s14, s14, 1
	s_addc_u32 s15, s15, 0
	v_or_b32_e32 v20, v6, v20
	s_cmp_lg_u32 s17, 0
	v_or_b32_e32 v21, v7, v21
	s_cbranch_scc1 .LBB73_196
	s_branch .LBB73_199
.LBB73_197:                             ;   in Loop: Header=BB73_145 Depth=1
	s_branch .LBB73_200
.LBB73_198:                             ;   in Loop: Header=BB73_145 Depth=1
	v_mov_b64_e32 v[20:21], 0
.LBB73_199:                             ;   in Loop: Header=BB73_145 Depth=1
	s_cbranch_execnz .LBB73_201
.LBB73_200:                             ;   in Loop: Header=BB73_145 Depth=1
	global_load_dwordx2 v[20:21], v31, s[12:13]
.LBB73_201:                             ;   in Loop: Header=BB73_145 Depth=1
	v_readfirstlane_b32 s0, v29
	v_mov_b64_e32 v[6:7], 0
	s_nop 0
	v_cmp_eq_u32_e64 s[0:1], s0, v29
	s_and_saveexec_b64 s[12:13], s[0:1]
	s_cbranch_execz .LBB73_207
; %bb.202:                              ;   in Loop: Header=BB73_145 Depth=1
	global_load_dwordx2 v[24:25], v31, s[2:3] offset:24 sc0 sc1
	s_waitcnt vmcnt(0)
	buffer_inv sc0 sc1
	global_load_dwordx2 v[6:7], v31, s[2:3] offset:40
	global_load_dwordx2 v[22:23], v31, s[2:3]
	s_waitcnt vmcnt(1)
	v_and_b32_e32 v6, v6, v24
	v_and_b32_e32 v7, v7, v25
	v_mul_lo_u32 v7, v7, 24
	v_mul_hi_u32 v27, v6, 24
	v_add_u32_e32 v7, v27, v7
	v_mul_lo_u32 v6, v6, 24
	s_waitcnt vmcnt(0)
	v_lshl_add_u64 v[6:7], v[22:23], 0, v[6:7]
	global_load_dwordx2 v[22:23], v[6:7], off sc0 sc1
	s_waitcnt vmcnt(0)
	global_atomic_cmpswap_x2 v[6:7], v31, v[22:25], s[2:3] offset:24 sc0 sc1
	s_waitcnt vmcnt(0)
	buffer_inv sc0 sc1
	v_cmp_ne_u64_e32 vcc, v[6:7], v[24:25]
	s_and_saveexec_b64 s[14:15], vcc
	s_cbranch_execz .LBB73_206
; %bb.203:                              ;   in Loop: Header=BB73_145 Depth=1
	s_mov_b64 s[16:17], 0
.LBB73_204:                             ;   Parent Loop BB73_145 Depth=1
                                        ; =>  This Inner Loop Header: Depth=2
	s_sleep 1
	global_load_dwordx2 v[22:23], v31, s[2:3] offset:40
	global_load_dwordx2 v[32:33], v31, s[2:3]
	v_mov_b64_e32 v[24:25], v[6:7]
	s_waitcnt vmcnt(1)
	v_and_b32_e32 v6, v22, v24
	s_waitcnt vmcnt(0)
	v_mad_u64_u32 v[6:7], s[18:19], v6, 24, v[32:33]
	v_and_b32_e32 v23, v23, v25
	v_mov_b32_e32 v22, v7
	v_mad_u64_u32 v[22:23], s[18:19], v23, 24, v[22:23]
	v_mov_b32_e32 v7, v22
	global_load_dwordx2 v[22:23], v[6:7], off sc0 sc1
	s_waitcnt vmcnt(0)
	global_atomic_cmpswap_x2 v[6:7], v31, v[22:25], s[2:3] offset:24 sc0 sc1
	s_waitcnt vmcnt(0)
	buffer_inv sc0 sc1
	v_cmp_eq_u64_e32 vcc, v[6:7], v[24:25]
	s_or_b64 s[16:17], vcc, s[16:17]
	s_andn2_b64 exec, exec, s[16:17]
	s_cbranch_execnz .LBB73_204
; %bb.205:                              ;   in Loop: Header=BB73_145 Depth=1
	s_or_b64 exec, exec, s[16:17]
.LBB73_206:                             ;   in Loop: Header=BB73_145 Depth=1
	s_or_b64 exec, exec, s[14:15]
.LBB73_207:                             ;   in Loop: Header=BB73_145 Depth=1
	s_or_b64 exec, exec, s[12:13]
	global_load_dwordx2 v[32:33], v31, s[2:3] offset:40
	global_load_dwordx4 v[22:25], v31, s[2:3]
	v_readfirstlane_b32 s13, v7
	v_readfirstlane_b32 s12, v6
	s_mov_b64 s[14:15], exec
	s_waitcnt vmcnt(1)
	v_readfirstlane_b32 s16, v32
	v_readfirstlane_b32 s17, v33
	s_and_b64 s[16:17], s[16:17], s[12:13]
	s_mul_i32 s18, s17, 24
	s_mul_hi_u32 s19, s16, 24
	s_add_i32 s19, s19, s18
	s_mul_i32 s18, s16, 24
	s_waitcnt vmcnt(0)
	v_lshl_add_u64 v[32:33], v[22:23], 0, s[18:19]
	s_and_saveexec_b64 s[18:19], s[0:1]
	s_cbranch_execz .LBB73_209
; %bb.208:                              ;   in Loop: Header=BB73_145 Depth=1
	v_mov_b64_e32 v[6:7], s[14:15]
	global_store_dwordx4 v[32:33], v[6:9], off offset:8
.LBB73_209:                             ;   in Loop: Header=BB73_145 Depth=1
	s_or_b64 exec, exec, s[18:19]
	s_lshl_b64 s[14:15], s[16:17], 12
	v_lshl_add_u64 v[6:7], v[24:25], 0, s[14:15]
	v_cmp_lt_u64_e64 vcc, s[4:5], 57
	s_lshl_b32 s14, s10, 2
	s_add_i32 s14, s14, 28
	v_cndmask_b32_e32 v24, 0, v28, vcc
	v_and_b32_e32 v2, 0xffffff1f, v2
	s_and_b32 s14, s14, 0x1e0
	v_or_b32_e32 v2, v2, v24
	v_or_b32_e32 v2, s14, v2
	v_readfirstlane_b32 s14, v6
	v_readfirstlane_b32 s15, v7
	s_nop 4
	global_store_dwordx4 v26, v[2:5], s[14:15]
	global_store_dwordx4 v26, v[10:13], s[14:15] offset:16
	global_store_dwordx4 v26, v[14:17], s[14:15] offset:32
	global_store_dwordx4 v26, v[18:21], s[14:15] offset:48
	s_and_saveexec_b64 s[14:15], s[0:1]
	s_cbranch_execz .LBB73_217
; %bb.210:                              ;   in Loop: Header=BB73_145 Depth=1
	global_load_dwordx2 v[14:15], v31, s[2:3] offset:32 sc0 sc1
	global_load_dwordx2 v[2:3], v31, s[2:3] offset:40
	v_mov_b32_e32 v12, s12
	v_mov_b32_e32 v13, s13
	s_waitcnt vmcnt(0)
	v_readfirstlane_b32 s16, v2
	v_readfirstlane_b32 s17, v3
	s_and_b64 s[16:17], s[16:17], s[12:13]
	s_mul_i32 s17, s17, 24
	s_mul_hi_u32 s18, s16, 24
	s_mul_i32 s16, s16, 24
	s_add_i32 s17, s18, s17
	v_lshl_add_u64 v[10:11], v[22:23], 0, s[16:17]
	global_store_dwordx2 v[10:11], v[14:15], off
	buffer_wbl2 sc0 sc1
	s_waitcnt vmcnt(0)
	global_atomic_cmpswap_x2 v[4:5], v31, v[12:15], s[2:3] offset:32 sc0 sc1
	s_waitcnt vmcnt(0)
	v_cmp_ne_u64_e32 vcc, v[4:5], v[14:15]
	s_and_saveexec_b64 s[16:17], vcc
	s_cbranch_execz .LBB73_213
; %bb.211:                              ;   in Loop: Header=BB73_145 Depth=1
	s_mov_b64 s[18:19], 0
.LBB73_212:                             ;   Parent Loop BB73_145 Depth=1
                                        ; =>  This Inner Loop Header: Depth=2
	s_sleep 1
	global_store_dwordx2 v[10:11], v[4:5], off
	v_mov_b32_e32 v2, s12
	v_mov_b32_e32 v3, s13
	buffer_wbl2 sc0 sc1
	s_waitcnt vmcnt(0)
	global_atomic_cmpswap_x2 v[2:3], v31, v[2:5], s[2:3] offset:32 sc0 sc1
	s_waitcnt vmcnt(0)
	v_cmp_eq_u64_e32 vcc, v[2:3], v[4:5]
	s_or_b64 s[18:19], vcc, s[18:19]
	v_mov_b64_e32 v[4:5], v[2:3]
	s_andn2_b64 exec, exec, s[18:19]
	s_cbranch_execnz .LBB73_212
.LBB73_213:                             ;   in Loop: Header=BB73_145 Depth=1
	s_or_b64 exec, exec, s[16:17]
	global_load_dwordx2 v[2:3], v31, s[2:3] offset:16
	s_mov_b64 s[18:19], exec
	v_mbcnt_lo_u32_b32 v4, s18, 0
	v_mbcnt_hi_u32_b32 v4, s19, v4
	v_cmp_eq_u32_e32 vcc, 0, v4
	s_and_saveexec_b64 s[16:17], vcc
	s_cbranch_execz .LBB73_215
; %bb.214:                              ;   in Loop: Header=BB73_145 Depth=1
	s_bcnt1_i32_b64 s18, s[18:19]
	v_mov_b32_e32 v30, s18
	buffer_wbl2 sc0 sc1
	s_waitcnt vmcnt(0)
	global_atomic_add_x2 v[2:3], v[30:31], off offset:8 sc1
.LBB73_215:                             ;   in Loop: Header=BB73_145 Depth=1
	s_or_b64 exec, exec, s[16:17]
	s_waitcnt vmcnt(0)
	global_load_dwordx2 v[4:5], v[2:3], off offset:16
	s_waitcnt vmcnt(0)
	v_cmp_eq_u64_e32 vcc, 0, v[4:5]
	s_cbranch_vccnz .LBB73_217
; %bb.216:                              ;   in Loop: Header=BB73_145 Depth=1
	global_load_dword v30, v[2:3], off offset:24
	s_waitcnt vmcnt(0)
	v_readfirstlane_b32 s16, v30
	s_and_b32 m0, s16, 0xffffff
	buffer_wbl2 sc0 sc1
	global_store_dwordx2 v[4:5], v[30:31], off sc0 sc1
	s_sendmsg sendmsg(MSG_INTERRUPT)
.LBB73_217:                             ;   in Loop: Header=BB73_145 Depth=1
	s_or_b64 exec, exec, s[14:15]
	v_mov_b32_e32 v27, v31
	v_lshl_add_u64 v[2:3], v[6:7], 0, v[26:27]
	s_branch .LBB73_221
.LBB73_218:                             ;   in Loop: Header=BB73_221 Depth=2
	s_or_b64 exec, exec, s[14:15]
	v_readfirstlane_b32 s14, v4
	s_cmp_eq_u32 s14, 0
	s_cbranch_scc1 .LBB73_220
; %bb.219:                              ;   in Loop: Header=BB73_221 Depth=2
	s_sleep 1
	s_cbranch_execnz .LBB73_221
	s_branch .LBB73_223
.LBB73_220:                             ;   in Loop: Header=BB73_145 Depth=1
	s_branch .LBB73_223
.LBB73_221:                             ;   Parent Loop BB73_145 Depth=1
                                        ; =>  This Inner Loop Header: Depth=2
	v_mov_b32_e32 v4, 1
	s_and_saveexec_b64 s[14:15], s[0:1]
	s_cbranch_execz .LBB73_218
; %bb.222:                              ;   in Loop: Header=BB73_221 Depth=2
	global_load_dword v4, v[32:33], off offset:20 sc0 sc1
	s_waitcnt vmcnt(0)
	buffer_inv sc0 sc1
	v_and_b32_e32 v4, 1, v4
	s_branch .LBB73_218
.LBB73_223:                             ;   in Loop: Header=BB73_145 Depth=1
	global_load_dwordx2 v[2:3], v[2:3], off
	s_and_saveexec_b64 s[14:15], s[0:1]
	s_cbranch_execz .LBB73_144
; %bb.224:                              ;   in Loop: Header=BB73_145 Depth=1
	global_load_dwordx2 v[4:5], v31, s[2:3] offset:40
	global_load_dwordx2 v[14:15], v31, s[2:3] offset:24 sc0 sc1
	global_load_dwordx2 v[6:7], v31, s[2:3]
	s_waitcnt vmcnt(2)
	v_readfirstlane_b32 s16, v4
	v_readfirstlane_b32 s17, v5
	s_add_u32 s18, s16, 1
	s_addc_u32 s19, s17, 0
	s_add_u32 s0, s18, s12
	s_addc_u32 s1, s19, s13
	s_cmp_eq_u64 s[0:1], 0
	s_cselect_b32 s1, s19, s1
	s_cselect_b32 s0, s18, s0
	s_and_b64 s[12:13], s[0:1], s[16:17]
	s_mul_i32 s13, s13, 24
	s_mul_hi_u32 s16, s12, 24
	s_mul_i32 s12, s12, 24
	s_add_i32 s13, s16, s13
	s_waitcnt vmcnt(0)
	v_lshl_add_u64 v[10:11], v[6:7], 0, s[12:13]
	v_mov_b32_e32 v12, s0
	global_store_dwordx2 v[10:11], v[14:15], off
	v_mov_b32_e32 v13, s1
	buffer_wbl2 sc0 sc1
	s_waitcnt vmcnt(0)
	global_atomic_cmpswap_x2 v[6:7], v31, v[12:15], s[2:3] offset:24 sc0 sc1
	s_waitcnt vmcnt(0)
	v_cmp_ne_u64_e32 vcc, v[6:7], v[14:15]
	s_and_b64 exec, exec, vcc
	s_cbranch_execz .LBB73_144
; %bb.225:                              ;   in Loop: Header=BB73_145 Depth=1
	s_mov_b64 s[12:13], 0
.LBB73_226:                             ;   Parent Loop BB73_145 Depth=1
                                        ; =>  This Inner Loop Header: Depth=2
	s_sleep 1
	global_store_dwordx2 v[10:11], v[6:7], off
	v_mov_b32_e32 v4, s0
	v_mov_b32_e32 v5, s1
	buffer_wbl2 sc0 sc1
	s_waitcnt vmcnt(0)
	global_atomic_cmpswap_x2 v[4:5], v31, v[4:7], s[2:3] offset:24 sc0 sc1
	s_waitcnt vmcnt(0)
	v_cmp_eq_u64_e32 vcc, v[4:5], v[6:7]
	s_or_b64 s[12:13], vcc, s[12:13]
	v_mov_b64_e32 v[6:7], v[4:5]
	s_andn2_b64 exec, exec, s[12:13]
	s_cbranch_execnz .LBB73_226
	s_branch .LBB73_144
.LBB73_227:
                                        ; implicit-def: $vgpr2_vgpr3
	s_cbranch_execnz .LBB73_229
	s_branch .LBB73_255
.LBB73_228:
	s_branch .LBB73_255
.LBB73_229:
	v_readfirstlane_b32 s0, v29
	s_waitcnt vmcnt(0)
	v_mov_b64_e32 v[2:3], 0
	v_cmp_eq_u32_e64 s[0:1], s0, v29
	s_and_saveexec_b64 s[4:5], s[0:1]
	s_cbranch_execz .LBB73_235
; %bb.230:
	v_mov_b32_e32 v4, 0
	global_load_dwordx2 v[8:9], v4, s[2:3] offset:24 sc0 sc1
	s_waitcnt vmcnt(0)
	buffer_inv sc0 sc1
	global_load_dwordx2 v[2:3], v4, s[2:3] offset:40
	global_load_dwordx2 v[6:7], v4, s[2:3]
	s_waitcnt vmcnt(1)
	v_and_b32_e32 v2, v2, v8
	v_and_b32_e32 v3, v3, v9
	v_mul_lo_u32 v3, v3, 24
	v_mul_hi_u32 v5, v2, 24
	v_add_u32_e32 v3, v5, v3
	v_mul_lo_u32 v2, v2, 24
	s_waitcnt vmcnt(0)
	v_lshl_add_u64 v[2:3], v[6:7], 0, v[2:3]
	global_load_dwordx2 v[6:7], v[2:3], off sc0 sc1
	s_waitcnt vmcnt(0)
	global_atomic_cmpswap_x2 v[2:3], v4, v[6:9], s[2:3] offset:24 sc0 sc1
	s_waitcnt vmcnt(0)
	buffer_inv sc0 sc1
	v_cmp_ne_u64_e32 vcc, v[2:3], v[8:9]
	s_and_saveexec_b64 s[6:7], vcc
	s_cbranch_execz .LBB73_234
; %bb.231:
	s_mov_b64 s[10:11], 0
.LBB73_232:                             ; =>This Inner Loop Header: Depth=1
	s_sleep 1
	global_load_dwordx2 v[6:7], v4, s[2:3] offset:40
	global_load_dwordx2 v[10:11], v4, s[2:3]
	v_mov_b64_e32 v[8:9], v[2:3]
	s_waitcnt vmcnt(1)
	v_and_b32_e32 v2, v6, v8
	s_waitcnt vmcnt(0)
	v_mad_u64_u32 v[2:3], s[12:13], v2, 24, v[10:11]
	v_and_b32_e32 v5, v7, v9
	v_mov_b32_e32 v6, v3
	v_mad_u64_u32 v[6:7], s[12:13], v5, 24, v[6:7]
	v_mov_b32_e32 v3, v6
	global_load_dwordx2 v[6:7], v[2:3], off sc0 sc1
	s_waitcnt vmcnt(0)
	global_atomic_cmpswap_x2 v[2:3], v4, v[6:9], s[2:3] offset:24 sc0 sc1
	s_waitcnt vmcnt(0)
	buffer_inv sc0 sc1
	v_cmp_eq_u64_e32 vcc, v[2:3], v[8:9]
	s_or_b64 s[10:11], vcc, s[10:11]
	s_andn2_b64 exec, exec, s[10:11]
	s_cbranch_execnz .LBB73_232
; %bb.233:
	s_or_b64 exec, exec, s[10:11]
.LBB73_234:
	s_or_b64 exec, exec, s[6:7]
.LBB73_235:
	s_or_b64 exec, exec, s[4:5]
	v_mov_b32_e32 v27, 0
	global_load_dwordx2 v[8:9], v27, s[2:3] offset:40
	global_load_dwordx4 v[4:7], v27, s[2:3]
	v_readfirstlane_b32 s5, v3
	v_readfirstlane_b32 s4, v2
	s_mov_b64 s[6:7], exec
	s_waitcnt vmcnt(1)
	v_readfirstlane_b32 s10, v8
	v_readfirstlane_b32 s11, v9
	s_and_b64 s[10:11], s[10:11], s[4:5]
	s_mul_i32 s12, s11, 24
	s_mul_hi_u32 s13, s10, 24
	s_add_i32 s13, s13, s12
	s_mul_i32 s12, s10, 24
	s_waitcnt vmcnt(0)
	v_lshl_add_u64 v[8:9], v[4:5], 0, s[12:13]
	s_and_saveexec_b64 s[12:13], s[0:1]
	s_cbranch_execz .LBB73_237
; %bb.236:
	v_mov_b64_e32 v[10:11], s[6:7]
	v_mov_b32_e32 v12, 2
	v_mov_b32_e32 v13, 1
	global_store_dwordx4 v[8:9], v[10:13], off offset:8
.LBB73_237:
	s_or_b64 exec, exec, s[12:13]
	s_lshl_b64 s[6:7], s[10:11], 12
	v_lshl_add_u64 v[6:7], v[6:7], 0, s[6:7]
	s_movk_i32 s6, 0xff1f
	s_mov_b32 s12, 0
	v_and_or_b32 v0, v0, s6, 32
	v_mov_b32_e32 v2, v27
	v_mov_b32_e32 v3, v27
	v_readfirstlane_b32 s6, v6
	v_readfirstlane_b32 s7, v7
	s_mov_b32 s13, s12
	s_mov_b32 s14, s12
	;; [unrolled: 1-line block ×3, first 2 shown]
	s_nop 1
	global_store_dwordx4 v26, v[0:3], s[6:7]
	s_nop 1
	v_mov_b64_e32 v[0:1], s[12:13]
	v_mov_b64_e32 v[2:3], s[14:15]
	global_store_dwordx4 v26, v[0:3], s[6:7] offset:16
	global_store_dwordx4 v26, v[0:3], s[6:7] offset:32
	;; [unrolled: 1-line block ×3, first 2 shown]
	s_and_saveexec_b64 s[6:7], s[0:1]
	s_cbranch_execz .LBB73_245
; %bb.238:
	v_mov_b32_e32 v10, 0
	global_load_dwordx2 v[14:15], v10, s[2:3] offset:32 sc0 sc1
	global_load_dwordx2 v[0:1], v10, s[2:3] offset:40
	v_mov_b32_e32 v12, s4
	v_mov_b32_e32 v13, s5
	s_waitcnt vmcnt(0)
	v_readfirstlane_b32 s10, v0
	v_readfirstlane_b32 s11, v1
	s_and_b64 s[10:11], s[10:11], s[4:5]
	s_mul_i32 s11, s11, 24
	s_mul_hi_u32 s12, s10, 24
	s_mul_i32 s10, s10, 24
	s_add_i32 s11, s12, s11
	v_lshl_add_u64 v[4:5], v[4:5], 0, s[10:11]
	global_store_dwordx2 v[4:5], v[14:15], off
	buffer_wbl2 sc0 sc1
	s_waitcnt vmcnt(0)
	global_atomic_cmpswap_x2 v[2:3], v10, v[12:15], s[2:3] offset:32 sc0 sc1
	s_waitcnt vmcnt(0)
	v_cmp_ne_u64_e32 vcc, v[2:3], v[14:15]
	s_and_saveexec_b64 s[10:11], vcc
	s_cbranch_execz .LBB73_241
; %bb.239:
	s_mov_b64 s[12:13], 0
.LBB73_240:                             ; =>This Inner Loop Header: Depth=1
	s_sleep 1
	global_store_dwordx2 v[4:5], v[2:3], off
	v_mov_b32_e32 v0, s4
	v_mov_b32_e32 v1, s5
	buffer_wbl2 sc0 sc1
	s_waitcnt vmcnt(0)
	global_atomic_cmpswap_x2 v[0:1], v10, v[0:3], s[2:3] offset:32 sc0 sc1
	s_waitcnt vmcnt(0)
	v_cmp_eq_u64_e32 vcc, v[0:1], v[2:3]
	s_or_b64 s[12:13], vcc, s[12:13]
	v_mov_b64_e32 v[2:3], v[0:1]
	s_andn2_b64 exec, exec, s[12:13]
	s_cbranch_execnz .LBB73_240
.LBB73_241:
	s_or_b64 exec, exec, s[10:11]
	v_mov_b32_e32 v3, 0
	global_load_dwordx2 v[0:1], v3, s[2:3] offset:16
	s_mov_b64 s[10:11], exec
	v_mbcnt_lo_u32_b32 v2, s10, 0
	v_mbcnt_hi_u32_b32 v2, s11, v2
	v_cmp_eq_u32_e32 vcc, 0, v2
	s_and_saveexec_b64 s[12:13], vcc
	s_cbranch_execz .LBB73_243
; %bb.242:
	s_bcnt1_i32_b64 s10, s[10:11]
	v_mov_b32_e32 v2, s10
	buffer_wbl2 sc0 sc1
	s_waitcnt vmcnt(0)
	global_atomic_add_x2 v[0:1], v[2:3], off offset:8 sc1
.LBB73_243:
	s_or_b64 exec, exec, s[12:13]
	s_waitcnt vmcnt(0)
	global_load_dwordx2 v[2:3], v[0:1], off offset:16
	s_waitcnt vmcnt(0)
	v_cmp_eq_u64_e32 vcc, 0, v[2:3]
	s_cbranch_vccnz .LBB73_245
; %bb.244:
	global_load_dword v0, v[0:1], off offset:24
	v_mov_b32_e32 v1, 0
	s_waitcnt vmcnt(0)
	v_readfirstlane_b32 s10, v0
	s_and_b32 m0, s10, 0xffffff
	buffer_wbl2 sc0 sc1
	global_store_dwordx2 v[2:3], v[0:1], off sc0 sc1
	s_sendmsg sendmsg(MSG_INTERRUPT)
.LBB73_245:
	s_or_b64 exec, exec, s[6:7]
	v_lshl_add_u64 v[0:1], v[6:7], 0, v[26:27]
	s_branch .LBB73_249
.LBB73_246:                             ;   in Loop: Header=BB73_249 Depth=1
	s_or_b64 exec, exec, s[6:7]
	v_readfirstlane_b32 s6, v2
	s_cmp_eq_u32 s6, 0
	s_cbranch_scc1 .LBB73_248
; %bb.247:                              ;   in Loop: Header=BB73_249 Depth=1
	s_sleep 1
	s_cbranch_execnz .LBB73_249
	s_branch .LBB73_251
.LBB73_248:
	s_branch .LBB73_251
.LBB73_249:                             ; =>This Inner Loop Header: Depth=1
	v_mov_b32_e32 v2, 1
	s_and_saveexec_b64 s[6:7], s[0:1]
	s_cbranch_execz .LBB73_246
; %bb.250:                              ;   in Loop: Header=BB73_249 Depth=1
	global_load_dword v2, v[8:9], off offset:20 sc0 sc1
	s_waitcnt vmcnt(0)
	buffer_inv sc0 sc1
	v_and_b32_e32 v2, 1, v2
	s_branch .LBB73_246
.LBB73_251:
	global_load_dwordx2 v[2:3], v[0:1], off
	s_and_saveexec_b64 s[6:7], s[0:1]
	s_cbranch_execz .LBB73_254
; %bb.252:
	v_mov_b32_e32 v8, 0
	global_load_dwordx2 v[0:1], v8, s[2:3] offset:40
	global_load_dwordx2 v[12:13], v8, s[2:3] offset:24 sc0 sc1
	global_load_dwordx2 v[4:5], v8, s[2:3]
	s_waitcnt vmcnt(2)
	v_readfirstlane_b32 s10, v0
	v_readfirstlane_b32 s11, v1
	s_add_u32 s12, s10, 1
	s_addc_u32 s13, s11, 0
	s_add_u32 s0, s12, s4
	s_addc_u32 s1, s13, s5
	s_cmp_eq_u64 s[0:1], 0
	s_cselect_b32 s1, s13, s1
	s_cselect_b32 s0, s12, s0
	s_and_b64 s[4:5], s[0:1], s[10:11]
	s_mul_i32 s5, s5, 24
	s_mul_hi_u32 s10, s4, 24
	s_mul_i32 s4, s4, 24
	s_add_i32 s5, s10, s5
	s_waitcnt vmcnt(0)
	v_lshl_add_u64 v[0:1], v[4:5], 0, s[4:5]
	v_mov_b32_e32 v10, s0
	global_store_dwordx2 v[0:1], v[12:13], off
	v_mov_b32_e32 v11, s1
	buffer_wbl2 sc0 sc1
	s_waitcnt vmcnt(0)
	global_atomic_cmpswap_x2 v[6:7], v8, v[10:13], s[2:3] offset:24 sc0 sc1
	s_mov_b64 s[4:5], 0
	s_waitcnt vmcnt(0)
	v_cmp_ne_u64_e32 vcc, v[6:7], v[12:13]
	s_and_b64 exec, exec, vcc
	s_cbranch_execz .LBB73_254
.LBB73_253:                             ; =>This Inner Loop Header: Depth=1
	s_sleep 1
	global_store_dwordx2 v[0:1], v[6:7], off
	v_mov_b32_e32 v4, s0
	v_mov_b32_e32 v5, s1
	buffer_wbl2 sc0 sc1
	s_waitcnt vmcnt(0)
	global_atomic_cmpswap_x2 v[4:5], v8, v[4:7], s[2:3] offset:24 sc0 sc1
	s_waitcnt vmcnt(0)
	v_cmp_eq_u64_e32 vcc, v[4:5], v[6:7]
	s_or_b64 s[4:5], vcc, s[4:5]
	v_mov_b64_e32 v[6:7], v[4:5]
	s_andn2_b64 exec, exec, s[4:5]
	s_cbranch_execnz .LBB73_253
.LBB73_254:
	s_or_b64 exec, exec, s[6:7]
.LBB73_255:
	v_readfirstlane_b32 s0, v29
	s_waitcnt vmcnt(0)
	v_mov_b64_e32 v[0:1], 0
	v_cmp_eq_u32_e64 s[0:1], s0, v29
	s_and_saveexec_b64 s[4:5], s[0:1]
	s_cbranch_execz .LBB73_261
; %bb.256:
	v_mov_b32_e32 v4, 0
	global_load_dwordx2 v[8:9], v4, s[2:3] offset:24 sc0 sc1
	s_waitcnt vmcnt(0)
	buffer_inv sc0 sc1
	global_load_dwordx2 v[0:1], v4, s[2:3] offset:40
	global_load_dwordx2 v[6:7], v4, s[2:3]
	s_waitcnt vmcnt(1)
	v_and_b32_e32 v0, v0, v8
	v_and_b32_e32 v1, v1, v9
	v_mul_lo_u32 v1, v1, 24
	v_mul_hi_u32 v5, v0, 24
	v_add_u32_e32 v1, v5, v1
	v_mul_lo_u32 v0, v0, 24
	s_waitcnt vmcnt(0)
	v_lshl_add_u64 v[0:1], v[6:7], 0, v[0:1]
	global_load_dwordx2 v[6:7], v[0:1], off sc0 sc1
	s_waitcnt vmcnt(0)
	global_atomic_cmpswap_x2 v[0:1], v4, v[6:9], s[2:3] offset:24 sc0 sc1
	s_waitcnt vmcnt(0)
	buffer_inv sc0 sc1
	v_cmp_ne_u64_e32 vcc, v[0:1], v[8:9]
	s_and_saveexec_b64 s[6:7], vcc
	s_cbranch_execz .LBB73_260
; %bb.257:
	s_mov_b64 s[10:11], 0
.LBB73_258:                             ; =>This Inner Loop Header: Depth=1
	s_sleep 1
	global_load_dwordx2 v[6:7], v4, s[2:3] offset:40
	global_load_dwordx2 v[10:11], v4, s[2:3]
	v_mov_b64_e32 v[8:9], v[0:1]
	s_waitcnt vmcnt(1)
	v_and_b32_e32 v0, v6, v8
	s_waitcnt vmcnt(0)
	v_mad_u64_u32 v[0:1], s[12:13], v0, 24, v[10:11]
	v_and_b32_e32 v5, v7, v9
	v_mov_b32_e32 v6, v1
	v_mad_u64_u32 v[6:7], s[12:13], v5, 24, v[6:7]
	v_mov_b32_e32 v1, v6
	global_load_dwordx2 v[6:7], v[0:1], off sc0 sc1
	s_waitcnt vmcnt(0)
	global_atomic_cmpswap_x2 v[0:1], v4, v[6:9], s[2:3] offset:24 sc0 sc1
	s_waitcnt vmcnt(0)
	buffer_inv sc0 sc1
	v_cmp_eq_u64_e32 vcc, v[0:1], v[8:9]
	s_or_b64 s[10:11], vcc, s[10:11]
	s_andn2_b64 exec, exec, s[10:11]
	s_cbranch_execnz .LBB73_258
; %bb.259:
	s_or_b64 exec, exec, s[10:11]
.LBB73_260:
	s_or_b64 exec, exec, s[6:7]
.LBB73_261:
	s_or_b64 exec, exec, s[4:5]
	v_mov_b32_e32 v27, 0
	global_load_dwordx2 v[4:5], v27, s[2:3] offset:40
	global_load_dwordx4 v[6:9], v27, s[2:3]
	v_readfirstlane_b32 s5, v1
	v_readfirstlane_b32 s4, v0
	s_mov_b64 s[6:7], exec
	s_waitcnt vmcnt(1)
	v_readfirstlane_b32 s10, v4
	v_readfirstlane_b32 s11, v5
	s_and_b64 s[10:11], s[10:11], s[4:5]
	s_mul_i32 s12, s11, 24
	s_mul_hi_u32 s13, s10, 24
	s_add_i32 s13, s13, s12
	s_mul_i32 s12, s10, 24
	s_waitcnt vmcnt(0)
	v_lshl_add_u64 v[10:11], v[6:7], 0, s[12:13]
	s_and_saveexec_b64 s[12:13], s[0:1]
	s_cbranch_execz .LBB73_263
; %bb.262:
	v_mov_b64_e32 v[12:13], s[6:7]
	v_mov_b32_e32 v14, 2
	v_mov_b32_e32 v15, 1
	global_store_dwordx4 v[10:11], v[12:15], off offset:8
.LBB73_263:
	s_or_b64 exec, exec, s[12:13]
	s_lshl_b64 s[6:7], s[10:11], 12
	v_lshl_add_u64 v[8:9], v[8:9], 0, s[6:7]
	s_movk_i32 s6, 0xff1f
	s_mov_b32 s12, 0
	v_and_or_b32 v2, v2, s6, 32
	v_mov_b32_e32 v4, 0x347
	v_mov_b32_e32 v5, v27
	v_readfirstlane_b32 s6, v8
	v_readfirstlane_b32 s7, v9
	s_mov_b32 s13, s12
	s_mov_b32 s14, s12
	s_mov_b32 s15, s12
	s_nop 1
	global_store_dwordx4 v26, v[2:5], s[6:7]
	v_mov_b64_e32 v[0:1], s[12:13]
	s_nop 0
	v_mov_b64_e32 v[2:3], s[14:15]
	global_store_dwordx4 v26, v[0:3], s[6:7] offset:16
	global_store_dwordx4 v26, v[0:3], s[6:7] offset:32
	;; [unrolled: 1-line block ×3, first 2 shown]
	s_and_saveexec_b64 s[6:7], s[0:1]
	s_cbranch_execz .LBB73_271
; %bb.264:
	v_mov_b32_e32 v12, 0
	global_load_dwordx2 v[16:17], v12, s[2:3] offset:32 sc0 sc1
	global_load_dwordx2 v[0:1], v12, s[2:3] offset:40
	v_mov_b32_e32 v14, s4
	v_mov_b32_e32 v15, s5
	s_waitcnt vmcnt(0)
	v_readfirstlane_b32 s10, v0
	v_readfirstlane_b32 s11, v1
	s_and_b64 s[10:11], s[10:11], s[4:5]
	s_mul_i32 s11, s11, 24
	s_mul_hi_u32 s12, s10, 24
	s_mul_i32 s10, s10, 24
	s_add_i32 s11, s12, s11
	v_lshl_add_u64 v[4:5], v[6:7], 0, s[10:11]
	global_store_dwordx2 v[4:5], v[16:17], off
	buffer_wbl2 sc0 sc1
	s_waitcnt vmcnt(0)
	global_atomic_cmpswap_x2 v[2:3], v12, v[14:17], s[2:3] offset:32 sc0 sc1
	s_waitcnt vmcnt(0)
	v_cmp_ne_u64_e32 vcc, v[2:3], v[16:17]
	s_and_saveexec_b64 s[10:11], vcc
	s_cbranch_execz .LBB73_267
; %bb.265:
	s_mov_b64 s[12:13], 0
.LBB73_266:                             ; =>This Inner Loop Header: Depth=1
	s_sleep 1
	global_store_dwordx2 v[4:5], v[2:3], off
	v_mov_b32_e32 v0, s4
	v_mov_b32_e32 v1, s5
	buffer_wbl2 sc0 sc1
	s_waitcnt vmcnt(0)
	global_atomic_cmpswap_x2 v[0:1], v12, v[0:3], s[2:3] offset:32 sc0 sc1
	s_waitcnt vmcnt(0)
	v_cmp_eq_u64_e32 vcc, v[0:1], v[2:3]
	s_or_b64 s[12:13], vcc, s[12:13]
	v_mov_b64_e32 v[2:3], v[0:1]
	s_andn2_b64 exec, exec, s[12:13]
	s_cbranch_execnz .LBB73_266
.LBB73_267:
	s_or_b64 exec, exec, s[10:11]
	v_mov_b32_e32 v3, 0
	global_load_dwordx2 v[0:1], v3, s[2:3] offset:16
	s_mov_b64 s[10:11], exec
	v_mbcnt_lo_u32_b32 v2, s10, 0
	v_mbcnt_hi_u32_b32 v2, s11, v2
	v_cmp_eq_u32_e32 vcc, 0, v2
	s_and_saveexec_b64 s[12:13], vcc
	s_cbranch_execz .LBB73_269
; %bb.268:
	s_bcnt1_i32_b64 s10, s[10:11]
	v_mov_b32_e32 v2, s10
	buffer_wbl2 sc0 sc1
	s_waitcnt vmcnt(0)
	global_atomic_add_x2 v[0:1], v[2:3], off offset:8 sc1
.LBB73_269:
	s_or_b64 exec, exec, s[12:13]
	s_waitcnt vmcnt(0)
	global_load_dwordx2 v[2:3], v[0:1], off offset:16
	s_waitcnt vmcnt(0)
	v_cmp_eq_u64_e32 vcc, 0, v[2:3]
	s_cbranch_vccnz .LBB73_271
; %bb.270:
	global_load_dword v0, v[0:1], off offset:24
	v_mov_b32_e32 v1, 0
	s_waitcnt vmcnt(0)
	v_readfirstlane_b32 s10, v0
	s_and_b32 m0, s10, 0xffffff
	buffer_wbl2 sc0 sc1
	global_store_dwordx2 v[2:3], v[0:1], off sc0 sc1
	s_sendmsg sendmsg(MSG_INTERRUPT)
.LBB73_271:
	s_or_b64 exec, exec, s[6:7]
	v_lshl_add_u64 v[0:1], v[8:9], 0, v[26:27]
	s_branch .LBB73_275
.LBB73_272:                             ;   in Loop: Header=BB73_275 Depth=1
	s_or_b64 exec, exec, s[6:7]
	v_readfirstlane_b32 s6, v2
	s_cmp_eq_u32 s6, 0
	s_cbranch_scc1 .LBB73_274
; %bb.273:                              ;   in Loop: Header=BB73_275 Depth=1
	s_sleep 1
	s_cbranch_execnz .LBB73_275
	s_branch .LBB73_277
.LBB73_274:
	s_branch .LBB73_277
.LBB73_275:                             ; =>This Inner Loop Header: Depth=1
	v_mov_b32_e32 v2, 1
	s_and_saveexec_b64 s[6:7], s[0:1]
	s_cbranch_execz .LBB73_272
; %bb.276:                              ;   in Loop: Header=BB73_275 Depth=1
	global_load_dword v2, v[10:11], off offset:20 sc0 sc1
	s_waitcnt vmcnt(0)
	buffer_inv sc0 sc1
	v_and_b32_e32 v2, 1, v2
	s_branch .LBB73_272
.LBB73_277:
	global_load_dwordx2 v[0:1], v[0:1], off
	s_and_saveexec_b64 s[6:7], s[0:1]
	s_cbranch_execz .LBB73_280
; %bb.278:
	v_mov_b32_e32 v8, 0
	global_load_dwordx2 v[2:3], v8, s[2:3] offset:40
	global_load_dwordx2 v[12:13], v8, s[2:3] offset:24 sc0 sc1
	global_load_dwordx2 v[4:5], v8, s[2:3]
	s_waitcnt vmcnt(2)
	v_readfirstlane_b32 s10, v2
	v_readfirstlane_b32 s11, v3
	s_add_u32 s12, s10, 1
	s_addc_u32 s13, s11, 0
	s_add_u32 s0, s12, s4
	s_addc_u32 s1, s13, s5
	s_cmp_eq_u64 s[0:1], 0
	s_cselect_b32 s1, s13, s1
	s_cselect_b32 s0, s12, s0
	s_and_b64 s[4:5], s[0:1], s[10:11]
	s_mul_i32 s5, s5, 24
	s_mul_hi_u32 s10, s4, 24
	s_mul_i32 s4, s4, 24
	s_add_i32 s5, s10, s5
	s_waitcnt vmcnt(0)
	v_lshl_add_u64 v[6:7], v[4:5], 0, s[4:5]
	v_mov_b32_e32 v10, s0
	global_store_dwordx2 v[6:7], v[12:13], off
	v_mov_b32_e32 v11, s1
	buffer_wbl2 sc0 sc1
	s_waitcnt vmcnt(0)
	global_atomic_cmpswap_x2 v[4:5], v8, v[10:13], s[2:3] offset:24 sc0 sc1
	s_mov_b64 s[4:5], 0
	s_waitcnt vmcnt(0)
	v_cmp_ne_u64_e32 vcc, v[4:5], v[12:13]
	s_and_b64 exec, exec, vcc
	s_cbranch_execz .LBB73_280
.LBB73_279:                             ; =>This Inner Loop Header: Depth=1
	s_sleep 1
	global_store_dwordx2 v[6:7], v[4:5], off
	v_mov_b32_e32 v2, s0
	v_mov_b32_e32 v3, s1
	buffer_wbl2 sc0 sc1
	s_waitcnt vmcnt(0)
	global_atomic_cmpswap_x2 v[2:3], v8, v[2:5], s[2:3] offset:24 sc0 sc1
	s_waitcnt vmcnt(0)
	v_cmp_eq_u64_e32 vcc, v[2:3], v[4:5]
	s_or_b64 s[4:5], vcc, s[4:5]
	v_mov_b64_e32 v[4:5], v[2:3]
	s_andn2_b64 exec, exec, s[4:5]
	s_cbranch_execnz .LBB73_279
.LBB73_280:
	s_or_b64 exec, exec, s[6:7]
	s_getpc_b64 s[0:1]
	s_add_u32 s0, s0, __FUNCTION__._ZL15flash_attn_tileILi64ELi64ELi8ELi8ELb1EEvPKcS1_S1_S1_S1_PKiPfP15HIP_vector_typeIfLj2EEffffjfiS5_IjLj3EEiiiiiiiiiiiliiliiiiil@rel32@lo+4
	s_addc_u32 s1, s1, __FUNCTION__._ZL15flash_attn_tileILi64ELi64ELi8ELi8ELb1EEvPKcS1_S1_S1_S1_PKiPfP15HIP_vector_typeIfLj2EEffffjfiS5_IjLj3EEiiiiiiiiiiiliiliiiiil@rel32@hi+12
	s_cmp_lg_u64 s[0:1], 0
	s_cselect_b32 s4, 16, 0
	s_getpc_b64 s[2:3]
	s_add_u32 s2, s2, __ockl_printf_append_string_n@rel32@lo+4
	s_addc_u32 s3, s3, __ockl_printf_append_string_n@rel32@hi+12
	v_mov_b32_e32 v2, s0
	v_mov_b32_e32 v3, s1
	;; [unrolled: 1-line block ×4, first 2 shown]
	s_mov_b64 s[18:19], s[8:9]
	s_swappc_b64 s[30:31], s[2:3]
	s_getpc_b64 s[0:1]
	s_add_u32 s0, s0, __ockl_printf_append_args@rel32@lo+4
	s_addc_u32 s1, s1, __ockl_printf_append_args@rel32@hi+12
	s_mov_b64 s[8:9], s[18:19]
	v_mov_b32_e32 v2, 0x514
	v_mov_b32_e32 v3, 0
	v_mov_b32_e32 v4, 1
	s_swappc_b64 s[30:31], s[0:1]
	s_trap 2
.Lfunc_end73:
	.size	_ZL14no_device_codePKciS0_iS0_, .Lfunc_end73-_ZL14no_device_codePKciS0_iS0_
                                        ; -- End function
	.set .L_ZL14no_device_codePKciS0_iS0_.num_vgpr, max(36, .L__ockl_printf_append_string_n.num_vgpr, .L__ockl_printf_append_args.num_vgpr)
	.set .L_ZL14no_device_codePKciS0_iS0_.num_agpr, max(0, .L__ockl_printf_append_string_n.num_agpr, .L__ockl_printf_append_args.num_agpr)
	.set .L_ZL14no_device_codePKciS0_iS0_.numbered_sgpr, max(34, .L__ockl_printf_append_string_n.numbered_sgpr, .L__ockl_printf_append_args.numbered_sgpr)
	.set .L_ZL14no_device_codePKciS0_iS0_.num_named_barrier, max(0, .L__ockl_printf_append_string_n.num_named_barrier, .L__ockl_printf_append_args.num_named_barrier)
	.set .L_ZL14no_device_codePKciS0_iS0_.private_seg_size, 16+max(.L__ockl_printf_append_string_n.private_seg_size, .L__ockl_printf_append_args.private_seg_size)
	.set .L_ZL14no_device_codePKciS0_iS0_.uses_vcc, or(1, .L__ockl_printf_append_string_n.uses_vcc, .L__ockl_printf_append_args.uses_vcc)
	.set .L_ZL14no_device_codePKciS0_iS0_.uses_flat_scratch, or(0, .L__ockl_printf_append_string_n.uses_flat_scratch, .L__ockl_printf_append_args.uses_flat_scratch)
	.set .L_ZL14no_device_codePKciS0_iS0_.has_dyn_sized_stack, or(0, .L__ockl_printf_append_string_n.has_dyn_sized_stack, .L__ockl_printf_append_args.has_dyn_sized_stack)
	.set .L_ZL14no_device_codePKciS0_iS0_.has_recursion, or(0, .L__ockl_printf_append_string_n.has_recursion, .L__ockl_printf_append_args.has_recursion)
	.set .L_ZL14no_device_codePKciS0_iS0_.has_indirect_call, or(0, .L__ockl_printf_append_string_n.has_indirect_call, .L__ockl_printf_append_args.has_indirect_call)
	.section	.AMDGPU.csdata,"",@progbits
; Function info:
; codeLenInByte = 9536
; TotalNumSgprs: 40
; NumVgprs: 50
; NumAgprs: 0
; TotalNumVgprs: 50
; ScratchSize: 16
; MemoryBound: 0
	.section	.text._ZL15flash_attn_tileILi64ELi64ELi8ELi8ELb1EEvPKcS1_S1_S1_S1_PKiPfP15HIP_vector_typeIfLj2EEffffjfiS5_IjLj3EEiiiiiiiiiiiliiliiiiil,"axG",@progbits,_ZL15flash_attn_tileILi64ELi64ELi8ELi8ELb1EEvPKcS1_S1_S1_S1_PKiPfP15HIP_vector_typeIfLj2EEffffjfiS5_IjLj3EEiiiiiiiiiiiliiliiiiil,comdat
	.globl	_ZL15flash_attn_tileILi64ELi64ELi8ELi8ELb1EEvPKcS1_S1_S1_S1_PKiPfP15HIP_vector_typeIfLj2EEffffjfiS5_IjLj3EEiiiiiiiiiiiliiliiiiil ; -- Begin function _ZL15flash_attn_tileILi64ELi64ELi8ELi8ELb1EEvPKcS1_S1_S1_S1_PKiPfP15HIP_vector_typeIfLj2EEffffjfiS5_IjLj3EEiiiiiiiiiiiliiliiiiil
	.p2align	8
	.type	_ZL15flash_attn_tileILi64ELi64ELi8ELi8ELb1EEvPKcS1_S1_S1_S1_PKiPfP15HIP_vector_typeIfLj2EEffffjfiS5_IjLj3EEiiiiiiiiiiiliiliiiiil,@function
_ZL15flash_attn_tileILi64ELi64ELi8ELi8ELb1EEvPKcS1_S1_S1_S1_PKiPfP15HIP_vector_typeIfLj2EEffffjfiS5_IjLj3EEiiiiiiiiiiiliiliiiiil: ; @_ZL15flash_attn_tileILi64ELi64ELi8ELi8ELb1EEvPKcS1_S1_S1_S1_PKiPfP15HIP_vector_typeIfLj2EEffffjfiS5_IjLj3EEiiiiiiiiiiiliiliiiiil
; %bb.0:
	s_add_u32 s8, s0, 0xd0
	s_addc_u32 s9, s1, 0
	s_getpc_b64 s[0:1]
	s_add_u32 s0, s0, _ZL14no_device_codePKciS0_iS0_@rel32@lo+4
	s_addc_u32 s1, s1, _ZL14no_device_codePKciS0_iS0_@rel32@hi+12
	s_mov_b32 s32, 0
	s_swappc_b64 s[30:31], s[0:1]
	.section	.rodata,"a",@progbits
	.p2align	6, 0x0
	.amdhsa_kernel _ZL15flash_attn_tileILi64ELi64ELi8ELi8ELb1EEvPKcS1_S1_S1_S1_PKiPfP15HIP_vector_typeIfLj2EEffffjfiS5_IjLj3EEiiiiiiiiiiiliiliiiiil
		.amdhsa_group_segment_fixed_size 0
		.amdhsa_private_segment_fixed_size 16
		.amdhsa_kernarg_size 464
		.amdhsa_user_sgpr_count 2
		.amdhsa_user_sgpr_dispatch_ptr 0
		.amdhsa_user_sgpr_queue_ptr 0
		.amdhsa_user_sgpr_kernarg_segment_ptr 1
		.amdhsa_user_sgpr_dispatch_id 0
		.amdhsa_user_sgpr_kernarg_preload_length 0
		.amdhsa_user_sgpr_kernarg_preload_offset 0
		.amdhsa_user_sgpr_private_segment_size 0
		.amdhsa_uses_dynamic_stack 0
		.amdhsa_enable_private_segment 1
		.amdhsa_system_sgpr_workgroup_id_x 1
		.amdhsa_system_sgpr_workgroup_id_y 0
		.amdhsa_system_sgpr_workgroup_id_z 0
		.amdhsa_system_sgpr_workgroup_info 0
		.amdhsa_system_vgpr_workitem_id 0
		.amdhsa_next_free_vgpr 50
		.amdhsa_next_free_sgpr 34
		.amdhsa_accum_offset 52
		.amdhsa_reserve_vcc 1
		.amdhsa_float_round_mode_32 0
		.amdhsa_float_round_mode_16_64 0
		.amdhsa_float_denorm_mode_32 3
		.amdhsa_float_denorm_mode_16_64 3
		.amdhsa_dx10_clamp 1
		.amdhsa_ieee_mode 1
		.amdhsa_fp16_overflow 0
		.amdhsa_tg_split 0
		.amdhsa_exception_fp_ieee_invalid_op 0
		.amdhsa_exception_fp_denorm_src 0
		.amdhsa_exception_fp_ieee_div_zero 0
		.amdhsa_exception_fp_ieee_overflow 0
		.amdhsa_exception_fp_ieee_underflow 0
		.amdhsa_exception_fp_ieee_inexact 0
		.amdhsa_exception_int_div_zero 0
	.end_amdhsa_kernel
	.section	.text._ZL15flash_attn_tileILi64ELi64ELi8ELi8ELb1EEvPKcS1_S1_S1_S1_PKiPfP15HIP_vector_typeIfLj2EEffffjfiS5_IjLj3EEiiiiiiiiiiiliiliiiiil,"axG",@progbits,_ZL15flash_attn_tileILi64ELi64ELi8ELi8ELb1EEvPKcS1_S1_S1_S1_PKiPfP15HIP_vector_typeIfLj2EEffffjfiS5_IjLj3EEiiiiiiiiiiiliiliiiiil,comdat
.Lfunc_end74:
	.size	_ZL15flash_attn_tileILi64ELi64ELi8ELi8ELb1EEvPKcS1_S1_S1_S1_PKiPfP15HIP_vector_typeIfLj2EEffffjfiS5_IjLj3EEiiiiiiiiiiiliiliiiiil, .Lfunc_end74-_ZL15flash_attn_tileILi64ELi64ELi8ELi8ELb1EEvPKcS1_S1_S1_S1_PKiPfP15HIP_vector_typeIfLj2EEffffjfiS5_IjLj3EEiiiiiiiiiiiliiliiiiil
                                        ; -- End function
	.set _ZL15flash_attn_tileILi64ELi64ELi8ELi8ELb1EEvPKcS1_S1_S1_S1_PKiPfP15HIP_vector_typeIfLj2EEffffjfiS5_IjLj3EEiiiiiiiiiiiliiliiiiil.num_vgpr, max(0, .L_ZL14no_device_codePKciS0_iS0_.num_vgpr)
	.set _ZL15flash_attn_tileILi64ELi64ELi8ELi8ELb1EEvPKcS1_S1_S1_S1_PKiPfP15HIP_vector_typeIfLj2EEffffjfiS5_IjLj3EEiiiiiiiiiiiliiliiiiil.num_agpr, max(0, .L_ZL14no_device_codePKciS0_iS0_.num_agpr)
	.set _ZL15flash_attn_tileILi64ELi64ELi8ELi8ELb1EEvPKcS1_S1_S1_S1_PKiPfP15HIP_vector_typeIfLj2EEffffjfiS5_IjLj3EEiiiiiiiiiiiliiliiiiil.numbered_sgpr, max(33, .L_ZL14no_device_codePKciS0_iS0_.numbered_sgpr)
	.set _ZL15flash_attn_tileILi64ELi64ELi8ELi8ELb1EEvPKcS1_S1_S1_S1_PKiPfP15HIP_vector_typeIfLj2EEffffjfiS5_IjLj3EEiiiiiiiiiiiliiliiiiil.num_named_barrier, max(0, .L_ZL14no_device_codePKciS0_iS0_.num_named_barrier)
	.set _ZL15flash_attn_tileILi64ELi64ELi8ELi8ELb1EEvPKcS1_S1_S1_S1_PKiPfP15HIP_vector_typeIfLj2EEffffjfiS5_IjLj3EEiiiiiiiiiiiliiliiiiil.private_seg_size, 0+max(.L_ZL14no_device_codePKciS0_iS0_.private_seg_size)
	.set _ZL15flash_attn_tileILi64ELi64ELi8ELi8ELb1EEvPKcS1_S1_S1_S1_PKiPfP15HIP_vector_typeIfLj2EEffffjfiS5_IjLj3EEiiiiiiiiiiiliiliiiiil.uses_vcc, or(1, .L_ZL14no_device_codePKciS0_iS0_.uses_vcc)
	.set _ZL15flash_attn_tileILi64ELi64ELi8ELi8ELb1EEvPKcS1_S1_S1_S1_PKiPfP15HIP_vector_typeIfLj2EEffffjfiS5_IjLj3EEiiiiiiiiiiiliiliiiiil.uses_flat_scratch, or(0, .L_ZL14no_device_codePKciS0_iS0_.uses_flat_scratch)
	.set _ZL15flash_attn_tileILi64ELi64ELi8ELi8ELb1EEvPKcS1_S1_S1_S1_PKiPfP15HIP_vector_typeIfLj2EEffffjfiS5_IjLj3EEiiiiiiiiiiiliiliiiiil.has_dyn_sized_stack, or(0, .L_ZL14no_device_codePKciS0_iS0_.has_dyn_sized_stack)
	.set _ZL15flash_attn_tileILi64ELi64ELi8ELi8ELb1EEvPKcS1_S1_S1_S1_PKiPfP15HIP_vector_typeIfLj2EEffffjfiS5_IjLj3EEiiiiiiiiiiiliiliiiiil.has_recursion, or(0, .L_ZL14no_device_codePKciS0_iS0_.has_recursion)
	.set _ZL15flash_attn_tileILi64ELi64ELi8ELi8ELb1EEvPKcS1_S1_S1_S1_PKiPfP15HIP_vector_typeIfLj2EEffffjfiS5_IjLj3EEiiiiiiiiiiiliiliiiiil.has_indirect_call, or(0, .L_ZL14no_device_codePKciS0_iS0_.has_indirect_call)
	.section	.AMDGPU.csdata,"",@progbits
; Kernel info:
; codeLenInByte = 40
; TotalNumSgprs: 40
; NumVgprs: 50
; NumAgprs: 0
; TotalNumVgprs: 50
; ScratchSize: 16
; MemoryBound: 0
; FloatMode: 240
; IeeeMode: 1
; LDSByteSize: 0 bytes/workgroup (compile time only)
; SGPRBlocks: 4
; VGPRBlocks: 6
; NumSGPRsForWavesPerEU: 40
; NumVGPRsForWavesPerEU: 50
; AccumOffset: 52
; Occupancy: 8
; WaveLimiterHint : 1
; COMPUTE_PGM_RSRC2:SCRATCH_EN: 1
; COMPUTE_PGM_RSRC2:USER_SGPR: 2
; COMPUTE_PGM_RSRC2:TRAP_HANDLER: 0
; COMPUTE_PGM_RSRC2:TGID_X_EN: 1
; COMPUTE_PGM_RSRC2:TGID_Y_EN: 0
; COMPUTE_PGM_RSRC2:TGID_Z_EN: 0
; COMPUTE_PGM_RSRC2:TIDIG_COMP_CNT: 0
; COMPUTE_PGM_RSRC3_GFX90A:ACCUM_OFFSET: 12
; COMPUTE_PGM_RSRC3_GFX90A:TG_SPLIT: 0
	.section	.text._ZL15flash_attn_tileILi64ELi64ELi4ELi8ELb1EEvPKcS1_S1_S1_S1_PKiPfP15HIP_vector_typeIfLj2EEffffjfiS5_IjLj3EEiiiiiiiiiiiliiliiiiil,"axG",@progbits,_ZL15flash_attn_tileILi64ELi64ELi4ELi8ELb1EEvPKcS1_S1_S1_S1_PKiPfP15HIP_vector_typeIfLj2EEffffjfiS5_IjLj3EEiiiiiiiiiiiliiliiiiil,comdat
	.globl	_ZL15flash_attn_tileILi64ELi64ELi4ELi8ELb1EEvPKcS1_S1_S1_S1_PKiPfP15HIP_vector_typeIfLj2EEffffjfiS5_IjLj3EEiiiiiiiiiiiliiliiiiil ; -- Begin function _ZL15flash_attn_tileILi64ELi64ELi4ELi8ELb1EEvPKcS1_S1_S1_S1_PKiPfP15HIP_vector_typeIfLj2EEffffjfiS5_IjLj3EEiiiiiiiiiiiliiliiiiil
	.p2align	8
	.type	_ZL15flash_attn_tileILi64ELi64ELi4ELi8ELb1EEvPKcS1_S1_S1_S1_PKiPfP15HIP_vector_typeIfLj2EEffffjfiS5_IjLj3EEiiiiiiiiiiiliiliiiiil,@function
_ZL15flash_attn_tileILi64ELi64ELi4ELi8ELb1EEvPKcS1_S1_S1_S1_PKiPfP15HIP_vector_typeIfLj2EEffffjfiS5_IjLj3EEiiiiiiiiiiiliiliiiiil: ; @_ZL15flash_attn_tileILi64ELi64ELi4ELi8ELb1EEvPKcS1_S1_S1_S1_PKiPfP15HIP_vector_typeIfLj2EEffffjfiS5_IjLj3EEiiiiiiiiiiiliiliiiiil
; %bb.0:
	s_add_u32 s8, s0, 0xd0
	s_addc_u32 s9, s1, 0
	s_getpc_b64 s[0:1]
	s_add_u32 s0, s0, _ZL14no_device_codePKciS0_iS0_@rel32@lo+4
	s_addc_u32 s1, s1, _ZL14no_device_codePKciS0_iS0_@rel32@hi+12
	s_mov_b32 s32, 0
	s_swappc_b64 s[30:31], s[0:1]
	.section	.rodata,"a",@progbits
	.p2align	6, 0x0
	.amdhsa_kernel _ZL15flash_attn_tileILi64ELi64ELi4ELi8ELb1EEvPKcS1_S1_S1_S1_PKiPfP15HIP_vector_typeIfLj2EEffffjfiS5_IjLj3EEiiiiiiiiiiiliiliiiiil
		.amdhsa_group_segment_fixed_size 0
		.amdhsa_private_segment_fixed_size 16
		.amdhsa_kernarg_size 464
		.amdhsa_user_sgpr_count 2
		.amdhsa_user_sgpr_dispatch_ptr 0
		.amdhsa_user_sgpr_queue_ptr 0
		.amdhsa_user_sgpr_kernarg_segment_ptr 1
		.amdhsa_user_sgpr_dispatch_id 0
		.amdhsa_user_sgpr_kernarg_preload_length 0
		.amdhsa_user_sgpr_kernarg_preload_offset 0
		.amdhsa_user_sgpr_private_segment_size 0
		.amdhsa_uses_dynamic_stack 0
		.amdhsa_enable_private_segment 1
		.amdhsa_system_sgpr_workgroup_id_x 1
		.amdhsa_system_sgpr_workgroup_id_y 0
		.amdhsa_system_sgpr_workgroup_id_z 0
		.amdhsa_system_sgpr_workgroup_info 0
		.amdhsa_system_vgpr_workitem_id 0
		.amdhsa_next_free_vgpr 50
		.amdhsa_next_free_sgpr 34
		.amdhsa_accum_offset 52
		.amdhsa_reserve_vcc 1
		.amdhsa_float_round_mode_32 0
		.amdhsa_float_round_mode_16_64 0
		.amdhsa_float_denorm_mode_32 3
		.amdhsa_float_denorm_mode_16_64 3
		.amdhsa_dx10_clamp 1
		.amdhsa_ieee_mode 1
		.amdhsa_fp16_overflow 0
		.amdhsa_tg_split 0
		.amdhsa_exception_fp_ieee_invalid_op 0
		.amdhsa_exception_fp_denorm_src 0
		.amdhsa_exception_fp_ieee_div_zero 0
		.amdhsa_exception_fp_ieee_overflow 0
		.amdhsa_exception_fp_ieee_underflow 0
		.amdhsa_exception_fp_ieee_inexact 0
		.amdhsa_exception_int_div_zero 0
	.end_amdhsa_kernel
	.section	.text._ZL15flash_attn_tileILi64ELi64ELi4ELi8ELb1EEvPKcS1_S1_S1_S1_PKiPfP15HIP_vector_typeIfLj2EEffffjfiS5_IjLj3EEiiiiiiiiiiiliiliiiiil,"axG",@progbits,_ZL15flash_attn_tileILi64ELi64ELi4ELi8ELb1EEvPKcS1_S1_S1_S1_PKiPfP15HIP_vector_typeIfLj2EEffffjfiS5_IjLj3EEiiiiiiiiiiiliiliiiiil,comdat
.Lfunc_end75:
	.size	_ZL15flash_attn_tileILi64ELi64ELi4ELi8ELb1EEvPKcS1_S1_S1_S1_PKiPfP15HIP_vector_typeIfLj2EEffffjfiS5_IjLj3EEiiiiiiiiiiiliiliiiiil, .Lfunc_end75-_ZL15flash_attn_tileILi64ELi64ELi4ELi8ELb1EEvPKcS1_S1_S1_S1_PKiPfP15HIP_vector_typeIfLj2EEffffjfiS5_IjLj3EEiiiiiiiiiiiliiliiiiil
                                        ; -- End function
	.set _ZL15flash_attn_tileILi64ELi64ELi4ELi8ELb1EEvPKcS1_S1_S1_S1_PKiPfP15HIP_vector_typeIfLj2EEffffjfiS5_IjLj3EEiiiiiiiiiiiliiliiiiil.num_vgpr, max(0, .L_ZL14no_device_codePKciS0_iS0_.num_vgpr)
	.set _ZL15flash_attn_tileILi64ELi64ELi4ELi8ELb1EEvPKcS1_S1_S1_S1_PKiPfP15HIP_vector_typeIfLj2EEffffjfiS5_IjLj3EEiiiiiiiiiiiliiliiiiil.num_agpr, max(0, .L_ZL14no_device_codePKciS0_iS0_.num_agpr)
	.set _ZL15flash_attn_tileILi64ELi64ELi4ELi8ELb1EEvPKcS1_S1_S1_S1_PKiPfP15HIP_vector_typeIfLj2EEffffjfiS5_IjLj3EEiiiiiiiiiiiliiliiiiil.numbered_sgpr, max(33, .L_ZL14no_device_codePKciS0_iS0_.numbered_sgpr)
	.set _ZL15flash_attn_tileILi64ELi64ELi4ELi8ELb1EEvPKcS1_S1_S1_S1_PKiPfP15HIP_vector_typeIfLj2EEffffjfiS5_IjLj3EEiiiiiiiiiiiliiliiiiil.num_named_barrier, max(0, .L_ZL14no_device_codePKciS0_iS0_.num_named_barrier)
	.set _ZL15flash_attn_tileILi64ELi64ELi4ELi8ELb1EEvPKcS1_S1_S1_S1_PKiPfP15HIP_vector_typeIfLj2EEffffjfiS5_IjLj3EEiiiiiiiiiiiliiliiiiil.private_seg_size, 0+max(.L_ZL14no_device_codePKciS0_iS0_.private_seg_size)
	.set _ZL15flash_attn_tileILi64ELi64ELi4ELi8ELb1EEvPKcS1_S1_S1_S1_PKiPfP15HIP_vector_typeIfLj2EEffffjfiS5_IjLj3EEiiiiiiiiiiiliiliiiiil.uses_vcc, or(1, .L_ZL14no_device_codePKciS0_iS0_.uses_vcc)
	.set _ZL15flash_attn_tileILi64ELi64ELi4ELi8ELb1EEvPKcS1_S1_S1_S1_PKiPfP15HIP_vector_typeIfLj2EEffffjfiS5_IjLj3EEiiiiiiiiiiiliiliiiiil.uses_flat_scratch, or(0, .L_ZL14no_device_codePKciS0_iS0_.uses_flat_scratch)
	.set _ZL15flash_attn_tileILi64ELi64ELi4ELi8ELb1EEvPKcS1_S1_S1_S1_PKiPfP15HIP_vector_typeIfLj2EEffffjfiS5_IjLj3EEiiiiiiiiiiiliiliiiiil.has_dyn_sized_stack, or(0, .L_ZL14no_device_codePKciS0_iS0_.has_dyn_sized_stack)
	.set _ZL15flash_attn_tileILi64ELi64ELi4ELi8ELb1EEvPKcS1_S1_S1_S1_PKiPfP15HIP_vector_typeIfLj2EEffffjfiS5_IjLj3EEiiiiiiiiiiiliiliiiiil.has_recursion, or(0, .L_ZL14no_device_codePKciS0_iS0_.has_recursion)
	.set _ZL15flash_attn_tileILi64ELi64ELi4ELi8ELb1EEvPKcS1_S1_S1_S1_PKiPfP15HIP_vector_typeIfLj2EEffffjfiS5_IjLj3EEiiiiiiiiiiiliiliiiiil.has_indirect_call, or(0, .L_ZL14no_device_codePKciS0_iS0_.has_indirect_call)
	.section	.AMDGPU.csdata,"",@progbits
; Kernel info:
; codeLenInByte = 40
; TotalNumSgprs: 40
; NumVgprs: 50
; NumAgprs: 0
; TotalNumVgprs: 50
; ScratchSize: 16
; MemoryBound: 0
; FloatMode: 240
; IeeeMode: 1
; LDSByteSize: 0 bytes/workgroup (compile time only)
; SGPRBlocks: 4
; VGPRBlocks: 6
; NumSGPRsForWavesPerEU: 40
; NumVGPRsForWavesPerEU: 50
; AccumOffset: 52
; Occupancy: 8
; WaveLimiterHint : 1
; COMPUTE_PGM_RSRC2:SCRATCH_EN: 1
; COMPUTE_PGM_RSRC2:USER_SGPR: 2
; COMPUTE_PGM_RSRC2:TRAP_HANDLER: 0
; COMPUTE_PGM_RSRC2:TGID_X_EN: 1
; COMPUTE_PGM_RSRC2:TGID_Y_EN: 0
; COMPUTE_PGM_RSRC2:TGID_Z_EN: 0
; COMPUTE_PGM_RSRC2:TIDIG_COMP_CNT: 0
; COMPUTE_PGM_RSRC3_GFX90A:ACCUM_OFFSET: 12
; COMPUTE_PGM_RSRC3_GFX90A:TG_SPLIT: 0
	.section	.text._ZL15flash_attn_tileILi64ELi64ELi2ELi8ELb1EEvPKcS1_S1_S1_S1_PKiPfP15HIP_vector_typeIfLj2EEffffjfiS5_IjLj3EEiiiiiiiiiiiliiliiiiil,"axG",@progbits,_ZL15flash_attn_tileILi64ELi64ELi2ELi8ELb1EEvPKcS1_S1_S1_S1_PKiPfP15HIP_vector_typeIfLj2EEffffjfiS5_IjLj3EEiiiiiiiiiiiliiliiiiil,comdat
	.globl	_ZL15flash_attn_tileILi64ELi64ELi2ELi8ELb1EEvPKcS1_S1_S1_S1_PKiPfP15HIP_vector_typeIfLj2EEffffjfiS5_IjLj3EEiiiiiiiiiiiliiliiiiil ; -- Begin function _ZL15flash_attn_tileILi64ELi64ELi2ELi8ELb1EEvPKcS1_S1_S1_S1_PKiPfP15HIP_vector_typeIfLj2EEffffjfiS5_IjLj3EEiiiiiiiiiiiliiliiiiil
	.p2align	8
	.type	_ZL15flash_attn_tileILi64ELi64ELi2ELi8ELb1EEvPKcS1_S1_S1_S1_PKiPfP15HIP_vector_typeIfLj2EEffffjfiS5_IjLj3EEiiiiiiiiiiiliiliiiiil,@function
_ZL15flash_attn_tileILi64ELi64ELi2ELi8ELb1EEvPKcS1_S1_S1_S1_PKiPfP15HIP_vector_typeIfLj2EEffffjfiS5_IjLj3EEiiiiiiiiiiiliiliiiiil: ; @_ZL15flash_attn_tileILi64ELi64ELi2ELi8ELb1EEvPKcS1_S1_S1_S1_PKiPfP15HIP_vector_typeIfLj2EEffffjfiS5_IjLj3EEiiiiiiiiiiiliiliiiiil
; %bb.0:
	s_add_u32 s8, s0, 0xd0
	s_addc_u32 s9, s1, 0
	s_getpc_b64 s[0:1]
	s_add_u32 s0, s0, _ZL14no_device_codePKciS0_iS0_@rel32@lo+4
	s_addc_u32 s1, s1, _ZL14no_device_codePKciS0_iS0_@rel32@hi+12
	s_mov_b32 s32, 0
	s_swappc_b64 s[30:31], s[0:1]
	.section	.rodata,"a",@progbits
	.p2align	6, 0x0
	.amdhsa_kernel _ZL15flash_attn_tileILi64ELi64ELi2ELi8ELb1EEvPKcS1_S1_S1_S1_PKiPfP15HIP_vector_typeIfLj2EEffffjfiS5_IjLj3EEiiiiiiiiiiiliiliiiiil
		.amdhsa_group_segment_fixed_size 0
		.amdhsa_private_segment_fixed_size 16
		.amdhsa_kernarg_size 464
		.amdhsa_user_sgpr_count 2
		.amdhsa_user_sgpr_dispatch_ptr 0
		.amdhsa_user_sgpr_queue_ptr 0
		.amdhsa_user_sgpr_kernarg_segment_ptr 1
		.amdhsa_user_sgpr_dispatch_id 0
		.amdhsa_user_sgpr_kernarg_preload_length 0
		.amdhsa_user_sgpr_kernarg_preload_offset 0
		.amdhsa_user_sgpr_private_segment_size 0
		.amdhsa_uses_dynamic_stack 0
		.amdhsa_enable_private_segment 1
		.amdhsa_system_sgpr_workgroup_id_x 1
		.amdhsa_system_sgpr_workgroup_id_y 0
		.amdhsa_system_sgpr_workgroup_id_z 0
		.amdhsa_system_sgpr_workgroup_info 0
		.amdhsa_system_vgpr_workitem_id 0
		.amdhsa_next_free_vgpr 50
		.amdhsa_next_free_sgpr 34
		.amdhsa_accum_offset 52
		.amdhsa_reserve_vcc 1
		.amdhsa_float_round_mode_32 0
		.amdhsa_float_round_mode_16_64 0
		.amdhsa_float_denorm_mode_32 3
		.amdhsa_float_denorm_mode_16_64 3
		.amdhsa_dx10_clamp 1
		.amdhsa_ieee_mode 1
		.amdhsa_fp16_overflow 0
		.amdhsa_tg_split 0
		.amdhsa_exception_fp_ieee_invalid_op 0
		.amdhsa_exception_fp_denorm_src 0
		.amdhsa_exception_fp_ieee_div_zero 0
		.amdhsa_exception_fp_ieee_overflow 0
		.amdhsa_exception_fp_ieee_underflow 0
		.amdhsa_exception_fp_ieee_inexact 0
		.amdhsa_exception_int_div_zero 0
	.end_amdhsa_kernel
	.section	.text._ZL15flash_attn_tileILi64ELi64ELi2ELi8ELb1EEvPKcS1_S1_S1_S1_PKiPfP15HIP_vector_typeIfLj2EEffffjfiS5_IjLj3EEiiiiiiiiiiiliiliiiiil,"axG",@progbits,_ZL15flash_attn_tileILi64ELi64ELi2ELi8ELb1EEvPKcS1_S1_S1_S1_PKiPfP15HIP_vector_typeIfLj2EEffffjfiS5_IjLj3EEiiiiiiiiiiiliiliiiiil,comdat
.Lfunc_end76:
	.size	_ZL15flash_attn_tileILi64ELi64ELi2ELi8ELb1EEvPKcS1_S1_S1_S1_PKiPfP15HIP_vector_typeIfLj2EEffffjfiS5_IjLj3EEiiiiiiiiiiiliiliiiiil, .Lfunc_end76-_ZL15flash_attn_tileILi64ELi64ELi2ELi8ELb1EEvPKcS1_S1_S1_S1_PKiPfP15HIP_vector_typeIfLj2EEffffjfiS5_IjLj3EEiiiiiiiiiiiliiliiiiil
                                        ; -- End function
	.set _ZL15flash_attn_tileILi64ELi64ELi2ELi8ELb1EEvPKcS1_S1_S1_S1_PKiPfP15HIP_vector_typeIfLj2EEffffjfiS5_IjLj3EEiiiiiiiiiiiliiliiiiil.num_vgpr, max(0, .L_ZL14no_device_codePKciS0_iS0_.num_vgpr)
	.set _ZL15flash_attn_tileILi64ELi64ELi2ELi8ELb1EEvPKcS1_S1_S1_S1_PKiPfP15HIP_vector_typeIfLj2EEffffjfiS5_IjLj3EEiiiiiiiiiiiliiliiiiil.num_agpr, max(0, .L_ZL14no_device_codePKciS0_iS0_.num_agpr)
	.set _ZL15flash_attn_tileILi64ELi64ELi2ELi8ELb1EEvPKcS1_S1_S1_S1_PKiPfP15HIP_vector_typeIfLj2EEffffjfiS5_IjLj3EEiiiiiiiiiiiliiliiiiil.numbered_sgpr, max(33, .L_ZL14no_device_codePKciS0_iS0_.numbered_sgpr)
	.set _ZL15flash_attn_tileILi64ELi64ELi2ELi8ELb1EEvPKcS1_S1_S1_S1_PKiPfP15HIP_vector_typeIfLj2EEffffjfiS5_IjLj3EEiiiiiiiiiiiliiliiiiil.num_named_barrier, max(0, .L_ZL14no_device_codePKciS0_iS0_.num_named_barrier)
	.set _ZL15flash_attn_tileILi64ELi64ELi2ELi8ELb1EEvPKcS1_S1_S1_S1_PKiPfP15HIP_vector_typeIfLj2EEffffjfiS5_IjLj3EEiiiiiiiiiiiliiliiiiil.private_seg_size, 0+max(.L_ZL14no_device_codePKciS0_iS0_.private_seg_size)
	.set _ZL15flash_attn_tileILi64ELi64ELi2ELi8ELb1EEvPKcS1_S1_S1_S1_PKiPfP15HIP_vector_typeIfLj2EEffffjfiS5_IjLj3EEiiiiiiiiiiiliiliiiiil.uses_vcc, or(1, .L_ZL14no_device_codePKciS0_iS0_.uses_vcc)
	.set _ZL15flash_attn_tileILi64ELi64ELi2ELi8ELb1EEvPKcS1_S1_S1_S1_PKiPfP15HIP_vector_typeIfLj2EEffffjfiS5_IjLj3EEiiiiiiiiiiiliiliiiiil.uses_flat_scratch, or(0, .L_ZL14no_device_codePKciS0_iS0_.uses_flat_scratch)
	.set _ZL15flash_attn_tileILi64ELi64ELi2ELi8ELb1EEvPKcS1_S1_S1_S1_PKiPfP15HIP_vector_typeIfLj2EEffffjfiS5_IjLj3EEiiiiiiiiiiiliiliiiiil.has_dyn_sized_stack, or(0, .L_ZL14no_device_codePKciS0_iS0_.has_dyn_sized_stack)
	.set _ZL15flash_attn_tileILi64ELi64ELi2ELi8ELb1EEvPKcS1_S1_S1_S1_PKiPfP15HIP_vector_typeIfLj2EEffffjfiS5_IjLj3EEiiiiiiiiiiiliiliiiiil.has_recursion, or(0, .L_ZL14no_device_codePKciS0_iS0_.has_recursion)
	.set _ZL15flash_attn_tileILi64ELi64ELi2ELi8ELb1EEvPKcS1_S1_S1_S1_PKiPfP15HIP_vector_typeIfLj2EEffffjfiS5_IjLj3EEiiiiiiiiiiiliiliiiiil.has_indirect_call, or(0, .L_ZL14no_device_codePKciS0_iS0_.has_indirect_call)
	.section	.AMDGPU.csdata,"",@progbits
; Kernel info:
; codeLenInByte = 40
; TotalNumSgprs: 40
; NumVgprs: 50
; NumAgprs: 0
; TotalNumVgprs: 50
; ScratchSize: 16
; MemoryBound: 0
; FloatMode: 240
; IeeeMode: 1
; LDSByteSize: 0 bytes/workgroup (compile time only)
; SGPRBlocks: 4
; VGPRBlocks: 6
; NumSGPRsForWavesPerEU: 40
; NumVGPRsForWavesPerEU: 50
; AccumOffset: 52
; Occupancy: 8
; WaveLimiterHint : 1
; COMPUTE_PGM_RSRC2:SCRATCH_EN: 1
; COMPUTE_PGM_RSRC2:USER_SGPR: 2
; COMPUTE_PGM_RSRC2:TRAP_HANDLER: 0
; COMPUTE_PGM_RSRC2:TGID_X_EN: 1
; COMPUTE_PGM_RSRC2:TGID_Y_EN: 0
; COMPUTE_PGM_RSRC2:TGID_Z_EN: 0
; COMPUTE_PGM_RSRC2:TIDIG_COMP_CNT: 0
; COMPUTE_PGM_RSRC3_GFX90A:ACCUM_OFFSET: 12
; COMPUTE_PGM_RSRC3_GFX90A:TG_SPLIT: 0
	.section	.text._ZL15flash_attn_tileILi64ELi64ELi1ELi8ELb1EEvPKcS1_S1_S1_S1_PKiPfP15HIP_vector_typeIfLj2EEffffjfiS5_IjLj3EEiiiiiiiiiiiliiliiiiil,"axG",@progbits,_ZL15flash_attn_tileILi64ELi64ELi1ELi8ELb1EEvPKcS1_S1_S1_S1_PKiPfP15HIP_vector_typeIfLj2EEffffjfiS5_IjLj3EEiiiiiiiiiiiliiliiiiil,comdat
	.globl	_ZL15flash_attn_tileILi64ELi64ELi1ELi8ELb1EEvPKcS1_S1_S1_S1_PKiPfP15HIP_vector_typeIfLj2EEffffjfiS5_IjLj3EEiiiiiiiiiiiliiliiiiil ; -- Begin function _ZL15flash_attn_tileILi64ELi64ELi1ELi8ELb1EEvPKcS1_S1_S1_S1_PKiPfP15HIP_vector_typeIfLj2EEffffjfiS5_IjLj3EEiiiiiiiiiiiliiliiiiil
	.p2align	8
	.type	_ZL15flash_attn_tileILi64ELi64ELi1ELi8ELb1EEvPKcS1_S1_S1_S1_PKiPfP15HIP_vector_typeIfLj2EEffffjfiS5_IjLj3EEiiiiiiiiiiiliiliiiiil,@function
_ZL15flash_attn_tileILi64ELi64ELi1ELi8ELb1EEvPKcS1_S1_S1_S1_PKiPfP15HIP_vector_typeIfLj2EEffffjfiS5_IjLj3EEiiiiiiiiiiiliiliiiiil: ; @_ZL15flash_attn_tileILi64ELi64ELi1ELi8ELb1EEvPKcS1_S1_S1_S1_PKiPfP15HIP_vector_typeIfLj2EEffffjfiS5_IjLj3EEiiiiiiiiiiiliiliiiiil
; %bb.0:
	s_add_u32 s8, s0, 0xd0
	s_addc_u32 s9, s1, 0
	s_getpc_b64 s[0:1]
	s_add_u32 s0, s0, _ZL14no_device_codePKciS0_iS0_@rel32@lo+4
	s_addc_u32 s1, s1, _ZL14no_device_codePKciS0_iS0_@rel32@hi+12
	s_mov_b32 s32, 0
	s_swappc_b64 s[30:31], s[0:1]
	.section	.rodata,"a",@progbits
	.p2align	6, 0x0
	.amdhsa_kernel _ZL15flash_attn_tileILi64ELi64ELi1ELi8ELb1EEvPKcS1_S1_S1_S1_PKiPfP15HIP_vector_typeIfLj2EEffffjfiS5_IjLj3EEiiiiiiiiiiiliiliiiiil
		.amdhsa_group_segment_fixed_size 0
		.amdhsa_private_segment_fixed_size 16
		.amdhsa_kernarg_size 464
		.amdhsa_user_sgpr_count 2
		.amdhsa_user_sgpr_dispatch_ptr 0
		.amdhsa_user_sgpr_queue_ptr 0
		.amdhsa_user_sgpr_kernarg_segment_ptr 1
		.amdhsa_user_sgpr_dispatch_id 0
		.amdhsa_user_sgpr_kernarg_preload_length 0
		.amdhsa_user_sgpr_kernarg_preload_offset 0
		.amdhsa_user_sgpr_private_segment_size 0
		.amdhsa_uses_dynamic_stack 0
		.amdhsa_enable_private_segment 1
		.amdhsa_system_sgpr_workgroup_id_x 1
		.amdhsa_system_sgpr_workgroup_id_y 0
		.amdhsa_system_sgpr_workgroup_id_z 0
		.amdhsa_system_sgpr_workgroup_info 0
		.amdhsa_system_vgpr_workitem_id 0
		.amdhsa_next_free_vgpr 50
		.amdhsa_next_free_sgpr 34
		.amdhsa_accum_offset 52
		.amdhsa_reserve_vcc 1
		.amdhsa_float_round_mode_32 0
		.amdhsa_float_round_mode_16_64 0
		.amdhsa_float_denorm_mode_32 3
		.amdhsa_float_denorm_mode_16_64 3
		.amdhsa_dx10_clamp 1
		.amdhsa_ieee_mode 1
		.amdhsa_fp16_overflow 0
		.amdhsa_tg_split 0
		.amdhsa_exception_fp_ieee_invalid_op 0
		.amdhsa_exception_fp_denorm_src 0
		.amdhsa_exception_fp_ieee_div_zero 0
		.amdhsa_exception_fp_ieee_overflow 0
		.amdhsa_exception_fp_ieee_underflow 0
		.amdhsa_exception_fp_ieee_inexact 0
		.amdhsa_exception_int_div_zero 0
	.end_amdhsa_kernel
	.section	.text._ZL15flash_attn_tileILi64ELi64ELi1ELi8ELb1EEvPKcS1_S1_S1_S1_PKiPfP15HIP_vector_typeIfLj2EEffffjfiS5_IjLj3EEiiiiiiiiiiiliiliiiiil,"axG",@progbits,_ZL15flash_attn_tileILi64ELi64ELi1ELi8ELb1EEvPKcS1_S1_S1_S1_PKiPfP15HIP_vector_typeIfLj2EEffffjfiS5_IjLj3EEiiiiiiiiiiiliiliiiiil,comdat
.Lfunc_end77:
	.size	_ZL15flash_attn_tileILi64ELi64ELi1ELi8ELb1EEvPKcS1_S1_S1_S1_PKiPfP15HIP_vector_typeIfLj2EEffffjfiS5_IjLj3EEiiiiiiiiiiiliiliiiiil, .Lfunc_end77-_ZL15flash_attn_tileILi64ELi64ELi1ELi8ELb1EEvPKcS1_S1_S1_S1_PKiPfP15HIP_vector_typeIfLj2EEffffjfiS5_IjLj3EEiiiiiiiiiiiliiliiiiil
                                        ; -- End function
	.set _ZL15flash_attn_tileILi64ELi64ELi1ELi8ELb1EEvPKcS1_S1_S1_S1_PKiPfP15HIP_vector_typeIfLj2EEffffjfiS5_IjLj3EEiiiiiiiiiiiliiliiiiil.num_vgpr, max(0, .L_ZL14no_device_codePKciS0_iS0_.num_vgpr)
	.set _ZL15flash_attn_tileILi64ELi64ELi1ELi8ELb1EEvPKcS1_S1_S1_S1_PKiPfP15HIP_vector_typeIfLj2EEffffjfiS5_IjLj3EEiiiiiiiiiiiliiliiiiil.num_agpr, max(0, .L_ZL14no_device_codePKciS0_iS0_.num_agpr)
	.set _ZL15flash_attn_tileILi64ELi64ELi1ELi8ELb1EEvPKcS1_S1_S1_S1_PKiPfP15HIP_vector_typeIfLj2EEffffjfiS5_IjLj3EEiiiiiiiiiiiliiliiiiil.numbered_sgpr, max(33, .L_ZL14no_device_codePKciS0_iS0_.numbered_sgpr)
	.set _ZL15flash_attn_tileILi64ELi64ELi1ELi8ELb1EEvPKcS1_S1_S1_S1_PKiPfP15HIP_vector_typeIfLj2EEffffjfiS5_IjLj3EEiiiiiiiiiiiliiliiiiil.num_named_barrier, max(0, .L_ZL14no_device_codePKciS0_iS0_.num_named_barrier)
	.set _ZL15flash_attn_tileILi64ELi64ELi1ELi8ELb1EEvPKcS1_S1_S1_S1_PKiPfP15HIP_vector_typeIfLj2EEffffjfiS5_IjLj3EEiiiiiiiiiiiliiliiiiil.private_seg_size, 0+max(.L_ZL14no_device_codePKciS0_iS0_.private_seg_size)
	.set _ZL15flash_attn_tileILi64ELi64ELi1ELi8ELb1EEvPKcS1_S1_S1_S1_PKiPfP15HIP_vector_typeIfLj2EEffffjfiS5_IjLj3EEiiiiiiiiiiiliiliiiiil.uses_vcc, or(1, .L_ZL14no_device_codePKciS0_iS0_.uses_vcc)
	.set _ZL15flash_attn_tileILi64ELi64ELi1ELi8ELb1EEvPKcS1_S1_S1_S1_PKiPfP15HIP_vector_typeIfLj2EEffffjfiS5_IjLj3EEiiiiiiiiiiiliiliiiiil.uses_flat_scratch, or(0, .L_ZL14no_device_codePKciS0_iS0_.uses_flat_scratch)
	.set _ZL15flash_attn_tileILi64ELi64ELi1ELi8ELb1EEvPKcS1_S1_S1_S1_PKiPfP15HIP_vector_typeIfLj2EEffffjfiS5_IjLj3EEiiiiiiiiiiiliiliiiiil.has_dyn_sized_stack, or(0, .L_ZL14no_device_codePKciS0_iS0_.has_dyn_sized_stack)
	.set _ZL15flash_attn_tileILi64ELi64ELi1ELi8ELb1EEvPKcS1_S1_S1_S1_PKiPfP15HIP_vector_typeIfLj2EEffffjfiS5_IjLj3EEiiiiiiiiiiiliiliiiiil.has_recursion, or(0, .L_ZL14no_device_codePKciS0_iS0_.has_recursion)
	.set _ZL15flash_attn_tileILi64ELi64ELi1ELi8ELb1EEvPKcS1_S1_S1_S1_PKiPfP15HIP_vector_typeIfLj2EEffffjfiS5_IjLj3EEiiiiiiiiiiiliiliiiiil.has_indirect_call, or(0, .L_ZL14no_device_codePKciS0_iS0_.has_indirect_call)
	.section	.AMDGPU.csdata,"",@progbits
; Kernel info:
; codeLenInByte = 40
; TotalNumSgprs: 40
; NumVgprs: 50
; NumAgprs: 0
; TotalNumVgprs: 50
; ScratchSize: 16
; MemoryBound: 0
; FloatMode: 240
; IeeeMode: 1
; LDSByteSize: 0 bytes/workgroup (compile time only)
; SGPRBlocks: 4
; VGPRBlocks: 6
; NumSGPRsForWavesPerEU: 40
; NumVGPRsForWavesPerEU: 50
; AccumOffset: 52
; Occupancy: 8
; WaveLimiterHint : 1
; COMPUTE_PGM_RSRC2:SCRATCH_EN: 1
; COMPUTE_PGM_RSRC2:USER_SGPR: 2
; COMPUTE_PGM_RSRC2:TRAP_HANDLER: 0
; COMPUTE_PGM_RSRC2:TGID_X_EN: 1
; COMPUTE_PGM_RSRC2:TGID_Y_EN: 0
; COMPUTE_PGM_RSRC2:TGID_Z_EN: 0
; COMPUTE_PGM_RSRC2:TIDIG_COMP_CNT: 0
; COMPUTE_PGM_RSRC3_GFX90A:ACCUM_OFFSET: 12
; COMPUTE_PGM_RSRC3_GFX90A:TG_SPLIT: 0
	.section	.text._ZL15flash_attn_tileILi64ELi64ELi16ELi4ELb1EEvPKcS1_S1_S1_S1_PKiPfP15HIP_vector_typeIfLj2EEffffjfiS5_IjLj3EEiiiiiiiiiiiliiliiiiil,"axG",@progbits,_ZL15flash_attn_tileILi64ELi64ELi16ELi4ELb1EEvPKcS1_S1_S1_S1_PKiPfP15HIP_vector_typeIfLj2EEffffjfiS5_IjLj3EEiiiiiiiiiiiliiliiiiil,comdat
	.globl	_ZL15flash_attn_tileILi64ELi64ELi16ELi4ELb1EEvPKcS1_S1_S1_S1_PKiPfP15HIP_vector_typeIfLj2EEffffjfiS5_IjLj3EEiiiiiiiiiiiliiliiiiil ; -- Begin function _ZL15flash_attn_tileILi64ELi64ELi16ELi4ELb1EEvPKcS1_S1_S1_S1_PKiPfP15HIP_vector_typeIfLj2EEffffjfiS5_IjLj3EEiiiiiiiiiiiliiliiiiil
	.p2align	8
	.type	_ZL15flash_attn_tileILi64ELi64ELi16ELi4ELb1EEvPKcS1_S1_S1_S1_PKiPfP15HIP_vector_typeIfLj2EEffffjfiS5_IjLj3EEiiiiiiiiiiiliiliiiiil,@function
_ZL15flash_attn_tileILi64ELi64ELi16ELi4ELb1EEvPKcS1_S1_S1_S1_PKiPfP15HIP_vector_typeIfLj2EEffffjfiS5_IjLj3EEiiiiiiiiiiiliiliiiiil: ; @_ZL15flash_attn_tileILi64ELi64ELi16ELi4ELb1EEvPKcS1_S1_S1_S1_PKiPfP15HIP_vector_typeIfLj2EEffffjfiS5_IjLj3EEiiiiiiiiiiiliiliiiiil
; %bb.0:
	s_add_u32 s8, s0, 0xd0
	s_addc_u32 s9, s1, 0
	s_getpc_b64 s[0:1]
	s_add_u32 s0, s0, _ZL14no_device_codePKciS0_iS0_@rel32@lo+4
	s_addc_u32 s1, s1, _ZL14no_device_codePKciS0_iS0_@rel32@hi+12
	s_mov_b32 s32, 0
	s_swappc_b64 s[30:31], s[0:1]
	.section	.rodata,"a",@progbits
	.p2align	6, 0x0
	.amdhsa_kernel _ZL15flash_attn_tileILi64ELi64ELi16ELi4ELb1EEvPKcS1_S1_S1_S1_PKiPfP15HIP_vector_typeIfLj2EEffffjfiS5_IjLj3EEiiiiiiiiiiiliiliiiiil
		.amdhsa_group_segment_fixed_size 0
		.amdhsa_private_segment_fixed_size 16
		.amdhsa_kernarg_size 464
		.amdhsa_user_sgpr_count 2
		.amdhsa_user_sgpr_dispatch_ptr 0
		.amdhsa_user_sgpr_queue_ptr 0
		.amdhsa_user_sgpr_kernarg_segment_ptr 1
		.amdhsa_user_sgpr_dispatch_id 0
		.amdhsa_user_sgpr_kernarg_preload_length 0
		.amdhsa_user_sgpr_kernarg_preload_offset 0
		.amdhsa_user_sgpr_private_segment_size 0
		.amdhsa_uses_dynamic_stack 0
		.amdhsa_enable_private_segment 1
		.amdhsa_system_sgpr_workgroup_id_x 1
		.amdhsa_system_sgpr_workgroup_id_y 0
		.amdhsa_system_sgpr_workgroup_id_z 0
		.amdhsa_system_sgpr_workgroup_info 0
		.amdhsa_system_vgpr_workitem_id 0
		.amdhsa_next_free_vgpr 50
		.amdhsa_next_free_sgpr 34
		.amdhsa_accum_offset 52
		.amdhsa_reserve_vcc 1
		.amdhsa_float_round_mode_32 0
		.amdhsa_float_round_mode_16_64 0
		.amdhsa_float_denorm_mode_32 3
		.amdhsa_float_denorm_mode_16_64 3
		.amdhsa_dx10_clamp 1
		.amdhsa_ieee_mode 1
		.amdhsa_fp16_overflow 0
		.amdhsa_tg_split 0
		.amdhsa_exception_fp_ieee_invalid_op 0
		.amdhsa_exception_fp_denorm_src 0
		.amdhsa_exception_fp_ieee_div_zero 0
		.amdhsa_exception_fp_ieee_overflow 0
		.amdhsa_exception_fp_ieee_underflow 0
		.amdhsa_exception_fp_ieee_inexact 0
		.amdhsa_exception_int_div_zero 0
	.end_amdhsa_kernel
	.section	.text._ZL15flash_attn_tileILi64ELi64ELi16ELi4ELb1EEvPKcS1_S1_S1_S1_PKiPfP15HIP_vector_typeIfLj2EEffffjfiS5_IjLj3EEiiiiiiiiiiiliiliiiiil,"axG",@progbits,_ZL15flash_attn_tileILi64ELi64ELi16ELi4ELb1EEvPKcS1_S1_S1_S1_PKiPfP15HIP_vector_typeIfLj2EEffffjfiS5_IjLj3EEiiiiiiiiiiiliiliiiiil,comdat
.Lfunc_end78:
	.size	_ZL15flash_attn_tileILi64ELi64ELi16ELi4ELb1EEvPKcS1_S1_S1_S1_PKiPfP15HIP_vector_typeIfLj2EEffffjfiS5_IjLj3EEiiiiiiiiiiiliiliiiiil, .Lfunc_end78-_ZL15flash_attn_tileILi64ELi64ELi16ELi4ELb1EEvPKcS1_S1_S1_S1_PKiPfP15HIP_vector_typeIfLj2EEffffjfiS5_IjLj3EEiiiiiiiiiiiliiliiiiil
                                        ; -- End function
	.set _ZL15flash_attn_tileILi64ELi64ELi16ELi4ELb1EEvPKcS1_S1_S1_S1_PKiPfP15HIP_vector_typeIfLj2EEffffjfiS5_IjLj3EEiiiiiiiiiiiliiliiiiil.num_vgpr, max(0, .L_ZL14no_device_codePKciS0_iS0_.num_vgpr)
	.set _ZL15flash_attn_tileILi64ELi64ELi16ELi4ELb1EEvPKcS1_S1_S1_S1_PKiPfP15HIP_vector_typeIfLj2EEffffjfiS5_IjLj3EEiiiiiiiiiiiliiliiiiil.num_agpr, max(0, .L_ZL14no_device_codePKciS0_iS0_.num_agpr)
	.set _ZL15flash_attn_tileILi64ELi64ELi16ELi4ELb1EEvPKcS1_S1_S1_S1_PKiPfP15HIP_vector_typeIfLj2EEffffjfiS5_IjLj3EEiiiiiiiiiiiliiliiiiil.numbered_sgpr, max(33, .L_ZL14no_device_codePKciS0_iS0_.numbered_sgpr)
	.set _ZL15flash_attn_tileILi64ELi64ELi16ELi4ELb1EEvPKcS1_S1_S1_S1_PKiPfP15HIP_vector_typeIfLj2EEffffjfiS5_IjLj3EEiiiiiiiiiiiliiliiiiil.num_named_barrier, max(0, .L_ZL14no_device_codePKciS0_iS0_.num_named_barrier)
	.set _ZL15flash_attn_tileILi64ELi64ELi16ELi4ELb1EEvPKcS1_S1_S1_S1_PKiPfP15HIP_vector_typeIfLj2EEffffjfiS5_IjLj3EEiiiiiiiiiiiliiliiiiil.private_seg_size, 0+max(.L_ZL14no_device_codePKciS0_iS0_.private_seg_size)
	.set _ZL15flash_attn_tileILi64ELi64ELi16ELi4ELb1EEvPKcS1_S1_S1_S1_PKiPfP15HIP_vector_typeIfLj2EEffffjfiS5_IjLj3EEiiiiiiiiiiiliiliiiiil.uses_vcc, or(1, .L_ZL14no_device_codePKciS0_iS0_.uses_vcc)
	.set _ZL15flash_attn_tileILi64ELi64ELi16ELi4ELb1EEvPKcS1_S1_S1_S1_PKiPfP15HIP_vector_typeIfLj2EEffffjfiS5_IjLj3EEiiiiiiiiiiiliiliiiiil.uses_flat_scratch, or(0, .L_ZL14no_device_codePKciS0_iS0_.uses_flat_scratch)
	.set _ZL15flash_attn_tileILi64ELi64ELi16ELi4ELb1EEvPKcS1_S1_S1_S1_PKiPfP15HIP_vector_typeIfLj2EEffffjfiS5_IjLj3EEiiiiiiiiiiiliiliiiiil.has_dyn_sized_stack, or(0, .L_ZL14no_device_codePKciS0_iS0_.has_dyn_sized_stack)
	.set _ZL15flash_attn_tileILi64ELi64ELi16ELi4ELb1EEvPKcS1_S1_S1_S1_PKiPfP15HIP_vector_typeIfLj2EEffffjfiS5_IjLj3EEiiiiiiiiiiiliiliiiiil.has_recursion, or(0, .L_ZL14no_device_codePKciS0_iS0_.has_recursion)
	.set _ZL15flash_attn_tileILi64ELi64ELi16ELi4ELb1EEvPKcS1_S1_S1_S1_PKiPfP15HIP_vector_typeIfLj2EEffffjfiS5_IjLj3EEiiiiiiiiiiiliiliiiiil.has_indirect_call, or(0, .L_ZL14no_device_codePKciS0_iS0_.has_indirect_call)
	.section	.AMDGPU.csdata,"",@progbits
; Kernel info:
; codeLenInByte = 40
; TotalNumSgprs: 40
; NumVgprs: 50
; NumAgprs: 0
; TotalNumVgprs: 50
; ScratchSize: 16
; MemoryBound: 0
; FloatMode: 240
; IeeeMode: 1
; LDSByteSize: 0 bytes/workgroup (compile time only)
; SGPRBlocks: 4
; VGPRBlocks: 6
; NumSGPRsForWavesPerEU: 40
; NumVGPRsForWavesPerEU: 50
; AccumOffset: 52
; Occupancy: 8
; WaveLimiterHint : 1
; COMPUTE_PGM_RSRC2:SCRATCH_EN: 1
; COMPUTE_PGM_RSRC2:USER_SGPR: 2
; COMPUTE_PGM_RSRC2:TRAP_HANDLER: 0
; COMPUTE_PGM_RSRC2:TGID_X_EN: 1
; COMPUTE_PGM_RSRC2:TGID_Y_EN: 0
; COMPUTE_PGM_RSRC2:TGID_Z_EN: 0
; COMPUTE_PGM_RSRC2:TIDIG_COMP_CNT: 0
; COMPUTE_PGM_RSRC3_GFX90A:ACCUM_OFFSET: 12
; COMPUTE_PGM_RSRC3_GFX90A:TG_SPLIT: 0
	.section	.text._ZL15flash_attn_tileILi64ELi64ELi8ELi4ELb1EEvPKcS1_S1_S1_S1_PKiPfP15HIP_vector_typeIfLj2EEffffjfiS5_IjLj3EEiiiiiiiiiiiliiliiiiil,"axG",@progbits,_ZL15flash_attn_tileILi64ELi64ELi8ELi4ELb1EEvPKcS1_S1_S1_S1_PKiPfP15HIP_vector_typeIfLj2EEffffjfiS5_IjLj3EEiiiiiiiiiiiliiliiiiil,comdat
	.globl	_ZL15flash_attn_tileILi64ELi64ELi8ELi4ELb1EEvPKcS1_S1_S1_S1_PKiPfP15HIP_vector_typeIfLj2EEffffjfiS5_IjLj3EEiiiiiiiiiiiliiliiiiil ; -- Begin function _ZL15flash_attn_tileILi64ELi64ELi8ELi4ELb1EEvPKcS1_S1_S1_S1_PKiPfP15HIP_vector_typeIfLj2EEffffjfiS5_IjLj3EEiiiiiiiiiiiliiliiiiil
	.p2align	8
	.type	_ZL15flash_attn_tileILi64ELi64ELi8ELi4ELb1EEvPKcS1_S1_S1_S1_PKiPfP15HIP_vector_typeIfLj2EEffffjfiS5_IjLj3EEiiiiiiiiiiiliiliiiiil,@function
_ZL15flash_attn_tileILi64ELi64ELi8ELi4ELb1EEvPKcS1_S1_S1_S1_PKiPfP15HIP_vector_typeIfLj2EEffffjfiS5_IjLj3EEiiiiiiiiiiiliiliiiiil: ; @_ZL15flash_attn_tileILi64ELi64ELi8ELi4ELb1EEvPKcS1_S1_S1_S1_PKiPfP15HIP_vector_typeIfLj2EEffffjfiS5_IjLj3EEiiiiiiiiiiiliiliiiiil
; %bb.0:
	s_add_u32 s8, s0, 0xd0
	s_addc_u32 s9, s1, 0
	s_getpc_b64 s[0:1]
	s_add_u32 s0, s0, _ZL14no_device_codePKciS0_iS0_@rel32@lo+4
	s_addc_u32 s1, s1, _ZL14no_device_codePKciS0_iS0_@rel32@hi+12
	s_mov_b32 s32, 0
	s_swappc_b64 s[30:31], s[0:1]
	.section	.rodata,"a",@progbits
	.p2align	6, 0x0
	.amdhsa_kernel _ZL15flash_attn_tileILi64ELi64ELi8ELi4ELb1EEvPKcS1_S1_S1_S1_PKiPfP15HIP_vector_typeIfLj2EEffffjfiS5_IjLj3EEiiiiiiiiiiiliiliiiiil
		.amdhsa_group_segment_fixed_size 0
		.amdhsa_private_segment_fixed_size 16
		.amdhsa_kernarg_size 464
		.amdhsa_user_sgpr_count 2
		.amdhsa_user_sgpr_dispatch_ptr 0
		.amdhsa_user_sgpr_queue_ptr 0
		.amdhsa_user_sgpr_kernarg_segment_ptr 1
		.amdhsa_user_sgpr_dispatch_id 0
		.amdhsa_user_sgpr_kernarg_preload_length 0
		.amdhsa_user_sgpr_kernarg_preload_offset 0
		.amdhsa_user_sgpr_private_segment_size 0
		.amdhsa_uses_dynamic_stack 0
		.amdhsa_enable_private_segment 1
		.amdhsa_system_sgpr_workgroup_id_x 1
		.amdhsa_system_sgpr_workgroup_id_y 0
		.amdhsa_system_sgpr_workgroup_id_z 0
		.amdhsa_system_sgpr_workgroup_info 0
		.amdhsa_system_vgpr_workitem_id 0
		.amdhsa_next_free_vgpr 50
		.amdhsa_next_free_sgpr 34
		.amdhsa_accum_offset 52
		.amdhsa_reserve_vcc 1
		.amdhsa_float_round_mode_32 0
		.amdhsa_float_round_mode_16_64 0
		.amdhsa_float_denorm_mode_32 3
		.amdhsa_float_denorm_mode_16_64 3
		.amdhsa_dx10_clamp 1
		.amdhsa_ieee_mode 1
		.amdhsa_fp16_overflow 0
		.amdhsa_tg_split 0
		.amdhsa_exception_fp_ieee_invalid_op 0
		.amdhsa_exception_fp_denorm_src 0
		.amdhsa_exception_fp_ieee_div_zero 0
		.amdhsa_exception_fp_ieee_overflow 0
		.amdhsa_exception_fp_ieee_underflow 0
		.amdhsa_exception_fp_ieee_inexact 0
		.amdhsa_exception_int_div_zero 0
	.end_amdhsa_kernel
	.section	.text._ZL15flash_attn_tileILi64ELi64ELi8ELi4ELb1EEvPKcS1_S1_S1_S1_PKiPfP15HIP_vector_typeIfLj2EEffffjfiS5_IjLj3EEiiiiiiiiiiiliiliiiiil,"axG",@progbits,_ZL15flash_attn_tileILi64ELi64ELi8ELi4ELb1EEvPKcS1_S1_S1_S1_PKiPfP15HIP_vector_typeIfLj2EEffffjfiS5_IjLj3EEiiiiiiiiiiiliiliiiiil,comdat
.Lfunc_end79:
	.size	_ZL15flash_attn_tileILi64ELi64ELi8ELi4ELb1EEvPKcS1_S1_S1_S1_PKiPfP15HIP_vector_typeIfLj2EEffffjfiS5_IjLj3EEiiiiiiiiiiiliiliiiiil, .Lfunc_end79-_ZL15flash_attn_tileILi64ELi64ELi8ELi4ELb1EEvPKcS1_S1_S1_S1_PKiPfP15HIP_vector_typeIfLj2EEffffjfiS5_IjLj3EEiiiiiiiiiiiliiliiiiil
                                        ; -- End function
	.set _ZL15flash_attn_tileILi64ELi64ELi8ELi4ELb1EEvPKcS1_S1_S1_S1_PKiPfP15HIP_vector_typeIfLj2EEffffjfiS5_IjLj3EEiiiiiiiiiiiliiliiiiil.num_vgpr, max(0, .L_ZL14no_device_codePKciS0_iS0_.num_vgpr)
	.set _ZL15flash_attn_tileILi64ELi64ELi8ELi4ELb1EEvPKcS1_S1_S1_S1_PKiPfP15HIP_vector_typeIfLj2EEffffjfiS5_IjLj3EEiiiiiiiiiiiliiliiiiil.num_agpr, max(0, .L_ZL14no_device_codePKciS0_iS0_.num_agpr)
	.set _ZL15flash_attn_tileILi64ELi64ELi8ELi4ELb1EEvPKcS1_S1_S1_S1_PKiPfP15HIP_vector_typeIfLj2EEffffjfiS5_IjLj3EEiiiiiiiiiiiliiliiiiil.numbered_sgpr, max(33, .L_ZL14no_device_codePKciS0_iS0_.numbered_sgpr)
	.set _ZL15flash_attn_tileILi64ELi64ELi8ELi4ELb1EEvPKcS1_S1_S1_S1_PKiPfP15HIP_vector_typeIfLj2EEffffjfiS5_IjLj3EEiiiiiiiiiiiliiliiiiil.num_named_barrier, max(0, .L_ZL14no_device_codePKciS0_iS0_.num_named_barrier)
	.set _ZL15flash_attn_tileILi64ELi64ELi8ELi4ELb1EEvPKcS1_S1_S1_S1_PKiPfP15HIP_vector_typeIfLj2EEffffjfiS5_IjLj3EEiiiiiiiiiiiliiliiiiil.private_seg_size, 0+max(.L_ZL14no_device_codePKciS0_iS0_.private_seg_size)
	.set _ZL15flash_attn_tileILi64ELi64ELi8ELi4ELb1EEvPKcS1_S1_S1_S1_PKiPfP15HIP_vector_typeIfLj2EEffffjfiS5_IjLj3EEiiiiiiiiiiiliiliiiiil.uses_vcc, or(1, .L_ZL14no_device_codePKciS0_iS0_.uses_vcc)
	.set _ZL15flash_attn_tileILi64ELi64ELi8ELi4ELb1EEvPKcS1_S1_S1_S1_PKiPfP15HIP_vector_typeIfLj2EEffffjfiS5_IjLj3EEiiiiiiiiiiiliiliiiiil.uses_flat_scratch, or(0, .L_ZL14no_device_codePKciS0_iS0_.uses_flat_scratch)
	.set _ZL15flash_attn_tileILi64ELi64ELi8ELi4ELb1EEvPKcS1_S1_S1_S1_PKiPfP15HIP_vector_typeIfLj2EEffffjfiS5_IjLj3EEiiiiiiiiiiiliiliiiiil.has_dyn_sized_stack, or(0, .L_ZL14no_device_codePKciS0_iS0_.has_dyn_sized_stack)
	.set _ZL15flash_attn_tileILi64ELi64ELi8ELi4ELb1EEvPKcS1_S1_S1_S1_PKiPfP15HIP_vector_typeIfLj2EEffffjfiS5_IjLj3EEiiiiiiiiiiiliiliiiiil.has_recursion, or(0, .L_ZL14no_device_codePKciS0_iS0_.has_recursion)
	.set _ZL15flash_attn_tileILi64ELi64ELi8ELi4ELb1EEvPKcS1_S1_S1_S1_PKiPfP15HIP_vector_typeIfLj2EEffffjfiS5_IjLj3EEiiiiiiiiiiiliiliiiiil.has_indirect_call, or(0, .L_ZL14no_device_codePKciS0_iS0_.has_indirect_call)
	.section	.AMDGPU.csdata,"",@progbits
; Kernel info:
; codeLenInByte = 40
; TotalNumSgprs: 40
; NumVgprs: 50
; NumAgprs: 0
; TotalNumVgprs: 50
; ScratchSize: 16
; MemoryBound: 0
; FloatMode: 240
; IeeeMode: 1
; LDSByteSize: 0 bytes/workgroup (compile time only)
; SGPRBlocks: 4
; VGPRBlocks: 6
; NumSGPRsForWavesPerEU: 40
; NumVGPRsForWavesPerEU: 50
; AccumOffset: 52
; Occupancy: 8
; WaveLimiterHint : 1
; COMPUTE_PGM_RSRC2:SCRATCH_EN: 1
; COMPUTE_PGM_RSRC2:USER_SGPR: 2
; COMPUTE_PGM_RSRC2:TRAP_HANDLER: 0
; COMPUTE_PGM_RSRC2:TGID_X_EN: 1
; COMPUTE_PGM_RSRC2:TGID_Y_EN: 0
; COMPUTE_PGM_RSRC2:TGID_Z_EN: 0
; COMPUTE_PGM_RSRC2:TIDIG_COMP_CNT: 0
; COMPUTE_PGM_RSRC3_GFX90A:ACCUM_OFFSET: 12
; COMPUTE_PGM_RSRC3_GFX90A:TG_SPLIT: 0
	.section	.text._ZL15flash_attn_tileILi64ELi64ELi4ELi4ELb1EEvPKcS1_S1_S1_S1_PKiPfP15HIP_vector_typeIfLj2EEffffjfiS5_IjLj3EEiiiiiiiiiiiliiliiiiil,"axG",@progbits,_ZL15flash_attn_tileILi64ELi64ELi4ELi4ELb1EEvPKcS1_S1_S1_S1_PKiPfP15HIP_vector_typeIfLj2EEffffjfiS5_IjLj3EEiiiiiiiiiiiliiliiiiil,comdat
	.globl	_ZL15flash_attn_tileILi64ELi64ELi4ELi4ELb1EEvPKcS1_S1_S1_S1_PKiPfP15HIP_vector_typeIfLj2EEffffjfiS5_IjLj3EEiiiiiiiiiiiliiliiiiil ; -- Begin function _ZL15flash_attn_tileILi64ELi64ELi4ELi4ELb1EEvPKcS1_S1_S1_S1_PKiPfP15HIP_vector_typeIfLj2EEffffjfiS5_IjLj3EEiiiiiiiiiiiliiliiiiil
	.p2align	8
	.type	_ZL15flash_attn_tileILi64ELi64ELi4ELi4ELb1EEvPKcS1_S1_S1_S1_PKiPfP15HIP_vector_typeIfLj2EEffffjfiS5_IjLj3EEiiiiiiiiiiiliiliiiiil,@function
_ZL15flash_attn_tileILi64ELi64ELi4ELi4ELb1EEvPKcS1_S1_S1_S1_PKiPfP15HIP_vector_typeIfLj2EEffffjfiS5_IjLj3EEiiiiiiiiiiiliiliiiiil: ; @_ZL15flash_attn_tileILi64ELi64ELi4ELi4ELb1EEvPKcS1_S1_S1_S1_PKiPfP15HIP_vector_typeIfLj2EEffffjfiS5_IjLj3EEiiiiiiiiiiiliiliiiiil
; %bb.0:
	s_add_u32 s8, s0, 0xd0
	s_addc_u32 s9, s1, 0
	s_getpc_b64 s[0:1]
	s_add_u32 s0, s0, _ZL14no_device_codePKciS0_iS0_@rel32@lo+4
	s_addc_u32 s1, s1, _ZL14no_device_codePKciS0_iS0_@rel32@hi+12
	s_mov_b32 s32, 0
	s_swappc_b64 s[30:31], s[0:1]
	.section	.rodata,"a",@progbits
	.p2align	6, 0x0
	.amdhsa_kernel _ZL15flash_attn_tileILi64ELi64ELi4ELi4ELb1EEvPKcS1_S1_S1_S1_PKiPfP15HIP_vector_typeIfLj2EEffffjfiS5_IjLj3EEiiiiiiiiiiiliiliiiiil
		.amdhsa_group_segment_fixed_size 0
		.amdhsa_private_segment_fixed_size 16
		.amdhsa_kernarg_size 464
		.amdhsa_user_sgpr_count 2
		.amdhsa_user_sgpr_dispatch_ptr 0
		.amdhsa_user_sgpr_queue_ptr 0
		.amdhsa_user_sgpr_kernarg_segment_ptr 1
		.amdhsa_user_sgpr_dispatch_id 0
		.amdhsa_user_sgpr_kernarg_preload_length 0
		.amdhsa_user_sgpr_kernarg_preload_offset 0
		.amdhsa_user_sgpr_private_segment_size 0
		.amdhsa_uses_dynamic_stack 0
		.amdhsa_enable_private_segment 1
		.amdhsa_system_sgpr_workgroup_id_x 1
		.amdhsa_system_sgpr_workgroup_id_y 0
		.amdhsa_system_sgpr_workgroup_id_z 0
		.amdhsa_system_sgpr_workgroup_info 0
		.amdhsa_system_vgpr_workitem_id 0
		.amdhsa_next_free_vgpr 50
		.amdhsa_next_free_sgpr 34
		.amdhsa_accum_offset 52
		.amdhsa_reserve_vcc 1
		.amdhsa_float_round_mode_32 0
		.amdhsa_float_round_mode_16_64 0
		.amdhsa_float_denorm_mode_32 3
		.amdhsa_float_denorm_mode_16_64 3
		.amdhsa_dx10_clamp 1
		.amdhsa_ieee_mode 1
		.amdhsa_fp16_overflow 0
		.amdhsa_tg_split 0
		.amdhsa_exception_fp_ieee_invalid_op 0
		.amdhsa_exception_fp_denorm_src 0
		.amdhsa_exception_fp_ieee_div_zero 0
		.amdhsa_exception_fp_ieee_overflow 0
		.amdhsa_exception_fp_ieee_underflow 0
		.amdhsa_exception_fp_ieee_inexact 0
		.amdhsa_exception_int_div_zero 0
	.end_amdhsa_kernel
	.section	.text._ZL15flash_attn_tileILi64ELi64ELi4ELi4ELb1EEvPKcS1_S1_S1_S1_PKiPfP15HIP_vector_typeIfLj2EEffffjfiS5_IjLj3EEiiiiiiiiiiiliiliiiiil,"axG",@progbits,_ZL15flash_attn_tileILi64ELi64ELi4ELi4ELb1EEvPKcS1_S1_S1_S1_PKiPfP15HIP_vector_typeIfLj2EEffffjfiS5_IjLj3EEiiiiiiiiiiiliiliiiiil,comdat
.Lfunc_end80:
	.size	_ZL15flash_attn_tileILi64ELi64ELi4ELi4ELb1EEvPKcS1_S1_S1_S1_PKiPfP15HIP_vector_typeIfLj2EEffffjfiS5_IjLj3EEiiiiiiiiiiiliiliiiiil, .Lfunc_end80-_ZL15flash_attn_tileILi64ELi64ELi4ELi4ELb1EEvPKcS1_S1_S1_S1_PKiPfP15HIP_vector_typeIfLj2EEffffjfiS5_IjLj3EEiiiiiiiiiiiliiliiiiil
                                        ; -- End function
	.set _ZL15flash_attn_tileILi64ELi64ELi4ELi4ELb1EEvPKcS1_S1_S1_S1_PKiPfP15HIP_vector_typeIfLj2EEffffjfiS5_IjLj3EEiiiiiiiiiiiliiliiiiil.num_vgpr, max(0, .L_ZL14no_device_codePKciS0_iS0_.num_vgpr)
	.set _ZL15flash_attn_tileILi64ELi64ELi4ELi4ELb1EEvPKcS1_S1_S1_S1_PKiPfP15HIP_vector_typeIfLj2EEffffjfiS5_IjLj3EEiiiiiiiiiiiliiliiiiil.num_agpr, max(0, .L_ZL14no_device_codePKciS0_iS0_.num_agpr)
	.set _ZL15flash_attn_tileILi64ELi64ELi4ELi4ELb1EEvPKcS1_S1_S1_S1_PKiPfP15HIP_vector_typeIfLj2EEffffjfiS5_IjLj3EEiiiiiiiiiiiliiliiiiil.numbered_sgpr, max(33, .L_ZL14no_device_codePKciS0_iS0_.numbered_sgpr)
	.set _ZL15flash_attn_tileILi64ELi64ELi4ELi4ELb1EEvPKcS1_S1_S1_S1_PKiPfP15HIP_vector_typeIfLj2EEffffjfiS5_IjLj3EEiiiiiiiiiiiliiliiiiil.num_named_barrier, max(0, .L_ZL14no_device_codePKciS0_iS0_.num_named_barrier)
	.set _ZL15flash_attn_tileILi64ELi64ELi4ELi4ELb1EEvPKcS1_S1_S1_S1_PKiPfP15HIP_vector_typeIfLj2EEffffjfiS5_IjLj3EEiiiiiiiiiiiliiliiiiil.private_seg_size, 0+max(.L_ZL14no_device_codePKciS0_iS0_.private_seg_size)
	.set _ZL15flash_attn_tileILi64ELi64ELi4ELi4ELb1EEvPKcS1_S1_S1_S1_PKiPfP15HIP_vector_typeIfLj2EEffffjfiS5_IjLj3EEiiiiiiiiiiiliiliiiiil.uses_vcc, or(1, .L_ZL14no_device_codePKciS0_iS0_.uses_vcc)
	.set _ZL15flash_attn_tileILi64ELi64ELi4ELi4ELb1EEvPKcS1_S1_S1_S1_PKiPfP15HIP_vector_typeIfLj2EEffffjfiS5_IjLj3EEiiiiiiiiiiiliiliiiiil.uses_flat_scratch, or(0, .L_ZL14no_device_codePKciS0_iS0_.uses_flat_scratch)
	.set _ZL15flash_attn_tileILi64ELi64ELi4ELi4ELb1EEvPKcS1_S1_S1_S1_PKiPfP15HIP_vector_typeIfLj2EEffffjfiS5_IjLj3EEiiiiiiiiiiiliiliiiiil.has_dyn_sized_stack, or(0, .L_ZL14no_device_codePKciS0_iS0_.has_dyn_sized_stack)
	.set _ZL15flash_attn_tileILi64ELi64ELi4ELi4ELb1EEvPKcS1_S1_S1_S1_PKiPfP15HIP_vector_typeIfLj2EEffffjfiS5_IjLj3EEiiiiiiiiiiiliiliiiiil.has_recursion, or(0, .L_ZL14no_device_codePKciS0_iS0_.has_recursion)
	.set _ZL15flash_attn_tileILi64ELi64ELi4ELi4ELb1EEvPKcS1_S1_S1_S1_PKiPfP15HIP_vector_typeIfLj2EEffffjfiS5_IjLj3EEiiiiiiiiiiiliiliiiiil.has_indirect_call, or(0, .L_ZL14no_device_codePKciS0_iS0_.has_indirect_call)
	.section	.AMDGPU.csdata,"",@progbits
; Kernel info:
; codeLenInByte = 40
; TotalNumSgprs: 40
; NumVgprs: 50
; NumAgprs: 0
; TotalNumVgprs: 50
; ScratchSize: 16
; MemoryBound: 0
; FloatMode: 240
; IeeeMode: 1
; LDSByteSize: 0 bytes/workgroup (compile time only)
; SGPRBlocks: 4
; VGPRBlocks: 6
; NumSGPRsForWavesPerEU: 40
; NumVGPRsForWavesPerEU: 50
; AccumOffset: 52
; Occupancy: 8
; WaveLimiterHint : 1
; COMPUTE_PGM_RSRC2:SCRATCH_EN: 1
; COMPUTE_PGM_RSRC2:USER_SGPR: 2
; COMPUTE_PGM_RSRC2:TRAP_HANDLER: 0
; COMPUTE_PGM_RSRC2:TGID_X_EN: 1
; COMPUTE_PGM_RSRC2:TGID_Y_EN: 0
; COMPUTE_PGM_RSRC2:TGID_Z_EN: 0
; COMPUTE_PGM_RSRC2:TIDIG_COMP_CNT: 0
; COMPUTE_PGM_RSRC3_GFX90A:ACCUM_OFFSET: 12
; COMPUTE_PGM_RSRC3_GFX90A:TG_SPLIT: 0
	.section	.text._ZL15flash_attn_tileILi64ELi64ELi2ELi4ELb1EEvPKcS1_S1_S1_S1_PKiPfP15HIP_vector_typeIfLj2EEffffjfiS5_IjLj3EEiiiiiiiiiiiliiliiiiil,"axG",@progbits,_ZL15flash_attn_tileILi64ELi64ELi2ELi4ELb1EEvPKcS1_S1_S1_S1_PKiPfP15HIP_vector_typeIfLj2EEffffjfiS5_IjLj3EEiiiiiiiiiiiliiliiiiil,comdat
	.globl	_ZL15flash_attn_tileILi64ELi64ELi2ELi4ELb1EEvPKcS1_S1_S1_S1_PKiPfP15HIP_vector_typeIfLj2EEffffjfiS5_IjLj3EEiiiiiiiiiiiliiliiiiil ; -- Begin function _ZL15flash_attn_tileILi64ELi64ELi2ELi4ELb1EEvPKcS1_S1_S1_S1_PKiPfP15HIP_vector_typeIfLj2EEffffjfiS5_IjLj3EEiiiiiiiiiiiliiliiiiil
	.p2align	8
	.type	_ZL15flash_attn_tileILi64ELi64ELi2ELi4ELb1EEvPKcS1_S1_S1_S1_PKiPfP15HIP_vector_typeIfLj2EEffffjfiS5_IjLj3EEiiiiiiiiiiiliiliiiiil,@function
_ZL15flash_attn_tileILi64ELi64ELi2ELi4ELb1EEvPKcS1_S1_S1_S1_PKiPfP15HIP_vector_typeIfLj2EEffffjfiS5_IjLj3EEiiiiiiiiiiiliiliiiiil: ; @_ZL15flash_attn_tileILi64ELi64ELi2ELi4ELb1EEvPKcS1_S1_S1_S1_PKiPfP15HIP_vector_typeIfLj2EEffffjfiS5_IjLj3EEiiiiiiiiiiiliiliiiiil
; %bb.0:
	s_add_u32 s8, s0, 0xd0
	s_addc_u32 s9, s1, 0
	s_getpc_b64 s[0:1]
	s_add_u32 s0, s0, _ZL14no_device_codePKciS0_iS0_@rel32@lo+4
	s_addc_u32 s1, s1, _ZL14no_device_codePKciS0_iS0_@rel32@hi+12
	s_mov_b32 s32, 0
	s_swappc_b64 s[30:31], s[0:1]
	.section	.rodata,"a",@progbits
	.p2align	6, 0x0
	.amdhsa_kernel _ZL15flash_attn_tileILi64ELi64ELi2ELi4ELb1EEvPKcS1_S1_S1_S1_PKiPfP15HIP_vector_typeIfLj2EEffffjfiS5_IjLj3EEiiiiiiiiiiiliiliiiiil
		.amdhsa_group_segment_fixed_size 0
		.amdhsa_private_segment_fixed_size 16
		.amdhsa_kernarg_size 464
		.amdhsa_user_sgpr_count 2
		.amdhsa_user_sgpr_dispatch_ptr 0
		.amdhsa_user_sgpr_queue_ptr 0
		.amdhsa_user_sgpr_kernarg_segment_ptr 1
		.amdhsa_user_sgpr_dispatch_id 0
		.amdhsa_user_sgpr_kernarg_preload_length 0
		.amdhsa_user_sgpr_kernarg_preload_offset 0
		.amdhsa_user_sgpr_private_segment_size 0
		.amdhsa_uses_dynamic_stack 0
		.amdhsa_enable_private_segment 1
		.amdhsa_system_sgpr_workgroup_id_x 1
		.amdhsa_system_sgpr_workgroup_id_y 0
		.amdhsa_system_sgpr_workgroup_id_z 0
		.amdhsa_system_sgpr_workgroup_info 0
		.amdhsa_system_vgpr_workitem_id 0
		.amdhsa_next_free_vgpr 50
		.amdhsa_next_free_sgpr 34
		.amdhsa_accum_offset 52
		.amdhsa_reserve_vcc 1
		.amdhsa_float_round_mode_32 0
		.amdhsa_float_round_mode_16_64 0
		.amdhsa_float_denorm_mode_32 3
		.amdhsa_float_denorm_mode_16_64 3
		.amdhsa_dx10_clamp 1
		.amdhsa_ieee_mode 1
		.amdhsa_fp16_overflow 0
		.amdhsa_tg_split 0
		.amdhsa_exception_fp_ieee_invalid_op 0
		.amdhsa_exception_fp_denorm_src 0
		.amdhsa_exception_fp_ieee_div_zero 0
		.amdhsa_exception_fp_ieee_overflow 0
		.amdhsa_exception_fp_ieee_underflow 0
		.amdhsa_exception_fp_ieee_inexact 0
		.amdhsa_exception_int_div_zero 0
	.end_amdhsa_kernel
	.section	.text._ZL15flash_attn_tileILi64ELi64ELi2ELi4ELb1EEvPKcS1_S1_S1_S1_PKiPfP15HIP_vector_typeIfLj2EEffffjfiS5_IjLj3EEiiiiiiiiiiiliiliiiiil,"axG",@progbits,_ZL15flash_attn_tileILi64ELi64ELi2ELi4ELb1EEvPKcS1_S1_S1_S1_PKiPfP15HIP_vector_typeIfLj2EEffffjfiS5_IjLj3EEiiiiiiiiiiiliiliiiiil,comdat
.Lfunc_end81:
	.size	_ZL15flash_attn_tileILi64ELi64ELi2ELi4ELb1EEvPKcS1_S1_S1_S1_PKiPfP15HIP_vector_typeIfLj2EEffffjfiS5_IjLj3EEiiiiiiiiiiiliiliiiiil, .Lfunc_end81-_ZL15flash_attn_tileILi64ELi64ELi2ELi4ELb1EEvPKcS1_S1_S1_S1_PKiPfP15HIP_vector_typeIfLj2EEffffjfiS5_IjLj3EEiiiiiiiiiiiliiliiiiil
                                        ; -- End function
	.set _ZL15flash_attn_tileILi64ELi64ELi2ELi4ELb1EEvPKcS1_S1_S1_S1_PKiPfP15HIP_vector_typeIfLj2EEffffjfiS5_IjLj3EEiiiiiiiiiiiliiliiiiil.num_vgpr, max(0, .L_ZL14no_device_codePKciS0_iS0_.num_vgpr)
	.set _ZL15flash_attn_tileILi64ELi64ELi2ELi4ELb1EEvPKcS1_S1_S1_S1_PKiPfP15HIP_vector_typeIfLj2EEffffjfiS5_IjLj3EEiiiiiiiiiiiliiliiiiil.num_agpr, max(0, .L_ZL14no_device_codePKciS0_iS0_.num_agpr)
	.set _ZL15flash_attn_tileILi64ELi64ELi2ELi4ELb1EEvPKcS1_S1_S1_S1_PKiPfP15HIP_vector_typeIfLj2EEffffjfiS5_IjLj3EEiiiiiiiiiiiliiliiiiil.numbered_sgpr, max(33, .L_ZL14no_device_codePKciS0_iS0_.numbered_sgpr)
	.set _ZL15flash_attn_tileILi64ELi64ELi2ELi4ELb1EEvPKcS1_S1_S1_S1_PKiPfP15HIP_vector_typeIfLj2EEffffjfiS5_IjLj3EEiiiiiiiiiiiliiliiiiil.num_named_barrier, max(0, .L_ZL14no_device_codePKciS0_iS0_.num_named_barrier)
	.set _ZL15flash_attn_tileILi64ELi64ELi2ELi4ELb1EEvPKcS1_S1_S1_S1_PKiPfP15HIP_vector_typeIfLj2EEffffjfiS5_IjLj3EEiiiiiiiiiiiliiliiiiil.private_seg_size, 0+max(.L_ZL14no_device_codePKciS0_iS0_.private_seg_size)
	.set _ZL15flash_attn_tileILi64ELi64ELi2ELi4ELb1EEvPKcS1_S1_S1_S1_PKiPfP15HIP_vector_typeIfLj2EEffffjfiS5_IjLj3EEiiiiiiiiiiiliiliiiiil.uses_vcc, or(1, .L_ZL14no_device_codePKciS0_iS0_.uses_vcc)
	.set _ZL15flash_attn_tileILi64ELi64ELi2ELi4ELb1EEvPKcS1_S1_S1_S1_PKiPfP15HIP_vector_typeIfLj2EEffffjfiS5_IjLj3EEiiiiiiiiiiiliiliiiiil.uses_flat_scratch, or(0, .L_ZL14no_device_codePKciS0_iS0_.uses_flat_scratch)
	.set _ZL15flash_attn_tileILi64ELi64ELi2ELi4ELb1EEvPKcS1_S1_S1_S1_PKiPfP15HIP_vector_typeIfLj2EEffffjfiS5_IjLj3EEiiiiiiiiiiiliiliiiiil.has_dyn_sized_stack, or(0, .L_ZL14no_device_codePKciS0_iS0_.has_dyn_sized_stack)
	.set _ZL15flash_attn_tileILi64ELi64ELi2ELi4ELb1EEvPKcS1_S1_S1_S1_PKiPfP15HIP_vector_typeIfLj2EEffffjfiS5_IjLj3EEiiiiiiiiiiiliiliiiiil.has_recursion, or(0, .L_ZL14no_device_codePKciS0_iS0_.has_recursion)
	.set _ZL15flash_attn_tileILi64ELi64ELi2ELi4ELb1EEvPKcS1_S1_S1_S1_PKiPfP15HIP_vector_typeIfLj2EEffffjfiS5_IjLj3EEiiiiiiiiiiiliiliiiiil.has_indirect_call, or(0, .L_ZL14no_device_codePKciS0_iS0_.has_indirect_call)
	.section	.AMDGPU.csdata,"",@progbits
; Kernel info:
; codeLenInByte = 40
; TotalNumSgprs: 40
; NumVgprs: 50
; NumAgprs: 0
; TotalNumVgprs: 50
; ScratchSize: 16
; MemoryBound: 0
; FloatMode: 240
; IeeeMode: 1
; LDSByteSize: 0 bytes/workgroup (compile time only)
; SGPRBlocks: 4
; VGPRBlocks: 6
; NumSGPRsForWavesPerEU: 40
; NumVGPRsForWavesPerEU: 50
; AccumOffset: 52
; Occupancy: 8
; WaveLimiterHint : 1
; COMPUTE_PGM_RSRC2:SCRATCH_EN: 1
; COMPUTE_PGM_RSRC2:USER_SGPR: 2
; COMPUTE_PGM_RSRC2:TRAP_HANDLER: 0
; COMPUTE_PGM_RSRC2:TGID_X_EN: 1
; COMPUTE_PGM_RSRC2:TGID_Y_EN: 0
; COMPUTE_PGM_RSRC2:TGID_Z_EN: 0
; COMPUTE_PGM_RSRC2:TIDIG_COMP_CNT: 0
; COMPUTE_PGM_RSRC3_GFX90A:ACCUM_OFFSET: 12
; COMPUTE_PGM_RSRC3_GFX90A:TG_SPLIT: 0
	.section	.text._ZL15flash_attn_tileILi64ELi64ELi1ELi4ELb1EEvPKcS1_S1_S1_S1_PKiPfP15HIP_vector_typeIfLj2EEffffjfiS5_IjLj3EEiiiiiiiiiiiliiliiiiil,"axG",@progbits,_ZL15flash_attn_tileILi64ELi64ELi1ELi4ELb1EEvPKcS1_S1_S1_S1_PKiPfP15HIP_vector_typeIfLj2EEffffjfiS5_IjLj3EEiiiiiiiiiiiliiliiiiil,comdat
	.globl	_ZL15flash_attn_tileILi64ELi64ELi1ELi4ELb1EEvPKcS1_S1_S1_S1_PKiPfP15HIP_vector_typeIfLj2EEffffjfiS5_IjLj3EEiiiiiiiiiiiliiliiiiil ; -- Begin function _ZL15flash_attn_tileILi64ELi64ELi1ELi4ELb1EEvPKcS1_S1_S1_S1_PKiPfP15HIP_vector_typeIfLj2EEffffjfiS5_IjLj3EEiiiiiiiiiiiliiliiiiil
	.p2align	8
	.type	_ZL15flash_attn_tileILi64ELi64ELi1ELi4ELb1EEvPKcS1_S1_S1_S1_PKiPfP15HIP_vector_typeIfLj2EEffffjfiS5_IjLj3EEiiiiiiiiiiiliiliiiiil,@function
_ZL15flash_attn_tileILi64ELi64ELi1ELi4ELb1EEvPKcS1_S1_S1_S1_PKiPfP15HIP_vector_typeIfLj2EEffffjfiS5_IjLj3EEiiiiiiiiiiiliiliiiiil: ; @_ZL15flash_attn_tileILi64ELi64ELi1ELi4ELb1EEvPKcS1_S1_S1_S1_PKiPfP15HIP_vector_typeIfLj2EEffffjfiS5_IjLj3EEiiiiiiiiiiiliiliiiiil
; %bb.0:
	s_add_u32 s8, s0, 0xd0
	s_addc_u32 s9, s1, 0
	s_getpc_b64 s[0:1]
	s_add_u32 s0, s0, _ZL14no_device_codePKciS0_iS0_@rel32@lo+4
	s_addc_u32 s1, s1, _ZL14no_device_codePKciS0_iS0_@rel32@hi+12
	s_mov_b32 s32, 0
	s_swappc_b64 s[30:31], s[0:1]
	.section	.rodata,"a",@progbits
	.p2align	6, 0x0
	.amdhsa_kernel _ZL15flash_attn_tileILi64ELi64ELi1ELi4ELb1EEvPKcS1_S1_S1_S1_PKiPfP15HIP_vector_typeIfLj2EEffffjfiS5_IjLj3EEiiiiiiiiiiiliiliiiiil
		.amdhsa_group_segment_fixed_size 0
		.amdhsa_private_segment_fixed_size 16
		.amdhsa_kernarg_size 464
		.amdhsa_user_sgpr_count 2
		.amdhsa_user_sgpr_dispatch_ptr 0
		.amdhsa_user_sgpr_queue_ptr 0
		.amdhsa_user_sgpr_kernarg_segment_ptr 1
		.amdhsa_user_sgpr_dispatch_id 0
		.amdhsa_user_sgpr_kernarg_preload_length 0
		.amdhsa_user_sgpr_kernarg_preload_offset 0
		.amdhsa_user_sgpr_private_segment_size 0
		.amdhsa_uses_dynamic_stack 0
		.amdhsa_enable_private_segment 1
		.amdhsa_system_sgpr_workgroup_id_x 1
		.amdhsa_system_sgpr_workgroup_id_y 0
		.amdhsa_system_sgpr_workgroup_id_z 0
		.amdhsa_system_sgpr_workgroup_info 0
		.amdhsa_system_vgpr_workitem_id 0
		.amdhsa_next_free_vgpr 50
		.amdhsa_next_free_sgpr 34
		.amdhsa_accum_offset 52
		.amdhsa_reserve_vcc 1
		.amdhsa_float_round_mode_32 0
		.amdhsa_float_round_mode_16_64 0
		.amdhsa_float_denorm_mode_32 3
		.amdhsa_float_denorm_mode_16_64 3
		.amdhsa_dx10_clamp 1
		.amdhsa_ieee_mode 1
		.amdhsa_fp16_overflow 0
		.amdhsa_tg_split 0
		.amdhsa_exception_fp_ieee_invalid_op 0
		.amdhsa_exception_fp_denorm_src 0
		.amdhsa_exception_fp_ieee_div_zero 0
		.amdhsa_exception_fp_ieee_overflow 0
		.amdhsa_exception_fp_ieee_underflow 0
		.amdhsa_exception_fp_ieee_inexact 0
		.amdhsa_exception_int_div_zero 0
	.end_amdhsa_kernel
	.section	.text._ZL15flash_attn_tileILi64ELi64ELi1ELi4ELb1EEvPKcS1_S1_S1_S1_PKiPfP15HIP_vector_typeIfLj2EEffffjfiS5_IjLj3EEiiiiiiiiiiiliiliiiiil,"axG",@progbits,_ZL15flash_attn_tileILi64ELi64ELi1ELi4ELb1EEvPKcS1_S1_S1_S1_PKiPfP15HIP_vector_typeIfLj2EEffffjfiS5_IjLj3EEiiiiiiiiiiiliiliiiiil,comdat
.Lfunc_end82:
	.size	_ZL15flash_attn_tileILi64ELi64ELi1ELi4ELb1EEvPKcS1_S1_S1_S1_PKiPfP15HIP_vector_typeIfLj2EEffffjfiS5_IjLj3EEiiiiiiiiiiiliiliiiiil, .Lfunc_end82-_ZL15flash_attn_tileILi64ELi64ELi1ELi4ELb1EEvPKcS1_S1_S1_S1_PKiPfP15HIP_vector_typeIfLj2EEffffjfiS5_IjLj3EEiiiiiiiiiiiliiliiiiil
                                        ; -- End function
	.set _ZL15flash_attn_tileILi64ELi64ELi1ELi4ELb1EEvPKcS1_S1_S1_S1_PKiPfP15HIP_vector_typeIfLj2EEffffjfiS5_IjLj3EEiiiiiiiiiiiliiliiiiil.num_vgpr, max(0, .L_ZL14no_device_codePKciS0_iS0_.num_vgpr)
	.set _ZL15flash_attn_tileILi64ELi64ELi1ELi4ELb1EEvPKcS1_S1_S1_S1_PKiPfP15HIP_vector_typeIfLj2EEffffjfiS5_IjLj3EEiiiiiiiiiiiliiliiiiil.num_agpr, max(0, .L_ZL14no_device_codePKciS0_iS0_.num_agpr)
	.set _ZL15flash_attn_tileILi64ELi64ELi1ELi4ELb1EEvPKcS1_S1_S1_S1_PKiPfP15HIP_vector_typeIfLj2EEffffjfiS5_IjLj3EEiiiiiiiiiiiliiliiiiil.numbered_sgpr, max(33, .L_ZL14no_device_codePKciS0_iS0_.numbered_sgpr)
	.set _ZL15flash_attn_tileILi64ELi64ELi1ELi4ELb1EEvPKcS1_S1_S1_S1_PKiPfP15HIP_vector_typeIfLj2EEffffjfiS5_IjLj3EEiiiiiiiiiiiliiliiiiil.num_named_barrier, max(0, .L_ZL14no_device_codePKciS0_iS0_.num_named_barrier)
	.set _ZL15flash_attn_tileILi64ELi64ELi1ELi4ELb1EEvPKcS1_S1_S1_S1_PKiPfP15HIP_vector_typeIfLj2EEffffjfiS5_IjLj3EEiiiiiiiiiiiliiliiiiil.private_seg_size, 0+max(.L_ZL14no_device_codePKciS0_iS0_.private_seg_size)
	.set _ZL15flash_attn_tileILi64ELi64ELi1ELi4ELb1EEvPKcS1_S1_S1_S1_PKiPfP15HIP_vector_typeIfLj2EEffffjfiS5_IjLj3EEiiiiiiiiiiiliiliiiiil.uses_vcc, or(1, .L_ZL14no_device_codePKciS0_iS0_.uses_vcc)
	.set _ZL15flash_attn_tileILi64ELi64ELi1ELi4ELb1EEvPKcS1_S1_S1_S1_PKiPfP15HIP_vector_typeIfLj2EEffffjfiS5_IjLj3EEiiiiiiiiiiiliiliiiiil.uses_flat_scratch, or(0, .L_ZL14no_device_codePKciS0_iS0_.uses_flat_scratch)
	.set _ZL15flash_attn_tileILi64ELi64ELi1ELi4ELb1EEvPKcS1_S1_S1_S1_PKiPfP15HIP_vector_typeIfLj2EEffffjfiS5_IjLj3EEiiiiiiiiiiiliiliiiiil.has_dyn_sized_stack, or(0, .L_ZL14no_device_codePKciS0_iS0_.has_dyn_sized_stack)
	.set _ZL15flash_attn_tileILi64ELi64ELi1ELi4ELb1EEvPKcS1_S1_S1_S1_PKiPfP15HIP_vector_typeIfLj2EEffffjfiS5_IjLj3EEiiiiiiiiiiiliiliiiiil.has_recursion, or(0, .L_ZL14no_device_codePKciS0_iS0_.has_recursion)
	.set _ZL15flash_attn_tileILi64ELi64ELi1ELi4ELb1EEvPKcS1_S1_S1_S1_PKiPfP15HIP_vector_typeIfLj2EEffffjfiS5_IjLj3EEiiiiiiiiiiiliiliiiiil.has_indirect_call, or(0, .L_ZL14no_device_codePKciS0_iS0_.has_indirect_call)
	.section	.AMDGPU.csdata,"",@progbits
; Kernel info:
; codeLenInByte = 40
; TotalNumSgprs: 40
; NumVgprs: 50
; NumAgprs: 0
; TotalNumVgprs: 50
; ScratchSize: 16
; MemoryBound: 0
; FloatMode: 240
; IeeeMode: 1
; LDSByteSize: 0 bytes/workgroup (compile time only)
; SGPRBlocks: 4
; VGPRBlocks: 6
; NumSGPRsForWavesPerEU: 40
; NumVGPRsForWavesPerEU: 50
; AccumOffset: 52
; Occupancy: 8
; WaveLimiterHint : 1
; COMPUTE_PGM_RSRC2:SCRATCH_EN: 1
; COMPUTE_PGM_RSRC2:USER_SGPR: 2
; COMPUTE_PGM_RSRC2:TRAP_HANDLER: 0
; COMPUTE_PGM_RSRC2:TGID_X_EN: 1
; COMPUTE_PGM_RSRC2:TGID_Y_EN: 0
; COMPUTE_PGM_RSRC2:TGID_Z_EN: 0
; COMPUTE_PGM_RSRC2:TIDIG_COMP_CNT: 0
; COMPUTE_PGM_RSRC3_GFX90A:ACCUM_OFFSET: 12
; COMPUTE_PGM_RSRC3_GFX90A:TG_SPLIT: 0
	.section	.text._ZL15flash_attn_tileILi64ELi64ELi32ELi2ELb1EEvPKcS1_S1_S1_S1_PKiPfP15HIP_vector_typeIfLj2EEffffjfiS5_IjLj3EEiiiiiiiiiiiliiliiiiil,"axG",@progbits,_ZL15flash_attn_tileILi64ELi64ELi32ELi2ELb1EEvPKcS1_S1_S1_S1_PKiPfP15HIP_vector_typeIfLj2EEffffjfiS5_IjLj3EEiiiiiiiiiiiliiliiiiil,comdat
	.globl	_ZL15flash_attn_tileILi64ELi64ELi32ELi2ELb1EEvPKcS1_S1_S1_S1_PKiPfP15HIP_vector_typeIfLj2EEffffjfiS5_IjLj3EEiiiiiiiiiiiliiliiiiil ; -- Begin function _ZL15flash_attn_tileILi64ELi64ELi32ELi2ELb1EEvPKcS1_S1_S1_S1_PKiPfP15HIP_vector_typeIfLj2EEffffjfiS5_IjLj3EEiiiiiiiiiiiliiliiiiil
	.p2align	8
	.type	_ZL15flash_attn_tileILi64ELi64ELi32ELi2ELb1EEvPKcS1_S1_S1_S1_PKiPfP15HIP_vector_typeIfLj2EEffffjfiS5_IjLj3EEiiiiiiiiiiiliiliiiiil,@function
_ZL15flash_attn_tileILi64ELi64ELi32ELi2ELb1EEvPKcS1_S1_S1_S1_PKiPfP15HIP_vector_typeIfLj2EEffffjfiS5_IjLj3EEiiiiiiiiiiiliiliiiiil: ; @_ZL15flash_attn_tileILi64ELi64ELi32ELi2ELb1EEvPKcS1_S1_S1_S1_PKiPfP15HIP_vector_typeIfLj2EEffffjfiS5_IjLj3EEiiiiiiiiiiiliiliiiiil
; %bb.0:
	s_add_u32 s8, s0, 0xd0
	s_addc_u32 s9, s1, 0
	s_getpc_b64 s[0:1]
	s_add_u32 s0, s0, _ZL14no_device_codePKciS0_iS0_@rel32@lo+4
	s_addc_u32 s1, s1, _ZL14no_device_codePKciS0_iS0_@rel32@hi+12
	s_mov_b32 s32, 0
	s_swappc_b64 s[30:31], s[0:1]
	.section	.rodata,"a",@progbits
	.p2align	6, 0x0
	.amdhsa_kernel _ZL15flash_attn_tileILi64ELi64ELi32ELi2ELb1EEvPKcS1_S1_S1_S1_PKiPfP15HIP_vector_typeIfLj2EEffffjfiS5_IjLj3EEiiiiiiiiiiiliiliiiiil
		.amdhsa_group_segment_fixed_size 0
		.amdhsa_private_segment_fixed_size 16
		.amdhsa_kernarg_size 464
		.amdhsa_user_sgpr_count 2
		.amdhsa_user_sgpr_dispatch_ptr 0
		.amdhsa_user_sgpr_queue_ptr 0
		.amdhsa_user_sgpr_kernarg_segment_ptr 1
		.amdhsa_user_sgpr_dispatch_id 0
		.amdhsa_user_sgpr_kernarg_preload_length 0
		.amdhsa_user_sgpr_kernarg_preload_offset 0
		.amdhsa_user_sgpr_private_segment_size 0
		.amdhsa_uses_dynamic_stack 0
		.amdhsa_enable_private_segment 1
		.amdhsa_system_sgpr_workgroup_id_x 1
		.amdhsa_system_sgpr_workgroup_id_y 0
		.amdhsa_system_sgpr_workgroup_id_z 0
		.amdhsa_system_sgpr_workgroup_info 0
		.amdhsa_system_vgpr_workitem_id 0
		.amdhsa_next_free_vgpr 50
		.amdhsa_next_free_sgpr 34
		.amdhsa_accum_offset 52
		.amdhsa_reserve_vcc 1
		.amdhsa_float_round_mode_32 0
		.amdhsa_float_round_mode_16_64 0
		.amdhsa_float_denorm_mode_32 3
		.amdhsa_float_denorm_mode_16_64 3
		.amdhsa_dx10_clamp 1
		.amdhsa_ieee_mode 1
		.amdhsa_fp16_overflow 0
		.amdhsa_tg_split 0
		.amdhsa_exception_fp_ieee_invalid_op 0
		.amdhsa_exception_fp_denorm_src 0
		.amdhsa_exception_fp_ieee_div_zero 0
		.amdhsa_exception_fp_ieee_overflow 0
		.amdhsa_exception_fp_ieee_underflow 0
		.amdhsa_exception_fp_ieee_inexact 0
		.amdhsa_exception_int_div_zero 0
	.end_amdhsa_kernel
	.section	.text._ZL15flash_attn_tileILi64ELi64ELi32ELi2ELb1EEvPKcS1_S1_S1_S1_PKiPfP15HIP_vector_typeIfLj2EEffffjfiS5_IjLj3EEiiiiiiiiiiiliiliiiiil,"axG",@progbits,_ZL15flash_attn_tileILi64ELi64ELi32ELi2ELb1EEvPKcS1_S1_S1_S1_PKiPfP15HIP_vector_typeIfLj2EEffffjfiS5_IjLj3EEiiiiiiiiiiiliiliiiiil,comdat
.Lfunc_end83:
	.size	_ZL15flash_attn_tileILi64ELi64ELi32ELi2ELb1EEvPKcS1_S1_S1_S1_PKiPfP15HIP_vector_typeIfLj2EEffffjfiS5_IjLj3EEiiiiiiiiiiiliiliiiiil, .Lfunc_end83-_ZL15flash_attn_tileILi64ELi64ELi32ELi2ELb1EEvPKcS1_S1_S1_S1_PKiPfP15HIP_vector_typeIfLj2EEffffjfiS5_IjLj3EEiiiiiiiiiiiliiliiiiil
                                        ; -- End function
	.set _ZL15flash_attn_tileILi64ELi64ELi32ELi2ELb1EEvPKcS1_S1_S1_S1_PKiPfP15HIP_vector_typeIfLj2EEffffjfiS5_IjLj3EEiiiiiiiiiiiliiliiiiil.num_vgpr, max(0, .L_ZL14no_device_codePKciS0_iS0_.num_vgpr)
	.set _ZL15flash_attn_tileILi64ELi64ELi32ELi2ELb1EEvPKcS1_S1_S1_S1_PKiPfP15HIP_vector_typeIfLj2EEffffjfiS5_IjLj3EEiiiiiiiiiiiliiliiiiil.num_agpr, max(0, .L_ZL14no_device_codePKciS0_iS0_.num_agpr)
	.set _ZL15flash_attn_tileILi64ELi64ELi32ELi2ELb1EEvPKcS1_S1_S1_S1_PKiPfP15HIP_vector_typeIfLj2EEffffjfiS5_IjLj3EEiiiiiiiiiiiliiliiiiil.numbered_sgpr, max(33, .L_ZL14no_device_codePKciS0_iS0_.numbered_sgpr)
	.set _ZL15flash_attn_tileILi64ELi64ELi32ELi2ELb1EEvPKcS1_S1_S1_S1_PKiPfP15HIP_vector_typeIfLj2EEffffjfiS5_IjLj3EEiiiiiiiiiiiliiliiiiil.num_named_barrier, max(0, .L_ZL14no_device_codePKciS0_iS0_.num_named_barrier)
	.set _ZL15flash_attn_tileILi64ELi64ELi32ELi2ELb1EEvPKcS1_S1_S1_S1_PKiPfP15HIP_vector_typeIfLj2EEffffjfiS5_IjLj3EEiiiiiiiiiiiliiliiiiil.private_seg_size, 0+max(.L_ZL14no_device_codePKciS0_iS0_.private_seg_size)
	.set _ZL15flash_attn_tileILi64ELi64ELi32ELi2ELb1EEvPKcS1_S1_S1_S1_PKiPfP15HIP_vector_typeIfLj2EEffffjfiS5_IjLj3EEiiiiiiiiiiiliiliiiiil.uses_vcc, or(1, .L_ZL14no_device_codePKciS0_iS0_.uses_vcc)
	.set _ZL15flash_attn_tileILi64ELi64ELi32ELi2ELb1EEvPKcS1_S1_S1_S1_PKiPfP15HIP_vector_typeIfLj2EEffffjfiS5_IjLj3EEiiiiiiiiiiiliiliiiiil.uses_flat_scratch, or(0, .L_ZL14no_device_codePKciS0_iS0_.uses_flat_scratch)
	.set _ZL15flash_attn_tileILi64ELi64ELi32ELi2ELb1EEvPKcS1_S1_S1_S1_PKiPfP15HIP_vector_typeIfLj2EEffffjfiS5_IjLj3EEiiiiiiiiiiiliiliiiiil.has_dyn_sized_stack, or(0, .L_ZL14no_device_codePKciS0_iS0_.has_dyn_sized_stack)
	.set _ZL15flash_attn_tileILi64ELi64ELi32ELi2ELb1EEvPKcS1_S1_S1_S1_PKiPfP15HIP_vector_typeIfLj2EEffffjfiS5_IjLj3EEiiiiiiiiiiiliiliiiiil.has_recursion, or(0, .L_ZL14no_device_codePKciS0_iS0_.has_recursion)
	.set _ZL15flash_attn_tileILi64ELi64ELi32ELi2ELb1EEvPKcS1_S1_S1_S1_PKiPfP15HIP_vector_typeIfLj2EEffffjfiS5_IjLj3EEiiiiiiiiiiiliiliiiiil.has_indirect_call, or(0, .L_ZL14no_device_codePKciS0_iS0_.has_indirect_call)
	.section	.AMDGPU.csdata,"",@progbits
; Kernel info:
; codeLenInByte = 40
; TotalNumSgprs: 40
; NumVgprs: 50
; NumAgprs: 0
; TotalNumVgprs: 50
; ScratchSize: 16
; MemoryBound: 0
; FloatMode: 240
; IeeeMode: 1
; LDSByteSize: 0 bytes/workgroup (compile time only)
; SGPRBlocks: 4
; VGPRBlocks: 6
; NumSGPRsForWavesPerEU: 40
; NumVGPRsForWavesPerEU: 50
; AccumOffset: 52
; Occupancy: 8
; WaveLimiterHint : 1
; COMPUTE_PGM_RSRC2:SCRATCH_EN: 1
; COMPUTE_PGM_RSRC2:USER_SGPR: 2
; COMPUTE_PGM_RSRC2:TRAP_HANDLER: 0
; COMPUTE_PGM_RSRC2:TGID_X_EN: 1
; COMPUTE_PGM_RSRC2:TGID_Y_EN: 0
; COMPUTE_PGM_RSRC2:TGID_Z_EN: 0
; COMPUTE_PGM_RSRC2:TIDIG_COMP_CNT: 0
; COMPUTE_PGM_RSRC3_GFX90A:ACCUM_OFFSET: 12
; COMPUTE_PGM_RSRC3_GFX90A:TG_SPLIT: 0
	.section	.text._ZL15flash_attn_tileILi64ELi64ELi16ELi2ELb1EEvPKcS1_S1_S1_S1_PKiPfP15HIP_vector_typeIfLj2EEffffjfiS5_IjLj3EEiiiiiiiiiiiliiliiiiil,"axG",@progbits,_ZL15flash_attn_tileILi64ELi64ELi16ELi2ELb1EEvPKcS1_S1_S1_S1_PKiPfP15HIP_vector_typeIfLj2EEffffjfiS5_IjLj3EEiiiiiiiiiiiliiliiiiil,comdat
	.globl	_ZL15flash_attn_tileILi64ELi64ELi16ELi2ELb1EEvPKcS1_S1_S1_S1_PKiPfP15HIP_vector_typeIfLj2EEffffjfiS5_IjLj3EEiiiiiiiiiiiliiliiiiil ; -- Begin function _ZL15flash_attn_tileILi64ELi64ELi16ELi2ELb1EEvPKcS1_S1_S1_S1_PKiPfP15HIP_vector_typeIfLj2EEffffjfiS5_IjLj3EEiiiiiiiiiiiliiliiiiil
	.p2align	8
	.type	_ZL15flash_attn_tileILi64ELi64ELi16ELi2ELb1EEvPKcS1_S1_S1_S1_PKiPfP15HIP_vector_typeIfLj2EEffffjfiS5_IjLj3EEiiiiiiiiiiiliiliiiiil,@function
_ZL15flash_attn_tileILi64ELi64ELi16ELi2ELb1EEvPKcS1_S1_S1_S1_PKiPfP15HIP_vector_typeIfLj2EEffffjfiS5_IjLj3EEiiiiiiiiiiiliiliiiiil: ; @_ZL15flash_attn_tileILi64ELi64ELi16ELi2ELb1EEvPKcS1_S1_S1_S1_PKiPfP15HIP_vector_typeIfLj2EEffffjfiS5_IjLj3EEiiiiiiiiiiiliiliiiiil
; %bb.0:
	s_add_u32 s8, s0, 0xd0
	s_addc_u32 s9, s1, 0
	s_getpc_b64 s[0:1]
	s_add_u32 s0, s0, _ZL14no_device_codePKciS0_iS0_@rel32@lo+4
	s_addc_u32 s1, s1, _ZL14no_device_codePKciS0_iS0_@rel32@hi+12
	s_mov_b32 s32, 0
	s_swappc_b64 s[30:31], s[0:1]
	.section	.rodata,"a",@progbits
	.p2align	6, 0x0
	.amdhsa_kernel _ZL15flash_attn_tileILi64ELi64ELi16ELi2ELb1EEvPKcS1_S1_S1_S1_PKiPfP15HIP_vector_typeIfLj2EEffffjfiS5_IjLj3EEiiiiiiiiiiiliiliiiiil
		.amdhsa_group_segment_fixed_size 0
		.amdhsa_private_segment_fixed_size 16
		.amdhsa_kernarg_size 464
		.amdhsa_user_sgpr_count 2
		.amdhsa_user_sgpr_dispatch_ptr 0
		.amdhsa_user_sgpr_queue_ptr 0
		.amdhsa_user_sgpr_kernarg_segment_ptr 1
		.amdhsa_user_sgpr_dispatch_id 0
		.amdhsa_user_sgpr_kernarg_preload_length 0
		.amdhsa_user_sgpr_kernarg_preload_offset 0
		.amdhsa_user_sgpr_private_segment_size 0
		.amdhsa_uses_dynamic_stack 0
		.amdhsa_enable_private_segment 1
		.amdhsa_system_sgpr_workgroup_id_x 1
		.amdhsa_system_sgpr_workgroup_id_y 0
		.amdhsa_system_sgpr_workgroup_id_z 0
		.amdhsa_system_sgpr_workgroup_info 0
		.amdhsa_system_vgpr_workitem_id 0
		.amdhsa_next_free_vgpr 50
		.amdhsa_next_free_sgpr 34
		.amdhsa_accum_offset 52
		.amdhsa_reserve_vcc 1
		.amdhsa_float_round_mode_32 0
		.amdhsa_float_round_mode_16_64 0
		.amdhsa_float_denorm_mode_32 3
		.amdhsa_float_denorm_mode_16_64 3
		.amdhsa_dx10_clamp 1
		.amdhsa_ieee_mode 1
		.amdhsa_fp16_overflow 0
		.amdhsa_tg_split 0
		.amdhsa_exception_fp_ieee_invalid_op 0
		.amdhsa_exception_fp_denorm_src 0
		.amdhsa_exception_fp_ieee_div_zero 0
		.amdhsa_exception_fp_ieee_overflow 0
		.amdhsa_exception_fp_ieee_underflow 0
		.amdhsa_exception_fp_ieee_inexact 0
		.amdhsa_exception_int_div_zero 0
	.end_amdhsa_kernel
	.section	.text._ZL15flash_attn_tileILi64ELi64ELi16ELi2ELb1EEvPKcS1_S1_S1_S1_PKiPfP15HIP_vector_typeIfLj2EEffffjfiS5_IjLj3EEiiiiiiiiiiiliiliiiiil,"axG",@progbits,_ZL15flash_attn_tileILi64ELi64ELi16ELi2ELb1EEvPKcS1_S1_S1_S1_PKiPfP15HIP_vector_typeIfLj2EEffffjfiS5_IjLj3EEiiiiiiiiiiiliiliiiiil,comdat
.Lfunc_end84:
	.size	_ZL15flash_attn_tileILi64ELi64ELi16ELi2ELb1EEvPKcS1_S1_S1_S1_PKiPfP15HIP_vector_typeIfLj2EEffffjfiS5_IjLj3EEiiiiiiiiiiiliiliiiiil, .Lfunc_end84-_ZL15flash_attn_tileILi64ELi64ELi16ELi2ELb1EEvPKcS1_S1_S1_S1_PKiPfP15HIP_vector_typeIfLj2EEffffjfiS5_IjLj3EEiiiiiiiiiiiliiliiiiil
                                        ; -- End function
	.set _ZL15flash_attn_tileILi64ELi64ELi16ELi2ELb1EEvPKcS1_S1_S1_S1_PKiPfP15HIP_vector_typeIfLj2EEffffjfiS5_IjLj3EEiiiiiiiiiiiliiliiiiil.num_vgpr, max(0, .L_ZL14no_device_codePKciS0_iS0_.num_vgpr)
	.set _ZL15flash_attn_tileILi64ELi64ELi16ELi2ELb1EEvPKcS1_S1_S1_S1_PKiPfP15HIP_vector_typeIfLj2EEffffjfiS5_IjLj3EEiiiiiiiiiiiliiliiiiil.num_agpr, max(0, .L_ZL14no_device_codePKciS0_iS0_.num_agpr)
	.set _ZL15flash_attn_tileILi64ELi64ELi16ELi2ELb1EEvPKcS1_S1_S1_S1_PKiPfP15HIP_vector_typeIfLj2EEffffjfiS5_IjLj3EEiiiiiiiiiiiliiliiiiil.numbered_sgpr, max(33, .L_ZL14no_device_codePKciS0_iS0_.numbered_sgpr)
	.set _ZL15flash_attn_tileILi64ELi64ELi16ELi2ELb1EEvPKcS1_S1_S1_S1_PKiPfP15HIP_vector_typeIfLj2EEffffjfiS5_IjLj3EEiiiiiiiiiiiliiliiiiil.num_named_barrier, max(0, .L_ZL14no_device_codePKciS0_iS0_.num_named_barrier)
	.set _ZL15flash_attn_tileILi64ELi64ELi16ELi2ELb1EEvPKcS1_S1_S1_S1_PKiPfP15HIP_vector_typeIfLj2EEffffjfiS5_IjLj3EEiiiiiiiiiiiliiliiiiil.private_seg_size, 0+max(.L_ZL14no_device_codePKciS0_iS0_.private_seg_size)
	.set _ZL15flash_attn_tileILi64ELi64ELi16ELi2ELb1EEvPKcS1_S1_S1_S1_PKiPfP15HIP_vector_typeIfLj2EEffffjfiS5_IjLj3EEiiiiiiiiiiiliiliiiiil.uses_vcc, or(1, .L_ZL14no_device_codePKciS0_iS0_.uses_vcc)
	.set _ZL15flash_attn_tileILi64ELi64ELi16ELi2ELb1EEvPKcS1_S1_S1_S1_PKiPfP15HIP_vector_typeIfLj2EEffffjfiS5_IjLj3EEiiiiiiiiiiiliiliiiiil.uses_flat_scratch, or(0, .L_ZL14no_device_codePKciS0_iS0_.uses_flat_scratch)
	.set _ZL15flash_attn_tileILi64ELi64ELi16ELi2ELb1EEvPKcS1_S1_S1_S1_PKiPfP15HIP_vector_typeIfLj2EEffffjfiS5_IjLj3EEiiiiiiiiiiiliiliiiiil.has_dyn_sized_stack, or(0, .L_ZL14no_device_codePKciS0_iS0_.has_dyn_sized_stack)
	.set _ZL15flash_attn_tileILi64ELi64ELi16ELi2ELb1EEvPKcS1_S1_S1_S1_PKiPfP15HIP_vector_typeIfLj2EEffffjfiS5_IjLj3EEiiiiiiiiiiiliiliiiiil.has_recursion, or(0, .L_ZL14no_device_codePKciS0_iS0_.has_recursion)
	.set _ZL15flash_attn_tileILi64ELi64ELi16ELi2ELb1EEvPKcS1_S1_S1_S1_PKiPfP15HIP_vector_typeIfLj2EEffffjfiS5_IjLj3EEiiiiiiiiiiiliiliiiiil.has_indirect_call, or(0, .L_ZL14no_device_codePKciS0_iS0_.has_indirect_call)
	.section	.AMDGPU.csdata,"",@progbits
; Kernel info:
; codeLenInByte = 40
; TotalNumSgprs: 40
; NumVgprs: 50
; NumAgprs: 0
; TotalNumVgprs: 50
; ScratchSize: 16
; MemoryBound: 0
; FloatMode: 240
; IeeeMode: 1
; LDSByteSize: 0 bytes/workgroup (compile time only)
; SGPRBlocks: 4
; VGPRBlocks: 6
; NumSGPRsForWavesPerEU: 40
; NumVGPRsForWavesPerEU: 50
; AccumOffset: 52
; Occupancy: 8
; WaveLimiterHint : 1
; COMPUTE_PGM_RSRC2:SCRATCH_EN: 1
; COMPUTE_PGM_RSRC2:USER_SGPR: 2
; COMPUTE_PGM_RSRC2:TRAP_HANDLER: 0
; COMPUTE_PGM_RSRC2:TGID_X_EN: 1
; COMPUTE_PGM_RSRC2:TGID_Y_EN: 0
; COMPUTE_PGM_RSRC2:TGID_Z_EN: 0
; COMPUTE_PGM_RSRC2:TIDIG_COMP_CNT: 0
; COMPUTE_PGM_RSRC3_GFX90A:ACCUM_OFFSET: 12
; COMPUTE_PGM_RSRC3_GFX90A:TG_SPLIT: 0
	.section	.text._ZL15flash_attn_tileILi64ELi64ELi8ELi2ELb1EEvPKcS1_S1_S1_S1_PKiPfP15HIP_vector_typeIfLj2EEffffjfiS5_IjLj3EEiiiiiiiiiiiliiliiiiil,"axG",@progbits,_ZL15flash_attn_tileILi64ELi64ELi8ELi2ELb1EEvPKcS1_S1_S1_S1_PKiPfP15HIP_vector_typeIfLj2EEffffjfiS5_IjLj3EEiiiiiiiiiiiliiliiiiil,comdat
	.globl	_ZL15flash_attn_tileILi64ELi64ELi8ELi2ELb1EEvPKcS1_S1_S1_S1_PKiPfP15HIP_vector_typeIfLj2EEffffjfiS5_IjLj3EEiiiiiiiiiiiliiliiiiil ; -- Begin function _ZL15flash_attn_tileILi64ELi64ELi8ELi2ELb1EEvPKcS1_S1_S1_S1_PKiPfP15HIP_vector_typeIfLj2EEffffjfiS5_IjLj3EEiiiiiiiiiiiliiliiiiil
	.p2align	8
	.type	_ZL15flash_attn_tileILi64ELi64ELi8ELi2ELb1EEvPKcS1_S1_S1_S1_PKiPfP15HIP_vector_typeIfLj2EEffffjfiS5_IjLj3EEiiiiiiiiiiiliiliiiiil,@function
_ZL15flash_attn_tileILi64ELi64ELi8ELi2ELb1EEvPKcS1_S1_S1_S1_PKiPfP15HIP_vector_typeIfLj2EEffffjfiS5_IjLj3EEiiiiiiiiiiiliiliiiiil: ; @_ZL15flash_attn_tileILi64ELi64ELi8ELi2ELb1EEvPKcS1_S1_S1_S1_PKiPfP15HIP_vector_typeIfLj2EEffffjfiS5_IjLj3EEiiiiiiiiiiiliiliiiiil
; %bb.0:
	s_add_u32 s8, s0, 0xd0
	s_addc_u32 s9, s1, 0
	s_getpc_b64 s[0:1]
	s_add_u32 s0, s0, _ZL14no_device_codePKciS0_iS0_@rel32@lo+4
	s_addc_u32 s1, s1, _ZL14no_device_codePKciS0_iS0_@rel32@hi+12
	s_mov_b32 s32, 0
	s_swappc_b64 s[30:31], s[0:1]
	.section	.rodata,"a",@progbits
	.p2align	6, 0x0
	.amdhsa_kernel _ZL15flash_attn_tileILi64ELi64ELi8ELi2ELb1EEvPKcS1_S1_S1_S1_PKiPfP15HIP_vector_typeIfLj2EEffffjfiS5_IjLj3EEiiiiiiiiiiiliiliiiiil
		.amdhsa_group_segment_fixed_size 0
		.amdhsa_private_segment_fixed_size 16
		.amdhsa_kernarg_size 464
		.amdhsa_user_sgpr_count 2
		.amdhsa_user_sgpr_dispatch_ptr 0
		.amdhsa_user_sgpr_queue_ptr 0
		.amdhsa_user_sgpr_kernarg_segment_ptr 1
		.amdhsa_user_sgpr_dispatch_id 0
		.amdhsa_user_sgpr_kernarg_preload_length 0
		.amdhsa_user_sgpr_kernarg_preload_offset 0
		.amdhsa_user_sgpr_private_segment_size 0
		.amdhsa_uses_dynamic_stack 0
		.amdhsa_enable_private_segment 1
		.amdhsa_system_sgpr_workgroup_id_x 1
		.amdhsa_system_sgpr_workgroup_id_y 0
		.amdhsa_system_sgpr_workgroup_id_z 0
		.amdhsa_system_sgpr_workgroup_info 0
		.amdhsa_system_vgpr_workitem_id 0
		.amdhsa_next_free_vgpr 50
		.amdhsa_next_free_sgpr 34
		.amdhsa_accum_offset 52
		.amdhsa_reserve_vcc 1
		.amdhsa_float_round_mode_32 0
		.amdhsa_float_round_mode_16_64 0
		.amdhsa_float_denorm_mode_32 3
		.amdhsa_float_denorm_mode_16_64 3
		.amdhsa_dx10_clamp 1
		.amdhsa_ieee_mode 1
		.amdhsa_fp16_overflow 0
		.amdhsa_tg_split 0
		.amdhsa_exception_fp_ieee_invalid_op 0
		.amdhsa_exception_fp_denorm_src 0
		.amdhsa_exception_fp_ieee_div_zero 0
		.amdhsa_exception_fp_ieee_overflow 0
		.amdhsa_exception_fp_ieee_underflow 0
		.amdhsa_exception_fp_ieee_inexact 0
		.amdhsa_exception_int_div_zero 0
	.end_amdhsa_kernel
	.section	.text._ZL15flash_attn_tileILi64ELi64ELi8ELi2ELb1EEvPKcS1_S1_S1_S1_PKiPfP15HIP_vector_typeIfLj2EEffffjfiS5_IjLj3EEiiiiiiiiiiiliiliiiiil,"axG",@progbits,_ZL15flash_attn_tileILi64ELi64ELi8ELi2ELb1EEvPKcS1_S1_S1_S1_PKiPfP15HIP_vector_typeIfLj2EEffffjfiS5_IjLj3EEiiiiiiiiiiiliiliiiiil,comdat
.Lfunc_end85:
	.size	_ZL15flash_attn_tileILi64ELi64ELi8ELi2ELb1EEvPKcS1_S1_S1_S1_PKiPfP15HIP_vector_typeIfLj2EEffffjfiS5_IjLj3EEiiiiiiiiiiiliiliiiiil, .Lfunc_end85-_ZL15flash_attn_tileILi64ELi64ELi8ELi2ELb1EEvPKcS1_S1_S1_S1_PKiPfP15HIP_vector_typeIfLj2EEffffjfiS5_IjLj3EEiiiiiiiiiiiliiliiiiil
                                        ; -- End function
	.set _ZL15flash_attn_tileILi64ELi64ELi8ELi2ELb1EEvPKcS1_S1_S1_S1_PKiPfP15HIP_vector_typeIfLj2EEffffjfiS5_IjLj3EEiiiiiiiiiiiliiliiiiil.num_vgpr, max(0, .L_ZL14no_device_codePKciS0_iS0_.num_vgpr)
	.set _ZL15flash_attn_tileILi64ELi64ELi8ELi2ELb1EEvPKcS1_S1_S1_S1_PKiPfP15HIP_vector_typeIfLj2EEffffjfiS5_IjLj3EEiiiiiiiiiiiliiliiiiil.num_agpr, max(0, .L_ZL14no_device_codePKciS0_iS0_.num_agpr)
	.set _ZL15flash_attn_tileILi64ELi64ELi8ELi2ELb1EEvPKcS1_S1_S1_S1_PKiPfP15HIP_vector_typeIfLj2EEffffjfiS5_IjLj3EEiiiiiiiiiiiliiliiiiil.numbered_sgpr, max(33, .L_ZL14no_device_codePKciS0_iS0_.numbered_sgpr)
	.set _ZL15flash_attn_tileILi64ELi64ELi8ELi2ELb1EEvPKcS1_S1_S1_S1_PKiPfP15HIP_vector_typeIfLj2EEffffjfiS5_IjLj3EEiiiiiiiiiiiliiliiiiil.num_named_barrier, max(0, .L_ZL14no_device_codePKciS0_iS0_.num_named_barrier)
	.set _ZL15flash_attn_tileILi64ELi64ELi8ELi2ELb1EEvPKcS1_S1_S1_S1_PKiPfP15HIP_vector_typeIfLj2EEffffjfiS5_IjLj3EEiiiiiiiiiiiliiliiiiil.private_seg_size, 0+max(.L_ZL14no_device_codePKciS0_iS0_.private_seg_size)
	.set _ZL15flash_attn_tileILi64ELi64ELi8ELi2ELb1EEvPKcS1_S1_S1_S1_PKiPfP15HIP_vector_typeIfLj2EEffffjfiS5_IjLj3EEiiiiiiiiiiiliiliiiiil.uses_vcc, or(1, .L_ZL14no_device_codePKciS0_iS0_.uses_vcc)
	.set _ZL15flash_attn_tileILi64ELi64ELi8ELi2ELb1EEvPKcS1_S1_S1_S1_PKiPfP15HIP_vector_typeIfLj2EEffffjfiS5_IjLj3EEiiiiiiiiiiiliiliiiiil.uses_flat_scratch, or(0, .L_ZL14no_device_codePKciS0_iS0_.uses_flat_scratch)
	.set _ZL15flash_attn_tileILi64ELi64ELi8ELi2ELb1EEvPKcS1_S1_S1_S1_PKiPfP15HIP_vector_typeIfLj2EEffffjfiS5_IjLj3EEiiiiiiiiiiiliiliiiiil.has_dyn_sized_stack, or(0, .L_ZL14no_device_codePKciS0_iS0_.has_dyn_sized_stack)
	.set _ZL15flash_attn_tileILi64ELi64ELi8ELi2ELb1EEvPKcS1_S1_S1_S1_PKiPfP15HIP_vector_typeIfLj2EEffffjfiS5_IjLj3EEiiiiiiiiiiiliiliiiiil.has_recursion, or(0, .L_ZL14no_device_codePKciS0_iS0_.has_recursion)
	.set _ZL15flash_attn_tileILi64ELi64ELi8ELi2ELb1EEvPKcS1_S1_S1_S1_PKiPfP15HIP_vector_typeIfLj2EEffffjfiS5_IjLj3EEiiiiiiiiiiiliiliiiiil.has_indirect_call, or(0, .L_ZL14no_device_codePKciS0_iS0_.has_indirect_call)
	.section	.AMDGPU.csdata,"",@progbits
; Kernel info:
; codeLenInByte = 40
; TotalNumSgprs: 40
; NumVgprs: 50
; NumAgprs: 0
; TotalNumVgprs: 50
; ScratchSize: 16
; MemoryBound: 0
; FloatMode: 240
; IeeeMode: 1
; LDSByteSize: 0 bytes/workgroup (compile time only)
; SGPRBlocks: 4
; VGPRBlocks: 6
; NumSGPRsForWavesPerEU: 40
; NumVGPRsForWavesPerEU: 50
; AccumOffset: 52
; Occupancy: 8
; WaveLimiterHint : 1
; COMPUTE_PGM_RSRC2:SCRATCH_EN: 1
; COMPUTE_PGM_RSRC2:USER_SGPR: 2
; COMPUTE_PGM_RSRC2:TRAP_HANDLER: 0
; COMPUTE_PGM_RSRC2:TGID_X_EN: 1
; COMPUTE_PGM_RSRC2:TGID_Y_EN: 0
; COMPUTE_PGM_RSRC2:TGID_Z_EN: 0
; COMPUTE_PGM_RSRC2:TIDIG_COMP_CNT: 0
; COMPUTE_PGM_RSRC3_GFX90A:ACCUM_OFFSET: 12
; COMPUTE_PGM_RSRC3_GFX90A:TG_SPLIT: 0
	.section	.text._ZL15flash_attn_tileILi64ELi64ELi4ELi2ELb1EEvPKcS1_S1_S1_S1_PKiPfP15HIP_vector_typeIfLj2EEffffjfiS5_IjLj3EEiiiiiiiiiiiliiliiiiil,"axG",@progbits,_ZL15flash_attn_tileILi64ELi64ELi4ELi2ELb1EEvPKcS1_S1_S1_S1_PKiPfP15HIP_vector_typeIfLj2EEffffjfiS5_IjLj3EEiiiiiiiiiiiliiliiiiil,comdat
	.globl	_ZL15flash_attn_tileILi64ELi64ELi4ELi2ELb1EEvPKcS1_S1_S1_S1_PKiPfP15HIP_vector_typeIfLj2EEffffjfiS5_IjLj3EEiiiiiiiiiiiliiliiiiil ; -- Begin function _ZL15flash_attn_tileILi64ELi64ELi4ELi2ELb1EEvPKcS1_S1_S1_S1_PKiPfP15HIP_vector_typeIfLj2EEffffjfiS5_IjLj3EEiiiiiiiiiiiliiliiiiil
	.p2align	8
	.type	_ZL15flash_attn_tileILi64ELi64ELi4ELi2ELb1EEvPKcS1_S1_S1_S1_PKiPfP15HIP_vector_typeIfLj2EEffffjfiS5_IjLj3EEiiiiiiiiiiiliiliiiiil,@function
_ZL15flash_attn_tileILi64ELi64ELi4ELi2ELb1EEvPKcS1_S1_S1_S1_PKiPfP15HIP_vector_typeIfLj2EEffffjfiS5_IjLj3EEiiiiiiiiiiiliiliiiiil: ; @_ZL15flash_attn_tileILi64ELi64ELi4ELi2ELb1EEvPKcS1_S1_S1_S1_PKiPfP15HIP_vector_typeIfLj2EEffffjfiS5_IjLj3EEiiiiiiiiiiiliiliiiiil
; %bb.0:
	s_add_u32 s8, s0, 0xd0
	s_addc_u32 s9, s1, 0
	s_getpc_b64 s[0:1]
	s_add_u32 s0, s0, _ZL14no_device_codePKciS0_iS0_@rel32@lo+4
	s_addc_u32 s1, s1, _ZL14no_device_codePKciS0_iS0_@rel32@hi+12
	s_mov_b32 s32, 0
	s_swappc_b64 s[30:31], s[0:1]
	.section	.rodata,"a",@progbits
	.p2align	6, 0x0
	.amdhsa_kernel _ZL15flash_attn_tileILi64ELi64ELi4ELi2ELb1EEvPKcS1_S1_S1_S1_PKiPfP15HIP_vector_typeIfLj2EEffffjfiS5_IjLj3EEiiiiiiiiiiiliiliiiiil
		.amdhsa_group_segment_fixed_size 0
		.amdhsa_private_segment_fixed_size 16
		.amdhsa_kernarg_size 464
		.amdhsa_user_sgpr_count 2
		.amdhsa_user_sgpr_dispatch_ptr 0
		.amdhsa_user_sgpr_queue_ptr 0
		.amdhsa_user_sgpr_kernarg_segment_ptr 1
		.amdhsa_user_sgpr_dispatch_id 0
		.amdhsa_user_sgpr_kernarg_preload_length 0
		.amdhsa_user_sgpr_kernarg_preload_offset 0
		.amdhsa_user_sgpr_private_segment_size 0
		.amdhsa_uses_dynamic_stack 0
		.amdhsa_enable_private_segment 1
		.amdhsa_system_sgpr_workgroup_id_x 1
		.amdhsa_system_sgpr_workgroup_id_y 0
		.amdhsa_system_sgpr_workgroup_id_z 0
		.amdhsa_system_sgpr_workgroup_info 0
		.amdhsa_system_vgpr_workitem_id 0
		.amdhsa_next_free_vgpr 50
		.amdhsa_next_free_sgpr 34
		.amdhsa_accum_offset 52
		.amdhsa_reserve_vcc 1
		.amdhsa_float_round_mode_32 0
		.amdhsa_float_round_mode_16_64 0
		.amdhsa_float_denorm_mode_32 3
		.amdhsa_float_denorm_mode_16_64 3
		.amdhsa_dx10_clamp 1
		.amdhsa_ieee_mode 1
		.amdhsa_fp16_overflow 0
		.amdhsa_tg_split 0
		.amdhsa_exception_fp_ieee_invalid_op 0
		.amdhsa_exception_fp_denorm_src 0
		.amdhsa_exception_fp_ieee_div_zero 0
		.amdhsa_exception_fp_ieee_overflow 0
		.amdhsa_exception_fp_ieee_underflow 0
		.amdhsa_exception_fp_ieee_inexact 0
		.amdhsa_exception_int_div_zero 0
	.end_amdhsa_kernel
	.section	.text._ZL15flash_attn_tileILi64ELi64ELi4ELi2ELb1EEvPKcS1_S1_S1_S1_PKiPfP15HIP_vector_typeIfLj2EEffffjfiS5_IjLj3EEiiiiiiiiiiiliiliiiiil,"axG",@progbits,_ZL15flash_attn_tileILi64ELi64ELi4ELi2ELb1EEvPKcS1_S1_S1_S1_PKiPfP15HIP_vector_typeIfLj2EEffffjfiS5_IjLj3EEiiiiiiiiiiiliiliiiiil,comdat
.Lfunc_end86:
	.size	_ZL15flash_attn_tileILi64ELi64ELi4ELi2ELb1EEvPKcS1_S1_S1_S1_PKiPfP15HIP_vector_typeIfLj2EEffffjfiS5_IjLj3EEiiiiiiiiiiiliiliiiiil, .Lfunc_end86-_ZL15flash_attn_tileILi64ELi64ELi4ELi2ELb1EEvPKcS1_S1_S1_S1_PKiPfP15HIP_vector_typeIfLj2EEffffjfiS5_IjLj3EEiiiiiiiiiiiliiliiiiil
                                        ; -- End function
	.set _ZL15flash_attn_tileILi64ELi64ELi4ELi2ELb1EEvPKcS1_S1_S1_S1_PKiPfP15HIP_vector_typeIfLj2EEffffjfiS5_IjLj3EEiiiiiiiiiiiliiliiiiil.num_vgpr, max(0, .L_ZL14no_device_codePKciS0_iS0_.num_vgpr)
	.set _ZL15flash_attn_tileILi64ELi64ELi4ELi2ELb1EEvPKcS1_S1_S1_S1_PKiPfP15HIP_vector_typeIfLj2EEffffjfiS5_IjLj3EEiiiiiiiiiiiliiliiiiil.num_agpr, max(0, .L_ZL14no_device_codePKciS0_iS0_.num_agpr)
	.set _ZL15flash_attn_tileILi64ELi64ELi4ELi2ELb1EEvPKcS1_S1_S1_S1_PKiPfP15HIP_vector_typeIfLj2EEffffjfiS5_IjLj3EEiiiiiiiiiiiliiliiiiil.numbered_sgpr, max(33, .L_ZL14no_device_codePKciS0_iS0_.numbered_sgpr)
	.set _ZL15flash_attn_tileILi64ELi64ELi4ELi2ELb1EEvPKcS1_S1_S1_S1_PKiPfP15HIP_vector_typeIfLj2EEffffjfiS5_IjLj3EEiiiiiiiiiiiliiliiiiil.num_named_barrier, max(0, .L_ZL14no_device_codePKciS0_iS0_.num_named_barrier)
	.set _ZL15flash_attn_tileILi64ELi64ELi4ELi2ELb1EEvPKcS1_S1_S1_S1_PKiPfP15HIP_vector_typeIfLj2EEffffjfiS5_IjLj3EEiiiiiiiiiiiliiliiiiil.private_seg_size, 0+max(.L_ZL14no_device_codePKciS0_iS0_.private_seg_size)
	.set _ZL15flash_attn_tileILi64ELi64ELi4ELi2ELb1EEvPKcS1_S1_S1_S1_PKiPfP15HIP_vector_typeIfLj2EEffffjfiS5_IjLj3EEiiiiiiiiiiiliiliiiiil.uses_vcc, or(1, .L_ZL14no_device_codePKciS0_iS0_.uses_vcc)
	.set _ZL15flash_attn_tileILi64ELi64ELi4ELi2ELb1EEvPKcS1_S1_S1_S1_PKiPfP15HIP_vector_typeIfLj2EEffffjfiS5_IjLj3EEiiiiiiiiiiiliiliiiiil.uses_flat_scratch, or(0, .L_ZL14no_device_codePKciS0_iS0_.uses_flat_scratch)
	.set _ZL15flash_attn_tileILi64ELi64ELi4ELi2ELb1EEvPKcS1_S1_S1_S1_PKiPfP15HIP_vector_typeIfLj2EEffffjfiS5_IjLj3EEiiiiiiiiiiiliiliiiiil.has_dyn_sized_stack, or(0, .L_ZL14no_device_codePKciS0_iS0_.has_dyn_sized_stack)
	.set _ZL15flash_attn_tileILi64ELi64ELi4ELi2ELb1EEvPKcS1_S1_S1_S1_PKiPfP15HIP_vector_typeIfLj2EEffffjfiS5_IjLj3EEiiiiiiiiiiiliiliiiiil.has_recursion, or(0, .L_ZL14no_device_codePKciS0_iS0_.has_recursion)
	.set _ZL15flash_attn_tileILi64ELi64ELi4ELi2ELb1EEvPKcS1_S1_S1_S1_PKiPfP15HIP_vector_typeIfLj2EEffffjfiS5_IjLj3EEiiiiiiiiiiiliiliiiiil.has_indirect_call, or(0, .L_ZL14no_device_codePKciS0_iS0_.has_indirect_call)
	.section	.AMDGPU.csdata,"",@progbits
; Kernel info:
; codeLenInByte = 40
; TotalNumSgprs: 40
; NumVgprs: 50
; NumAgprs: 0
; TotalNumVgprs: 50
; ScratchSize: 16
; MemoryBound: 0
; FloatMode: 240
; IeeeMode: 1
; LDSByteSize: 0 bytes/workgroup (compile time only)
; SGPRBlocks: 4
; VGPRBlocks: 6
; NumSGPRsForWavesPerEU: 40
; NumVGPRsForWavesPerEU: 50
; AccumOffset: 52
; Occupancy: 8
; WaveLimiterHint : 1
; COMPUTE_PGM_RSRC2:SCRATCH_EN: 1
; COMPUTE_PGM_RSRC2:USER_SGPR: 2
; COMPUTE_PGM_RSRC2:TRAP_HANDLER: 0
; COMPUTE_PGM_RSRC2:TGID_X_EN: 1
; COMPUTE_PGM_RSRC2:TGID_Y_EN: 0
; COMPUTE_PGM_RSRC2:TGID_Z_EN: 0
; COMPUTE_PGM_RSRC2:TIDIG_COMP_CNT: 0
; COMPUTE_PGM_RSRC3_GFX90A:ACCUM_OFFSET: 12
; COMPUTE_PGM_RSRC3_GFX90A:TG_SPLIT: 0
	.section	.text._ZL15flash_attn_tileILi64ELi64ELi2ELi2ELb1EEvPKcS1_S1_S1_S1_PKiPfP15HIP_vector_typeIfLj2EEffffjfiS5_IjLj3EEiiiiiiiiiiiliiliiiiil,"axG",@progbits,_ZL15flash_attn_tileILi64ELi64ELi2ELi2ELb1EEvPKcS1_S1_S1_S1_PKiPfP15HIP_vector_typeIfLj2EEffffjfiS5_IjLj3EEiiiiiiiiiiiliiliiiiil,comdat
	.globl	_ZL15flash_attn_tileILi64ELi64ELi2ELi2ELb1EEvPKcS1_S1_S1_S1_PKiPfP15HIP_vector_typeIfLj2EEffffjfiS5_IjLj3EEiiiiiiiiiiiliiliiiiil ; -- Begin function _ZL15flash_attn_tileILi64ELi64ELi2ELi2ELb1EEvPKcS1_S1_S1_S1_PKiPfP15HIP_vector_typeIfLj2EEffffjfiS5_IjLj3EEiiiiiiiiiiiliiliiiiil
	.p2align	8
	.type	_ZL15flash_attn_tileILi64ELi64ELi2ELi2ELb1EEvPKcS1_S1_S1_S1_PKiPfP15HIP_vector_typeIfLj2EEffffjfiS5_IjLj3EEiiiiiiiiiiiliiliiiiil,@function
_ZL15flash_attn_tileILi64ELi64ELi2ELi2ELb1EEvPKcS1_S1_S1_S1_PKiPfP15HIP_vector_typeIfLj2EEffffjfiS5_IjLj3EEiiiiiiiiiiiliiliiiiil: ; @_ZL15flash_attn_tileILi64ELi64ELi2ELi2ELb1EEvPKcS1_S1_S1_S1_PKiPfP15HIP_vector_typeIfLj2EEffffjfiS5_IjLj3EEiiiiiiiiiiiliiliiiiil
; %bb.0:
	s_add_u32 s8, s0, 0xd0
	s_addc_u32 s9, s1, 0
	s_getpc_b64 s[0:1]
	s_add_u32 s0, s0, _ZL14no_device_codePKciS0_iS0_@rel32@lo+4
	s_addc_u32 s1, s1, _ZL14no_device_codePKciS0_iS0_@rel32@hi+12
	s_mov_b32 s32, 0
	s_swappc_b64 s[30:31], s[0:1]
	.section	.rodata,"a",@progbits
	.p2align	6, 0x0
	.amdhsa_kernel _ZL15flash_attn_tileILi64ELi64ELi2ELi2ELb1EEvPKcS1_S1_S1_S1_PKiPfP15HIP_vector_typeIfLj2EEffffjfiS5_IjLj3EEiiiiiiiiiiiliiliiiiil
		.amdhsa_group_segment_fixed_size 0
		.amdhsa_private_segment_fixed_size 16
		.amdhsa_kernarg_size 464
		.amdhsa_user_sgpr_count 2
		.amdhsa_user_sgpr_dispatch_ptr 0
		.amdhsa_user_sgpr_queue_ptr 0
		.amdhsa_user_sgpr_kernarg_segment_ptr 1
		.amdhsa_user_sgpr_dispatch_id 0
		.amdhsa_user_sgpr_kernarg_preload_length 0
		.amdhsa_user_sgpr_kernarg_preload_offset 0
		.amdhsa_user_sgpr_private_segment_size 0
		.amdhsa_uses_dynamic_stack 0
		.amdhsa_enable_private_segment 1
		.amdhsa_system_sgpr_workgroup_id_x 1
		.amdhsa_system_sgpr_workgroup_id_y 0
		.amdhsa_system_sgpr_workgroup_id_z 0
		.amdhsa_system_sgpr_workgroup_info 0
		.amdhsa_system_vgpr_workitem_id 0
		.amdhsa_next_free_vgpr 50
		.amdhsa_next_free_sgpr 34
		.amdhsa_accum_offset 52
		.amdhsa_reserve_vcc 1
		.amdhsa_float_round_mode_32 0
		.amdhsa_float_round_mode_16_64 0
		.amdhsa_float_denorm_mode_32 3
		.amdhsa_float_denorm_mode_16_64 3
		.amdhsa_dx10_clamp 1
		.amdhsa_ieee_mode 1
		.amdhsa_fp16_overflow 0
		.amdhsa_tg_split 0
		.amdhsa_exception_fp_ieee_invalid_op 0
		.amdhsa_exception_fp_denorm_src 0
		.amdhsa_exception_fp_ieee_div_zero 0
		.amdhsa_exception_fp_ieee_overflow 0
		.amdhsa_exception_fp_ieee_underflow 0
		.amdhsa_exception_fp_ieee_inexact 0
		.amdhsa_exception_int_div_zero 0
	.end_amdhsa_kernel
	.section	.text._ZL15flash_attn_tileILi64ELi64ELi2ELi2ELb1EEvPKcS1_S1_S1_S1_PKiPfP15HIP_vector_typeIfLj2EEffffjfiS5_IjLj3EEiiiiiiiiiiiliiliiiiil,"axG",@progbits,_ZL15flash_attn_tileILi64ELi64ELi2ELi2ELb1EEvPKcS1_S1_S1_S1_PKiPfP15HIP_vector_typeIfLj2EEffffjfiS5_IjLj3EEiiiiiiiiiiiliiliiiiil,comdat
.Lfunc_end87:
	.size	_ZL15flash_attn_tileILi64ELi64ELi2ELi2ELb1EEvPKcS1_S1_S1_S1_PKiPfP15HIP_vector_typeIfLj2EEffffjfiS5_IjLj3EEiiiiiiiiiiiliiliiiiil, .Lfunc_end87-_ZL15flash_attn_tileILi64ELi64ELi2ELi2ELb1EEvPKcS1_S1_S1_S1_PKiPfP15HIP_vector_typeIfLj2EEffffjfiS5_IjLj3EEiiiiiiiiiiiliiliiiiil
                                        ; -- End function
	.set _ZL15flash_attn_tileILi64ELi64ELi2ELi2ELb1EEvPKcS1_S1_S1_S1_PKiPfP15HIP_vector_typeIfLj2EEffffjfiS5_IjLj3EEiiiiiiiiiiiliiliiiiil.num_vgpr, max(0, .L_ZL14no_device_codePKciS0_iS0_.num_vgpr)
	.set _ZL15flash_attn_tileILi64ELi64ELi2ELi2ELb1EEvPKcS1_S1_S1_S1_PKiPfP15HIP_vector_typeIfLj2EEffffjfiS5_IjLj3EEiiiiiiiiiiiliiliiiiil.num_agpr, max(0, .L_ZL14no_device_codePKciS0_iS0_.num_agpr)
	.set _ZL15flash_attn_tileILi64ELi64ELi2ELi2ELb1EEvPKcS1_S1_S1_S1_PKiPfP15HIP_vector_typeIfLj2EEffffjfiS5_IjLj3EEiiiiiiiiiiiliiliiiiil.numbered_sgpr, max(33, .L_ZL14no_device_codePKciS0_iS0_.numbered_sgpr)
	.set _ZL15flash_attn_tileILi64ELi64ELi2ELi2ELb1EEvPKcS1_S1_S1_S1_PKiPfP15HIP_vector_typeIfLj2EEffffjfiS5_IjLj3EEiiiiiiiiiiiliiliiiiil.num_named_barrier, max(0, .L_ZL14no_device_codePKciS0_iS0_.num_named_barrier)
	.set _ZL15flash_attn_tileILi64ELi64ELi2ELi2ELb1EEvPKcS1_S1_S1_S1_PKiPfP15HIP_vector_typeIfLj2EEffffjfiS5_IjLj3EEiiiiiiiiiiiliiliiiiil.private_seg_size, 0+max(.L_ZL14no_device_codePKciS0_iS0_.private_seg_size)
	.set _ZL15flash_attn_tileILi64ELi64ELi2ELi2ELb1EEvPKcS1_S1_S1_S1_PKiPfP15HIP_vector_typeIfLj2EEffffjfiS5_IjLj3EEiiiiiiiiiiiliiliiiiil.uses_vcc, or(1, .L_ZL14no_device_codePKciS0_iS0_.uses_vcc)
	.set _ZL15flash_attn_tileILi64ELi64ELi2ELi2ELb1EEvPKcS1_S1_S1_S1_PKiPfP15HIP_vector_typeIfLj2EEffffjfiS5_IjLj3EEiiiiiiiiiiiliiliiiiil.uses_flat_scratch, or(0, .L_ZL14no_device_codePKciS0_iS0_.uses_flat_scratch)
	.set _ZL15flash_attn_tileILi64ELi64ELi2ELi2ELb1EEvPKcS1_S1_S1_S1_PKiPfP15HIP_vector_typeIfLj2EEffffjfiS5_IjLj3EEiiiiiiiiiiiliiliiiiil.has_dyn_sized_stack, or(0, .L_ZL14no_device_codePKciS0_iS0_.has_dyn_sized_stack)
	.set _ZL15flash_attn_tileILi64ELi64ELi2ELi2ELb1EEvPKcS1_S1_S1_S1_PKiPfP15HIP_vector_typeIfLj2EEffffjfiS5_IjLj3EEiiiiiiiiiiiliiliiiiil.has_recursion, or(0, .L_ZL14no_device_codePKciS0_iS0_.has_recursion)
	.set _ZL15flash_attn_tileILi64ELi64ELi2ELi2ELb1EEvPKcS1_S1_S1_S1_PKiPfP15HIP_vector_typeIfLj2EEffffjfiS5_IjLj3EEiiiiiiiiiiiliiliiiiil.has_indirect_call, or(0, .L_ZL14no_device_codePKciS0_iS0_.has_indirect_call)
	.section	.AMDGPU.csdata,"",@progbits
; Kernel info:
; codeLenInByte = 40
; TotalNumSgprs: 40
; NumVgprs: 50
; NumAgprs: 0
; TotalNumVgprs: 50
; ScratchSize: 16
; MemoryBound: 0
; FloatMode: 240
; IeeeMode: 1
; LDSByteSize: 0 bytes/workgroup (compile time only)
; SGPRBlocks: 4
; VGPRBlocks: 6
; NumSGPRsForWavesPerEU: 40
; NumVGPRsForWavesPerEU: 50
; AccumOffset: 52
; Occupancy: 8
; WaveLimiterHint : 1
; COMPUTE_PGM_RSRC2:SCRATCH_EN: 1
; COMPUTE_PGM_RSRC2:USER_SGPR: 2
; COMPUTE_PGM_RSRC2:TRAP_HANDLER: 0
; COMPUTE_PGM_RSRC2:TGID_X_EN: 1
; COMPUTE_PGM_RSRC2:TGID_Y_EN: 0
; COMPUTE_PGM_RSRC2:TGID_Z_EN: 0
; COMPUTE_PGM_RSRC2:TIDIG_COMP_CNT: 0
; COMPUTE_PGM_RSRC3_GFX90A:ACCUM_OFFSET: 12
; COMPUTE_PGM_RSRC3_GFX90A:TG_SPLIT: 0
	.section	.text._ZL15flash_attn_tileILi64ELi64ELi1ELi2ELb1EEvPKcS1_S1_S1_S1_PKiPfP15HIP_vector_typeIfLj2EEffffjfiS5_IjLj3EEiiiiiiiiiiiliiliiiiil,"axG",@progbits,_ZL15flash_attn_tileILi64ELi64ELi1ELi2ELb1EEvPKcS1_S1_S1_S1_PKiPfP15HIP_vector_typeIfLj2EEffffjfiS5_IjLj3EEiiiiiiiiiiiliiliiiiil,comdat
	.globl	_ZL15flash_attn_tileILi64ELi64ELi1ELi2ELb1EEvPKcS1_S1_S1_S1_PKiPfP15HIP_vector_typeIfLj2EEffffjfiS5_IjLj3EEiiiiiiiiiiiliiliiiiil ; -- Begin function _ZL15flash_attn_tileILi64ELi64ELi1ELi2ELb1EEvPKcS1_S1_S1_S1_PKiPfP15HIP_vector_typeIfLj2EEffffjfiS5_IjLj3EEiiiiiiiiiiiliiliiiiil
	.p2align	8
	.type	_ZL15flash_attn_tileILi64ELi64ELi1ELi2ELb1EEvPKcS1_S1_S1_S1_PKiPfP15HIP_vector_typeIfLj2EEffffjfiS5_IjLj3EEiiiiiiiiiiiliiliiiiil,@function
_ZL15flash_attn_tileILi64ELi64ELi1ELi2ELb1EEvPKcS1_S1_S1_S1_PKiPfP15HIP_vector_typeIfLj2EEffffjfiS5_IjLj3EEiiiiiiiiiiiliiliiiiil: ; @_ZL15flash_attn_tileILi64ELi64ELi1ELi2ELb1EEvPKcS1_S1_S1_S1_PKiPfP15HIP_vector_typeIfLj2EEffffjfiS5_IjLj3EEiiiiiiiiiiiliiliiiiil
; %bb.0:
	s_add_u32 s8, s0, 0xd0
	s_addc_u32 s9, s1, 0
	s_getpc_b64 s[0:1]
	s_add_u32 s0, s0, _ZL14no_device_codePKciS0_iS0_@rel32@lo+4
	s_addc_u32 s1, s1, _ZL14no_device_codePKciS0_iS0_@rel32@hi+12
	s_mov_b32 s32, 0
	s_swappc_b64 s[30:31], s[0:1]
	.section	.rodata,"a",@progbits
	.p2align	6, 0x0
	.amdhsa_kernel _ZL15flash_attn_tileILi64ELi64ELi1ELi2ELb1EEvPKcS1_S1_S1_S1_PKiPfP15HIP_vector_typeIfLj2EEffffjfiS5_IjLj3EEiiiiiiiiiiiliiliiiiil
		.amdhsa_group_segment_fixed_size 0
		.amdhsa_private_segment_fixed_size 16
		.amdhsa_kernarg_size 464
		.amdhsa_user_sgpr_count 2
		.amdhsa_user_sgpr_dispatch_ptr 0
		.amdhsa_user_sgpr_queue_ptr 0
		.amdhsa_user_sgpr_kernarg_segment_ptr 1
		.amdhsa_user_sgpr_dispatch_id 0
		.amdhsa_user_sgpr_kernarg_preload_length 0
		.amdhsa_user_sgpr_kernarg_preload_offset 0
		.amdhsa_user_sgpr_private_segment_size 0
		.amdhsa_uses_dynamic_stack 0
		.amdhsa_enable_private_segment 1
		.amdhsa_system_sgpr_workgroup_id_x 1
		.amdhsa_system_sgpr_workgroup_id_y 0
		.amdhsa_system_sgpr_workgroup_id_z 0
		.amdhsa_system_sgpr_workgroup_info 0
		.amdhsa_system_vgpr_workitem_id 0
		.amdhsa_next_free_vgpr 50
		.amdhsa_next_free_sgpr 34
		.amdhsa_accum_offset 52
		.amdhsa_reserve_vcc 1
		.amdhsa_float_round_mode_32 0
		.amdhsa_float_round_mode_16_64 0
		.amdhsa_float_denorm_mode_32 3
		.amdhsa_float_denorm_mode_16_64 3
		.amdhsa_dx10_clamp 1
		.amdhsa_ieee_mode 1
		.amdhsa_fp16_overflow 0
		.amdhsa_tg_split 0
		.amdhsa_exception_fp_ieee_invalid_op 0
		.amdhsa_exception_fp_denorm_src 0
		.amdhsa_exception_fp_ieee_div_zero 0
		.amdhsa_exception_fp_ieee_overflow 0
		.amdhsa_exception_fp_ieee_underflow 0
		.amdhsa_exception_fp_ieee_inexact 0
		.amdhsa_exception_int_div_zero 0
	.end_amdhsa_kernel
	.section	.text._ZL15flash_attn_tileILi64ELi64ELi1ELi2ELb1EEvPKcS1_S1_S1_S1_PKiPfP15HIP_vector_typeIfLj2EEffffjfiS5_IjLj3EEiiiiiiiiiiiliiliiiiil,"axG",@progbits,_ZL15flash_attn_tileILi64ELi64ELi1ELi2ELb1EEvPKcS1_S1_S1_S1_PKiPfP15HIP_vector_typeIfLj2EEffffjfiS5_IjLj3EEiiiiiiiiiiiliiliiiiil,comdat
.Lfunc_end88:
	.size	_ZL15flash_attn_tileILi64ELi64ELi1ELi2ELb1EEvPKcS1_S1_S1_S1_PKiPfP15HIP_vector_typeIfLj2EEffffjfiS5_IjLj3EEiiiiiiiiiiiliiliiiiil, .Lfunc_end88-_ZL15flash_attn_tileILi64ELi64ELi1ELi2ELb1EEvPKcS1_S1_S1_S1_PKiPfP15HIP_vector_typeIfLj2EEffffjfiS5_IjLj3EEiiiiiiiiiiiliiliiiiil
                                        ; -- End function
	.set _ZL15flash_attn_tileILi64ELi64ELi1ELi2ELb1EEvPKcS1_S1_S1_S1_PKiPfP15HIP_vector_typeIfLj2EEffffjfiS5_IjLj3EEiiiiiiiiiiiliiliiiiil.num_vgpr, max(0, .L_ZL14no_device_codePKciS0_iS0_.num_vgpr)
	.set _ZL15flash_attn_tileILi64ELi64ELi1ELi2ELb1EEvPKcS1_S1_S1_S1_PKiPfP15HIP_vector_typeIfLj2EEffffjfiS5_IjLj3EEiiiiiiiiiiiliiliiiiil.num_agpr, max(0, .L_ZL14no_device_codePKciS0_iS0_.num_agpr)
	.set _ZL15flash_attn_tileILi64ELi64ELi1ELi2ELb1EEvPKcS1_S1_S1_S1_PKiPfP15HIP_vector_typeIfLj2EEffffjfiS5_IjLj3EEiiiiiiiiiiiliiliiiiil.numbered_sgpr, max(33, .L_ZL14no_device_codePKciS0_iS0_.numbered_sgpr)
	.set _ZL15flash_attn_tileILi64ELi64ELi1ELi2ELb1EEvPKcS1_S1_S1_S1_PKiPfP15HIP_vector_typeIfLj2EEffffjfiS5_IjLj3EEiiiiiiiiiiiliiliiiiil.num_named_barrier, max(0, .L_ZL14no_device_codePKciS0_iS0_.num_named_barrier)
	.set _ZL15flash_attn_tileILi64ELi64ELi1ELi2ELb1EEvPKcS1_S1_S1_S1_PKiPfP15HIP_vector_typeIfLj2EEffffjfiS5_IjLj3EEiiiiiiiiiiiliiliiiiil.private_seg_size, 0+max(.L_ZL14no_device_codePKciS0_iS0_.private_seg_size)
	.set _ZL15flash_attn_tileILi64ELi64ELi1ELi2ELb1EEvPKcS1_S1_S1_S1_PKiPfP15HIP_vector_typeIfLj2EEffffjfiS5_IjLj3EEiiiiiiiiiiiliiliiiiil.uses_vcc, or(1, .L_ZL14no_device_codePKciS0_iS0_.uses_vcc)
	.set _ZL15flash_attn_tileILi64ELi64ELi1ELi2ELb1EEvPKcS1_S1_S1_S1_PKiPfP15HIP_vector_typeIfLj2EEffffjfiS5_IjLj3EEiiiiiiiiiiiliiliiiiil.uses_flat_scratch, or(0, .L_ZL14no_device_codePKciS0_iS0_.uses_flat_scratch)
	.set _ZL15flash_attn_tileILi64ELi64ELi1ELi2ELb1EEvPKcS1_S1_S1_S1_PKiPfP15HIP_vector_typeIfLj2EEffffjfiS5_IjLj3EEiiiiiiiiiiiliiliiiiil.has_dyn_sized_stack, or(0, .L_ZL14no_device_codePKciS0_iS0_.has_dyn_sized_stack)
	.set _ZL15flash_attn_tileILi64ELi64ELi1ELi2ELb1EEvPKcS1_S1_S1_S1_PKiPfP15HIP_vector_typeIfLj2EEffffjfiS5_IjLj3EEiiiiiiiiiiiliiliiiiil.has_recursion, or(0, .L_ZL14no_device_codePKciS0_iS0_.has_recursion)
	.set _ZL15flash_attn_tileILi64ELi64ELi1ELi2ELb1EEvPKcS1_S1_S1_S1_PKiPfP15HIP_vector_typeIfLj2EEffffjfiS5_IjLj3EEiiiiiiiiiiiliiliiiiil.has_indirect_call, or(0, .L_ZL14no_device_codePKciS0_iS0_.has_indirect_call)
	.section	.AMDGPU.csdata,"",@progbits
; Kernel info:
; codeLenInByte = 40
; TotalNumSgprs: 40
; NumVgprs: 50
; NumAgprs: 0
; TotalNumVgprs: 50
; ScratchSize: 16
; MemoryBound: 0
; FloatMode: 240
; IeeeMode: 1
; LDSByteSize: 0 bytes/workgroup (compile time only)
; SGPRBlocks: 4
; VGPRBlocks: 6
; NumSGPRsForWavesPerEU: 40
; NumVGPRsForWavesPerEU: 50
; AccumOffset: 52
; Occupancy: 8
; WaveLimiterHint : 1
; COMPUTE_PGM_RSRC2:SCRATCH_EN: 1
; COMPUTE_PGM_RSRC2:USER_SGPR: 2
; COMPUTE_PGM_RSRC2:TRAP_HANDLER: 0
; COMPUTE_PGM_RSRC2:TGID_X_EN: 1
; COMPUTE_PGM_RSRC2:TGID_Y_EN: 0
; COMPUTE_PGM_RSRC2:TGID_Z_EN: 0
; COMPUTE_PGM_RSRC2:TIDIG_COMP_CNT: 0
; COMPUTE_PGM_RSRC3_GFX90A:ACCUM_OFFSET: 12
; COMPUTE_PGM_RSRC3_GFX90A:TG_SPLIT: 0
	.section	.text._ZL15flash_attn_tileILi64ELi64ELi64ELi1ELb1EEvPKcS1_S1_S1_S1_PKiPfP15HIP_vector_typeIfLj2EEffffjfiS5_IjLj3EEiiiiiiiiiiiliiliiiiil,"axG",@progbits,_ZL15flash_attn_tileILi64ELi64ELi64ELi1ELb1EEvPKcS1_S1_S1_S1_PKiPfP15HIP_vector_typeIfLj2EEffffjfiS5_IjLj3EEiiiiiiiiiiiliiliiiiil,comdat
	.globl	_ZL15flash_attn_tileILi64ELi64ELi64ELi1ELb1EEvPKcS1_S1_S1_S1_PKiPfP15HIP_vector_typeIfLj2EEffffjfiS5_IjLj3EEiiiiiiiiiiiliiliiiiil ; -- Begin function _ZL15flash_attn_tileILi64ELi64ELi64ELi1ELb1EEvPKcS1_S1_S1_S1_PKiPfP15HIP_vector_typeIfLj2EEffffjfiS5_IjLj3EEiiiiiiiiiiiliiliiiiil
	.p2align	8
	.type	_ZL15flash_attn_tileILi64ELi64ELi64ELi1ELb1EEvPKcS1_S1_S1_S1_PKiPfP15HIP_vector_typeIfLj2EEffffjfiS5_IjLj3EEiiiiiiiiiiiliiliiiiil,@function
_ZL15flash_attn_tileILi64ELi64ELi64ELi1ELb1EEvPKcS1_S1_S1_S1_PKiPfP15HIP_vector_typeIfLj2EEffffjfiS5_IjLj3EEiiiiiiiiiiiliiliiiiil: ; @_ZL15flash_attn_tileILi64ELi64ELi64ELi1ELb1EEvPKcS1_S1_S1_S1_PKiPfP15HIP_vector_typeIfLj2EEffffjfiS5_IjLj3EEiiiiiiiiiiiliiliiiiil
; %bb.0:
	s_add_u32 s8, s0, 0xd0
	s_addc_u32 s9, s1, 0
	s_getpc_b64 s[0:1]
	s_add_u32 s0, s0, _ZL14no_device_codePKciS0_iS0_@rel32@lo+4
	s_addc_u32 s1, s1, _ZL14no_device_codePKciS0_iS0_@rel32@hi+12
	s_mov_b32 s32, 0
	s_swappc_b64 s[30:31], s[0:1]
	.section	.rodata,"a",@progbits
	.p2align	6, 0x0
	.amdhsa_kernel _ZL15flash_attn_tileILi64ELi64ELi64ELi1ELb1EEvPKcS1_S1_S1_S1_PKiPfP15HIP_vector_typeIfLj2EEffffjfiS5_IjLj3EEiiiiiiiiiiiliiliiiiil
		.amdhsa_group_segment_fixed_size 0
		.amdhsa_private_segment_fixed_size 16
		.amdhsa_kernarg_size 464
		.amdhsa_user_sgpr_count 2
		.amdhsa_user_sgpr_dispatch_ptr 0
		.amdhsa_user_sgpr_queue_ptr 0
		.amdhsa_user_sgpr_kernarg_segment_ptr 1
		.amdhsa_user_sgpr_dispatch_id 0
		.amdhsa_user_sgpr_kernarg_preload_length 0
		.amdhsa_user_sgpr_kernarg_preload_offset 0
		.amdhsa_user_sgpr_private_segment_size 0
		.amdhsa_uses_dynamic_stack 0
		.amdhsa_enable_private_segment 1
		.amdhsa_system_sgpr_workgroup_id_x 1
		.amdhsa_system_sgpr_workgroup_id_y 0
		.amdhsa_system_sgpr_workgroup_id_z 0
		.amdhsa_system_sgpr_workgroup_info 0
		.amdhsa_system_vgpr_workitem_id 0
		.amdhsa_next_free_vgpr 50
		.amdhsa_next_free_sgpr 34
		.amdhsa_accum_offset 52
		.amdhsa_reserve_vcc 1
		.amdhsa_float_round_mode_32 0
		.amdhsa_float_round_mode_16_64 0
		.amdhsa_float_denorm_mode_32 3
		.amdhsa_float_denorm_mode_16_64 3
		.amdhsa_dx10_clamp 1
		.amdhsa_ieee_mode 1
		.amdhsa_fp16_overflow 0
		.amdhsa_tg_split 0
		.amdhsa_exception_fp_ieee_invalid_op 0
		.amdhsa_exception_fp_denorm_src 0
		.amdhsa_exception_fp_ieee_div_zero 0
		.amdhsa_exception_fp_ieee_overflow 0
		.amdhsa_exception_fp_ieee_underflow 0
		.amdhsa_exception_fp_ieee_inexact 0
		.amdhsa_exception_int_div_zero 0
	.end_amdhsa_kernel
	.section	.text._ZL15flash_attn_tileILi64ELi64ELi64ELi1ELb1EEvPKcS1_S1_S1_S1_PKiPfP15HIP_vector_typeIfLj2EEffffjfiS5_IjLj3EEiiiiiiiiiiiliiliiiiil,"axG",@progbits,_ZL15flash_attn_tileILi64ELi64ELi64ELi1ELb1EEvPKcS1_S1_S1_S1_PKiPfP15HIP_vector_typeIfLj2EEffffjfiS5_IjLj3EEiiiiiiiiiiiliiliiiiil,comdat
.Lfunc_end89:
	.size	_ZL15flash_attn_tileILi64ELi64ELi64ELi1ELb1EEvPKcS1_S1_S1_S1_PKiPfP15HIP_vector_typeIfLj2EEffffjfiS5_IjLj3EEiiiiiiiiiiiliiliiiiil, .Lfunc_end89-_ZL15flash_attn_tileILi64ELi64ELi64ELi1ELb1EEvPKcS1_S1_S1_S1_PKiPfP15HIP_vector_typeIfLj2EEffffjfiS5_IjLj3EEiiiiiiiiiiiliiliiiiil
                                        ; -- End function
	.set _ZL15flash_attn_tileILi64ELi64ELi64ELi1ELb1EEvPKcS1_S1_S1_S1_PKiPfP15HIP_vector_typeIfLj2EEffffjfiS5_IjLj3EEiiiiiiiiiiiliiliiiiil.num_vgpr, max(0, .L_ZL14no_device_codePKciS0_iS0_.num_vgpr)
	.set _ZL15flash_attn_tileILi64ELi64ELi64ELi1ELb1EEvPKcS1_S1_S1_S1_PKiPfP15HIP_vector_typeIfLj2EEffffjfiS5_IjLj3EEiiiiiiiiiiiliiliiiiil.num_agpr, max(0, .L_ZL14no_device_codePKciS0_iS0_.num_agpr)
	.set _ZL15flash_attn_tileILi64ELi64ELi64ELi1ELb1EEvPKcS1_S1_S1_S1_PKiPfP15HIP_vector_typeIfLj2EEffffjfiS5_IjLj3EEiiiiiiiiiiiliiliiiiil.numbered_sgpr, max(33, .L_ZL14no_device_codePKciS0_iS0_.numbered_sgpr)
	.set _ZL15flash_attn_tileILi64ELi64ELi64ELi1ELb1EEvPKcS1_S1_S1_S1_PKiPfP15HIP_vector_typeIfLj2EEffffjfiS5_IjLj3EEiiiiiiiiiiiliiliiiiil.num_named_barrier, max(0, .L_ZL14no_device_codePKciS0_iS0_.num_named_barrier)
	.set _ZL15flash_attn_tileILi64ELi64ELi64ELi1ELb1EEvPKcS1_S1_S1_S1_PKiPfP15HIP_vector_typeIfLj2EEffffjfiS5_IjLj3EEiiiiiiiiiiiliiliiiiil.private_seg_size, 0+max(.L_ZL14no_device_codePKciS0_iS0_.private_seg_size)
	.set _ZL15flash_attn_tileILi64ELi64ELi64ELi1ELb1EEvPKcS1_S1_S1_S1_PKiPfP15HIP_vector_typeIfLj2EEffffjfiS5_IjLj3EEiiiiiiiiiiiliiliiiiil.uses_vcc, or(1, .L_ZL14no_device_codePKciS0_iS0_.uses_vcc)
	.set _ZL15flash_attn_tileILi64ELi64ELi64ELi1ELb1EEvPKcS1_S1_S1_S1_PKiPfP15HIP_vector_typeIfLj2EEffffjfiS5_IjLj3EEiiiiiiiiiiiliiliiiiil.uses_flat_scratch, or(0, .L_ZL14no_device_codePKciS0_iS0_.uses_flat_scratch)
	.set _ZL15flash_attn_tileILi64ELi64ELi64ELi1ELb1EEvPKcS1_S1_S1_S1_PKiPfP15HIP_vector_typeIfLj2EEffffjfiS5_IjLj3EEiiiiiiiiiiiliiliiiiil.has_dyn_sized_stack, or(0, .L_ZL14no_device_codePKciS0_iS0_.has_dyn_sized_stack)
	.set _ZL15flash_attn_tileILi64ELi64ELi64ELi1ELb1EEvPKcS1_S1_S1_S1_PKiPfP15HIP_vector_typeIfLj2EEffffjfiS5_IjLj3EEiiiiiiiiiiiliiliiiiil.has_recursion, or(0, .L_ZL14no_device_codePKciS0_iS0_.has_recursion)
	.set _ZL15flash_attn_tileILi64ELi64ELi64ELi1ELb1EEvPKcS1_S1_S1_S1_PKiPfP15HIP_vector_typeIfLj2EEffffjfiS5_IjLj3EEiiiiiiiiiiiliiliiiiil.has_indirect_call, or(0, .L_ZL14no_device_codePKciS0_iS0_.has_indirect_call)
	.section	.AMDGPU.csdata,"",@progbits
; Kernel info:
; codeLenInByte = 40
; TotalNumSgprs: 40
; NumVgprs: 50
; NumAgprs: 0
; TotalNumVgprs: 50
; ScratchSize: 16
; MemoryBound: 0
; FloatMode: 240
; IeeeMode: 1
; LDSByteSize: 0 bytes/workgroup (compile time only)
; SGPRBlocks: 4
; VGPRBlocks: 6
; NumSGPRsForWavesPerEU: 40
; NumVGPRsForWavesPerEU: 50
; AccumOffset: 52
; Occupancy: 8
; WaveLimiterHint : 1
; COMPUTE_PGM_RSRC2:SCRATCH_EN: 1
; COMPUTE_PGM_RSRC2:USER_SGPR: 2
; COMPUTE_PGM_RSRC2:TRAP_HANDLER: 0
; COMPUTE_PGM_RSRC2:TGID_X_EN: 1
; COMPUTE_PGM_RSRC2:TGID_Y_EN: 0
; COMPUTE_PGM_RSRC2:TGID_Z_EN: 0
; COMPUTE_PGM_RSRC2:TIDIG_COMP_CNT: 0
; COMPUTE_PGM_RSRC3_GFX90A:ACCUM_OFFSET: 12
; COMPUTE_PGM_RSRC3_GFX90A:TG_SPLIT: 0
	.section	.text._ZL15flash_attn_tileILi64ELi64ELi32ELi1ELb1EEvPKcS1_S1_S1_S1_PKiPfP15HIP_vector_typeIfLj2EEffffjfiS5_IjLj3EEiiiiiiiiiiiliiliiiiil,"axG",@progbits,_ZL15flash_attn_tileILi64ELi64ELi32ELi1ELb1EEvPKcS1_S1_S1_S1_PKiPfP15HIP_vector_typeIfLj2EEffffjfiS5_IjLj3EEiiiiiiiiiiiliiliiiiil,comdat
	.globl	_ZL15flash_attn_tileILi64ELi64ELi32ELi1ELb1EEvPKcS1_S1_S1_S1_PKiPfP15HIP_vector_typeIfLj2EEffffjfiS5_IjLj3EEiiiiiiiiiiiliiliiiiil ; -- Begin function _ZL15flash_attn_tileILi64ELi64ELi32ELi1ELb1EEvPKcS1_S1_S1_S1_PKiPfP15HIP_vector_typeIfLj2EEffffjfiS5_IjLj3EEiiiiiiiiiiiliiliiiiil
	.p2align	8
	.type	_ZL15flash_attn_tileILi64ELi64ELi32ELi1ELb1EEvPKcS1_S1_S1_S1_PKiPfP15HIP_vector_typeIfLj2EEffffjfiS5_IjLj3EEiiiiiiiiiiiliiliiiiil,@function
_ZL15flash_attn_tileILi64ELi64ELi32ELi1ELb1EEvPKcS1_S1_S1_S1_PKiPfP15HIP_vector_typeIfLj2EEffffjfiS5_IjLj3EEiiiiiiiiiiiliiliiiiil: ; @_ZL15flash_attn_tileILi64ELi64ELi32ELi1ELb1EEvPKcS1_S1_S1_S1_PKiPfP15HIP_vector_typeIfLj2EEffffjfiS5_IjLj3EEiiiiiiiiiiiliiliiiiil
; %bb.0:
	s_add_u32 s8, s0, 0xd0
	s_addc_u32 s9, s1, 0
	s_getpc_b64 s[0:1]
	s_add_u32 s0, s0, _ZL14no_device_codePKciS0_iS0_@rel32@lo+4
	s_addc_u32 s1, s1, _ZL14no_device_codePKciS0_iS0_@rel32@hi+12
	s_mov_b32 s32, 0
	s_swappc_b64 s[30:31], s[0:1]
	.section	.rodata,"a",@progbits
	.p2align	6, 0x0
	.amdhsa_kernel _ZL15flash_attn_tileILi64ELi64ELi32ELi1ELb1EEvPKcS1_S1_S1_S1_PKiPfP15HIP_vector_typeIfLj2EEffffjfiS5_IjLj3EEiiiiiiiiiiiliiliiiiil
		.amdhsa_group_segment_fixed_size 0
		.amdhsa_private_segment_fixed_size 16
		.amdhsa_kernarg_size 464
		.amdhsa_user_sgpr_count 2
		.amdhsa_user_sgpr_dispatch_ptr 0
		.amdhsa_user_sgpr_queue_ptr 0
		.amdhsa_user_sgpr_kernarg_segment_ptr 1
		.amdhsa_user_sgpr_dispatch_id 0
		.amdhsa_user_sgpr_kernarg_preload_length 0
		.amdhsa_user_sgpr_kernarg_preload_offset 0
		.amdhsa_user_sgpr_private_segment_size 0
		.amdhsa_uses_dynamic_stack 0
		.amdhsa_enable_private_segment 1
		.amdhsa_system_sgpr_workgroup_id_x 1
		.amdhsa_system_sgpr_workgroup_id_y 0
		.amdhsa_system_sgpr_workgroup_id_z 0
		.amdhsa_system_sgpr_workgroup_info 0
		.amdhsa_system_vgpr_workitem_id 0
		.amdhsa_next_free_vgpr 50
		.amdhsa_next_free_sgpr 34
		.amdhsa_accum_offset 52
		.amdhsa_reserve_vcc 1
		.amdhsa_float_round_mode_32 0
		.amdhsa_float_round_mode_16_64 0
		.amdhsa_float_denorm_mode_32 3
		.amdhsa_float_denorm_mode_16_64 3
		.amdhsa_dx10_clamp 1
		.amdhsa_ieee_mode 1
		.amdhsa_fp16_overflow 0
		.amdhsa_tg_split 0
		.amdhsa_exception_fp_ieee_invalid_op 0
		.amdhsa_exception_fp_denorm_src 0
		.amdhsa_exception_fp_ieee_div_zero 0
		.amdhsa_exception_fp_ieee_overflow 0
		.amdhsa_exception_fp_ieee_underflow 0
		.amdhsa_exception_fp_ieee_inexact 0
		.amdhsa_exception_int_div_zero 0
	.end_amdhsa_kernel
	.section	.text._ZL15flash_attn_tileILi64ELi64ELi32ELi1ELb1EEvPKcS1_S1_S1_S1_PKiPfP15HIP_vector_typeIfLj2EEffffjfiS5_IjLj3EEiiiiiiiiiiiliiliiiiil,"axG",@progbits,_ZL15flash_attn_tileILi64ELi64ELi32ELi1ELb1EEvPKcS1_S1_S1_S1_PKiPfP15HIP_vector_typeIfLj2EEffffjfiS5_IjLj3EEiiiiiiiiiiiliiliiiiil,comdat
.Lfunc_end90:
	.size	_ZL15flash_attn_tileILi64ELi64ELi32ELi1ELb1EEvPKcS1_S1_S1_S1_PKiPfP15HIP_vector_typeIfLj2EEffffjfiS5_IjLj3EEiiiiiiiiiiiliiliiiiil, .Lfunc_end90-_ZL15flash_attn_tileILi64ELi64ELi32ELi1ELb1EEvPKcS1_S1_S1_S1_PKiPfP15HIP_vector_typeIfLj2EEffffjfiS5_IjLj3EEiiiiiiiiiiiliiliiiiil
                                        ; -- End function
	.set _ZL15flash_attn_tileILi64ELi64ELi32ELi1ELb1EEvPKcS1_S1_S1_S1_PKiPfP15HIP_vector_typeIfLj2EEffffjfiS5_IjLj3EEiiiiiiiiiiiliiliiiiil.num_vgpr, max(0, .L_ZL14no_device_codePKciS0_iS0_.num_vgpr)
	.set _ZL15flash_attn_tileILi64ELi64ELi32ELi1ELb1EEvPKcS1_S1_S1_S1_PKiPfP15HIP_vector_typeIfLj2EEffffjfiS5_IjLj3EEiiiiiiiiiiiliiliiiiil.num_agpr, max(0, .L_ZL14no_device_codePKciS0_iS0_.num_agpr)
	.set _ZL15flash_attn_tileILi64ELi64ELi32ELi1ELb1EEvPKcS1_S1_S1_S1_PKiPfP15HIP_vector_typeIfLj2EEffffjfiS5_IjLj3EEiiiiiiiiiiiliiliiiiil.numbered_sgpr, max(33, .L_ZL14no_device_codePKciS0_iS0_.numbered_sgpr)
	.set _ZL15flash_attn_tileILi64ELi64ELi32ELi1ELb1EEvPKcS1_S1_S1_S1_PKiPfP15HIP_vector_typeIfLj2EEffffjfiS5_IjLj3EEiiiiiiiiiiiliiliiiiil.num_named_barrier, max(0, .L_ZL14no_device_codePKciS0_iS0_.num_named_barrier)
	.set _ZL15flash_attn_tileILi64ELi64ELi32ELi1ELb1EEvPKcS1_S1_S1_S1_PKiPfP15HIP_vector_typeIfLj2EEffffjfiS5_IjLj3EEiiiiiiiiiiiliiliiiiil.private_seg_size, 0+max(.L_ZL14no_device_codePKciS0_iS0_.private_seg_size)
	.set _ZL15flash_attn_tileILi64ELi64ELi32ELi1ELb1EEvPKcS1_S1_S1_S1_PKiPfP15HIP_vector_typeIfLj2EEffffjfiS5_IjLj3EEiiiiiiiiiiiliiliiiiil.uses_vcc, or(1, .L_ZL14no_device_codePKciS0_iS0_.uses_vcc)
	.set _ZL15flash_attn_tileILi64ELi64ELi32ELi1ELb1EEvPKcS1_S1_S1_S1_PKiPfP15HIP_vector_typeIfLj2EEffffjfiS5_IjLj3EEiiiiiiiiiiiliiliiiiil.uses_flat_scratch, or(0, .L_ZL14no_device_codePKciS0_iS0_.uses_flat_scratch)
	.set _ZL15flash_attn_tileILi64ELi64ELi32ELi1ELb1EEvPKcS1_S1_S1_S1_PKiPfP15HIP_vector_typeIfLj2EEffffjfiS5_IjLj3EEiiiiiiiiiiiliiliiiiil.has_dyn_sized_stack, or(0, .L_ZL14no_device_codePKciS0_iS0_.has_dyn_sized_stack)
	.set _ZL15flash_attn_tileILi64ELi64ELi32ELi1ELb1EEvPKcS1_S1_S1_S1_PKiPfP15HIP_vector_typeIfLj2EEffffjfiS5_IjLj3EEiiiiiiiiiiiliiliiiiil.has_recursion, or(0, .L_ZL14no_device_codePKciS0_iS0_.has_recursion)
	.set _ZL15flash_attn_tileILi64ELi64ELi32ELi1ELb1EEvPKcS1_S1_S1_S1_PKiPfP15HIP_vector_typeIfLj2EEffffjfiS5_IjLj3EEiiiiiiiiiiiliiliiiiil.has_indirect_call, or(0, .L_ZL14no_device_codePKciS0_iS0_.has_indirect_call)
	.section	.AMDGPU.csdata,"",@progbits
; Kernel info:
; codeLenInByte = 40
; TotalNumSgprs: 40
; NumVgprs: 50
; NumAgprs: 0
; TotalNumVgprs: 50
; ScratchSize: 16
; MemoryBound: 0
; FloatMode: 240
; IeeeMode: 1
; LDSByteSize: 0 bytes/workgroup (compile time only)
; SGPRBlocks: 4
; VGPRBlocks: 6
; NumSGPRsForWavesPerEU: 40
; NumVGPRsForWavesPerEU: 50
; AccumOffset: 52
; Occupancy: 8
; WaveLimiterHint : 1
; COMPUTE_PGM_RSRC2:SCRATCH_EN: 1
; COMPUTE_PGM_RSRC2:USER_SGPR: 2
; COMPUTE_PGM_RSRC2:TRAP_HANDLER: 0
; COMPUTE_PGM_RSRC2:TGID_X_EN: 1
; COMPUTE_PGM_RSRC2:TGID_Y_EN: 0
; COMPUTE_PGM_RSRC2:TGID_Z_EN: 0
; COMPUTE_PGM_RSRC2:TIDIG_COMP_CNT: 0
; COMPUTE_PGM_RSRC3_GFX90A:ACCUM_OFFSET: 12
; COMPUTE_PGM_RSRC3_GFX90A:TG_SPLIT: 0
	.section	.text._ZL15flash_attn_tileILi64ELi64ELi16ELi1ELb1EEvPKcS1_S1_S1_S1_PKiPfP15HIP_vector_typeIfLj2EEffffjfiS5_IjLj3EEiiiiiiiiiiiliiliiiiil,"axG",@progbits,_ZL15flash_attn_tileILi64ELi64ELi16ELi1ELb1EEvPKcS1_S1_S1_S1_PKiPfP15HIP_vector_typeIfLj2EEffffjfiS5_IjLj3EEiiiiiiiiiiiliiliiiiil,comdat
	.globl	_ZL15flash_attn_tileILi64ELi64ELi16ELi1ELb1EEvPKcS1_S1_S1_S1_PKiPfP15HIP_vector_typeIfLj2EEffffjfiS5_IjLj3EEiiiiiiiiiiiliiliiiiil ; -- Begin function _ZL15flash_attn_tileILi64ELi64ELi16ELi1ELb1EEvPKcS1_S1_S1_S1_PKiPfP15HIP_vector_typeIfLj2EEffffjfiS5_IjLj3EEiiiiiiiiiiiliiliiiiil
	.p2align	8
	.type	_ZL15flash_attn_tileILi64ELi64ELi16ELi1ELb1EEvPKcS1_S1_S1_S1_PKiPfP15HIP_vector_typeIfLj2EEffffjfiS5_IjLj3EEiiiiiiiiiiiliiliiiiil,@function
_ZL15flash_attn_tileILi64ELi64ELi16ELi1ELb1EEvPKcS1_S1_S1_S1_PKiPfP15HIP_vector_typeIfLj2EEffffjfiS5_IjLj3EEiiiiiiiiiiiliiliiiiil: ; @_ZL15flash_attn_tileILi64ELi64ELi16ELi1ELb1EEvPKcS1_S1_S1_S1_PKiPfP15HIP_vector_typeIfLj2EEffffjfiS5_IjLj3EEiiiiiiiiiiiliiliiiiil
; %bb.0:
	s_add_u32 s8, s0, 0xd0
	s_addc_u32 s9, s1, 0
	s_getpc_b64 s[0:1]
	s_add_u32 s0, s0, _ZL14no_device_codePKciS0_iS0_@rel32@lo+4
	s_addc_u32 s1, s1, _ZL14no_device_codePKciS0_iS0_@rel32@hi+12
	s_mov_b32 s32, 0
	s_swappc_b64 s[30:31], s[0:1]
	.section	.rodata,"a",@progbits
	.p2align	6, 0x0
	.amdhsa_kernel _ZL15flash_attn_tileILi64ELi64ELi16ELi1ELb1EEvPKcS1_S1_S1_S1_PKiPfP15HIP_vector_typeIfLj2EEffffjfiS5_IjLj3EEiiiiiiiiiiiliiliiiiil
		.amdhsa_group_segment_fixed_size 0
		.amdhsa_private_segment_fixed_size 16
		.amdhsa_kernarg_size 464
		.amdhsa_user_sgpr_count 2
		.amdhsa_user_sgpr_dispatch_ptr 0
		.amdhsa_user_sgpr_queue_ptr 0
		.amdhsa_user_sgpr_kernarg_segment_ptr 1
		.amdhsa_user_sgpr_dispatch_id 0
		.amdhsa_user_sgpr_kernarg_preload_length 0
		.amdhsa_user_sgpr_kernarg_preload_offset 0
		.amdhsa_user_sgpr_private_segment_size 0
		.amdhsa_uses_dynamic_stack 0
		.amdhsa_enable_private_segment 1
		.amdhsa_system_sgpr_workgroup_id_x 1
		.amdhsa_system_sgpr_workgroup_id_y 0
		.amdhsa_system_sgpr_workgroup_id_z 0
		.amdhsa_system_sgpr_workgroup_info 0
		.amdhsa_system_vgpr_workitem_id 0
		.amdhsa_next_free_vgpr 50
		.amdhsa_next_free_sgpr 34
		.amdhsa_accum_offset 52
		.amdhsa_reserve_vcc 1
		.amdhsa_float_round_mode_32 0
		.amdhsa_float_round_mode_16_64 0
		.amdhsa_float_denorm_mode_32 3
		.amdhsa_float_denorm_mode_16_64 3
		.amdhsa_dx10_clamp 1
		.amdhsa_ieee_mode 1
		.amdhsa_fp16_overflow 0
		.amdhsa_tg_split 0
		.amdhsa_exception_fp_ieee_invalid_op 0
		.amdhsa_exception_fp_denorm_src 0
		.amdhsa_exception_fp_ieee_div_zero 0
		.amdhsa_exception_fp_ieee_overflow 0
		.amdhsa_exception_fp_ieee_underflow 0
		.amdhsa_exception_fp_ieee_inexact 0
		.amdhsa_exception_int_div_zero 0
	.end_amdhsa_kernel
	.section	.text._ZL15flash_attn_tileILi64ELi64ELi16ELi1ELb1EEvPKcS1_S1_S1_S1_PKiPfP15HIP_vector_typeIfLj2EEffffjfiS5_IjLj3EEiiiiiiiiiiiliiliiiiil,"axG",@progbits,_ZL15flash_attn_tileILi64ELi64ELi16ELi1ELb1EEvPKcS1_S1_S1_S1_PKiPfP15HIP_vector_typeIfLj2EEffffjfiS5_IjLj3EEiiiiiiiiiiiliiliiiiil,comdat
.Lfunc_end91:
	.size	_ZL15flash_attn_tileILi64ELi64ELi16ELi1ELb1EEvPKcS1_S1_S1_S1_PKiPfP15HIP_vector_typeIfLj2EEffffjfiS5_IjLj3EEiiiiiiiiiiiliiliiiiil, .Lfunc_end91-_ZL15flash_attn_tileILi64ELi64ELi16ELi1ELb1EEvPKcS1_S1_S1_S1_PKiPfP15HIP_vector_typeIfLj2EEffffjfiS5_IjLj3EEiiiiiiiiiiiliiliiiiil
                                        ; -- End function
	.set _ZL15flash_attn_tileILi64ELi64ELi16ELi1ELb1EEvPKcS1_S1_S1_S1_PKiPfP15HIP_vector_typeIfLj2EEffffjfiS5_IjLj3EEiiiiiiiiiiiliiliiiiil.num_vgpr, max(0, .L_ZL14no_device_codePKciS0_iS0_.num_vgpr)
	.set _ZL15flash_attn_tileILi64ELi64ELi16ELi1ELb1EEvPKcS1_S1_S1_S1_PKiPfP15HIP_vector_typeIfLj2EEffffjfiS5_IjLj3EEiiiiiiiiiiiliiliiiiil.num_agpr, max(0, .L_ZL14no_device_codePKciS0_iS0_.num_agpr)
	.set _ZL15flash_attn_tileILi64ELi64ELi16ELi1ELb1EEvPKcS1_S1_S1_S1_PKiPfP15HIP_vector_typeIfLj2EEffffjfiS5_IjLj3EEiiiiiiiiiiiliiliiiiil.numbered_sgpr, max(33, .L_ZL14no_device_codePKciS0_iS0_.numbered_sgpr)
	.set _ZL15flash_attn_tileILi64ELi64ELi16ELi1ELb1EEvPKcS1_S1_S1_S1_PKiPfP15HIP_vector_typeIfLj2EEffffjfiS5_IjLj3EEiiiiiiiiiiiliiliiiiil.num_named_barrier, max(0, .L_ZL14no_device_codePKciS0_iS0_.num_named_barrier)
	.set _ZL15flash_attn_tileILi64ELi64ELi16ELi1ELb1EEvPKcS1_S1_S1_S1_PKiPfP15HIP_vector_typeIfLj2EEffffjfiS5_IjLj3EEiiiiiiiiiiiliiliiiiil.private_seg_size, 0+max(.L_ZL14no_device_codePKciS0_iS0_.private_seg_size)
	.set _ZL15flash_attn_tileILi64ELi64ELi16ELi1ELb1EEvPKcS1_S1_S1_S1_PKiPfP15HIP_vector_typeIfLj2EEffffjfiS5_IjLj3EEiiiiiiiiiiiliiliiiiil.uses_vcc, or(1, .L_ZL14no_device_codePKciS0_iS0_.uses_vcc)
	.set _ZL15flash_attn_tileILi64ELi64ELi16ELi1ELb1EEvPKcS1_S1_S1_S1_PKiPfP15HIP_vector_typeIfLj2EEffffjfiS5_IjLj3EEiiiiiiiiiiiliiliiiiil.uses_flat_scratch, or(0, .L_ZL14no_device_codePKciS0_iS0_.uses_flat_scratch)
	.set _ZL15flash_attn_tileILi64ELi64ELi16ELi1ELb1EEvPKcS1_S1_S1_S1_PKiPfP15HIP_vector_typeIfLj2EEffffjfiS5_IjLj3EEiiiiiiiiiiiliiliiiiil.has_dyn_sized_stack, or(0, .L_ZL14no_device_codePKciS0_iS0_.has_dyn_sized_stack)
	.set _ZL15flash_attn_tileILi64ELi64ELi16ELi1ELb1EEvPKcS1_S1_S1_S1_PKiPfP15HIP_vector_typeIfLj2EEffffjfiS5_IjLj3EEiiiiiiiiiiiliiliiiiil.has_recursion, or(0, .L_ZL14no_device_codePKciS0_iS0_.has_recursion)
	.set _ZL15flash_attn_tileILi64ELi64ELi16ELi1ELb1EEvPKcS1_S1_S1_S1_PKiPfP15HIP_vector_typeIfLj2EEffffjfiS5_IjLj3EEiiiiiiiiiiiliiliiiiil.has_indirect_call, or(0, .L_ZL14no_device_codePKciS0_iS0_.has_indirect_call)
	.section	.AMDGPU.csdata,"",@progbits
; Kernel info:
; codeLenInByte = 40
; TotalNumSgprs: 40
; NumVgprs: 50
; NumAgprs: 0
; TotalNumVgprs: 50
; ScratchSize: 16
; MemoryBound: 0
; FloatMode: 240
; IeeeMode: 1
; LDSByteSize: 0 bytes/workgroup (compile time only)
; SGPRBlocks: 4
; VGPRBlocks: 6
; NumSGPRsForWavesPerEU: 40
; NumVGPRsForWavesPerEU: 50
; AccumOffset: 52
; Occupancy: 8
; WaveLimiterHint : 1
; COMPUTE_PGM_RSRC2:SCRATCH_EN: 1
; COMPUTE_PGM_RSRC2:USER_SGPR: 2
; COMPUTE_PGM_RSRC2:TRAP_HANDLER: 0
; COMPUTE_PGM_RSRC2:TGID_X_EN: 1
; COMPUTE_PGM_RSRC2:TGID_Y_EN: 0
; COMPUTE_PGM_RSRC2:TGID_Z_EN: 0
; COMPUTE_PGM_RSRC2:TIDIG_COMP_CNT: 0
; COMPUTE_PGM_RSRC3_GFX90A:ACCUM_OFFSET: 12
; COMPUTE_PGM_RSRC3_GFX90A:TG_SPLIT: 0
	.section	.text._ZL15flash_attn_tileILi64ELi64ELi8ELi1ELb1EEvPKcS1_S1_S1_S1_PKiPfP15HIP_vector_typeIfLj2EEffffjfiS5_IjLj3EEiiiiiiiiiiiliiliiiiil,"axG",@progbits,_ZL15flash_attn_tileILi64ELi64ELi8ELi1ELb1EEvPKcS1_S1_S1_S1_PKiPfP15HIP_vector_typeIfLj2EEffffjfiS5_IjLj3EEiiiiiiiiiiiliiliiiiil,comdat
	.globl	_ZL15flash_attn_tileILi64ELi64ELi8ELi1ELb1EEvPKcS1_S1_S1_S1_PKiPfP15HIP_vector_typeIfLj2EEffffjfiS5_IjLj3EEiiiiiiiiiiiliiliiiiil ; -- Begin function _ZL15flash_attn_tileILi64ELi64ELi8ELi1ELb1EEvPKcS1_S1_S1_S1_PKiPfP15HIP_vector_typeIfLj2EEffffjfiS5_IjLj3EEiiiiiiiiiiiliiliiiiil
	.p2align	8
	.type	_ZL15flash_attn_tileILi64ELi64ELi8ELi1ELb1EEvPKcS1_S1_S1_S1_PKiPfP15HIP_vector_typeIfLj2EEffffjfiS5_IjLj3EEiiiiiiiiiiiliiliiiiil,@function
_ZL15flash_attn_tileILi64ELi64ELi8ELi1ELb1EEvPKcS1_S1_S1_S1_PKiPfP15HIP_vector_typeIfLj2EEffffjfiS5_IjLj3EEiiiiiiiiiiiliiliiiiil: ; @_ZL15flash_attn_tileILi64ELi64ELi8ELi1ELb1EEvPKcS1_S1_S1_S1_PKiPfP15HIP_vector_typeIfLj2EEffffjfiS5_IjLj3EEiiiiiiiiiiiliiliiiiil
; %bb.0:
	s_add_u32 s8, s0, 0xd0
	s_addc_u32 s9, s1, 0
	s_getpc_b64 s[0:1]
	s_add_u32 s0, s0, _ZL14no_device_codePKciS0_iS0_@rel32@lo+4
	s_addc_u32 s1, s1, _ZL14no_device_codePKciS0_iS0_@rel32@hi+12
	s_mov_b32 s32, 0
	s_swappc_b64 s[30:31], s[0:1]
	.section	.rodata,"a",@progbits
	.p2align	6, 0x0
	.amdhsa_kernel _ZL15flash_attn_tileILi64ELi64ELi8ELi1ELb1EEvPKcS1_S1_S1_S1_PKiPfP15HIP_vector_typeIfLj2EEffffjfiS5_IjLj3EEiiiiiiiiiiiliiliiiiil
		.amdhsa_group_segment_fixed_size 0
		.amdhsa_private_segment_fixed_size 16
		.amdhsa_kernarg_size 464
		.amdhsa_user_sgpr_count 2
		.amdhsa_user_sgpr_dispatch_ptr 0
		.amdhsa_user_sgpr_queue_ptr 0
		.amdhsa_user_sgpr_kernarg_segment_ptr 1
		.amdhsa_user_sgpr_dispatch_id 0
		.amdhsa_user_sgpr_kernarg_preload_length 0
		.amdhsa_user_sgpr_kernarg_preload_offset 0
		.amdhsa_user_sgpr_private_segment_size 0
		.amdhsa_uses_dynamic_stack 0
		.amdhsa_enable_private_segment 1
		.amdhsa_system_sgpr_workgroup_id_x 1
		.amdhsa_system_sgpr_workgroup_id_y 0
		.amdhsa_system_sgpr_workgroup_id_z 0
		.amdhsa_system_sgpr_workgroup_info 0
		.amdhsa_system_vgpr_workitem_id 0
		.amdhsa_next_free_vgpr 50
		.amdhsa_next_free_sgpr 34
		.amdhsa_accum_offset 52
		.amdhsa_reserve_vcc 1
		.amdhsa_float_round_mode_32 0
		.amdhsa_float_round_mode_16_64 0
		.amdhsa_float_denorm_mode_32 3
		.amdhsa_float_denorm_mode_16_64 3
		.amdhsa_dx10_clamp 1
		.amdhsa_ieee_mode 1
		.amdhsa_fp16_overflow 0
		.amdhsa_tg_split 0
		.amdhsa_exception_fp_ieee_invalid_op 0
		.amdhsa_exception_fp_denorm_src 0
		.amdhsa_exception_fp_ieee_div_zero 0
		.amdhsa_exception_fp_ieee_overflow 0
		.amdhsa_exception_fp_ieee_underflow 0
		.amdhsa_exception_fp_ieee_inexact 0
		.amdhsa_exception_int_div_zero 0
	.end_amdhsa_kernel
	.section	.text._ZL15flash_attn_tileILi64ELi64ELi8ELi1ELb1EEvPKcS1_S1_S1_S1_PKiPfP15HIP_vector_typeIfLj2EEffffjfiS5_IjLj3EEiiiiiiiiiiiliiliiiiil,"axG",@progbits,_ZL15flash_attn_tileILi64ELi64ELi8ELi1ELb1EEvPKcS1_S1_S1_S1_PKiPfP15HIP_vector_typeIfLj2EEffffjfiS5_IjLj3EEiiiiiiiiiiiliiliiiiil,comdat
.Lfunc_end92:
	.size	_ZL15flash_attn_tileILi64ELi64ELi8ELi1ELb1EEvPKcS1_S1_S1_S1_PKiPfP15HIP_vector_typeIfLj2EEffffjfiS5_IjLj3EEiiiiiiiiiiiliiliiiiil, .Lfunc_end92-_ZL15flash_attn_tileILi64ELi64ELi8ELi1ELb1EEvPKcS1_S1_S1_S1_PKiPfP15HIP_vector_typeIfLj2EEffffjfiS5_IjLj3EEiiiiiiiiiiiliiliiiiil
                                        ; -- End function
	.set _ZL15flash_attn_tileILi64ELi64ELi8ELi1ELb1EEvPKcS1_S1_S1_S1_PKiPfP15HIP_vector_typeIfLj2EEffffjfiS5_IjLj3EEiiiiiiiiiiiliiliiiiil.num_vgpr, max(0, .L_ZL14no_device_codePKciS0_iS0_.num_vgpr)
	.set _ZL15flash_attn_tileILi64ELi64ELi8ELi1ELb1EEvPKcS1_S1_S1_S1_PKiPfP15HIP_vector_typeIfLj2EEffffjfiS5_IjLj3EEiiiiiiiiiiiliiliiiiil.num_agpr, max(0, .L_ZL14no_device_codePKciS0_iS0_.num_agpr)
	.set _ZL15flash_attn_tileILi64ELi64ELi8ELi1ELb1EEvPKcS1_S1_S1_S1_PKiPfP15HIP_vector_typeIfLj2EEffffjfiS5_IjLj3EEiiiiiiiiiiiliiliiiiil.numbered_sgpr, max(33, .L_ZL14no_device_codePKciS0_iS0_.numbered_sgpr)
	.set _ZL15flash_attn_tileILi64ELi64ELi8ELi1ELb1EEvPKcS1_S1_S1_S1_PKiPfP15HIP_vector_typeIfLj2EEffffjfiS5_IjLj3EEiiiiiiiiiiiliiliiiiil.num_named_barrier, max(0, .L_ZL14no_device_codePKciS0_iS0_.num_named_barrier)
	.set _ZL15flash_attn_tileILi64ELi64ELi8ELi1ELb1EEvPKcS1_S1_S1_S1_PKiPfP15HIP_vector_typeIfLj2EEffffjfiS5_IjLj3EEiiiiiiiiiiiliiliiiiil.private_seg_size, 0+max(.L_ZL14no_device_codePKciS0_iS0_.private_seg_size)
	.set _ZL15flash_attn_tileILi64ELi64ELi8ELi1ELb1EEvPKcS1_S1_S1_S1_PKiPfP15HIP_vector_typeIfLj2EEffffjfiS5_IjLj3EEiiiiiiiiiiiliiliiiiil.uses_vcc, or(1, .L_ZL14no_device_codePKciS0_iS0_.uses_vcc)
	.set _ZL15flash_attn_tileILi64ELi64ELi8ELi1ELb1EEvPKcS1_S1_S1_S1_PKiPfP15HIP_vector_typeIfLj2EEffffjfiS5_IjLj3EEiiiiiiiiiiiliiliiiiil.uses_flat_scratch, or(0, .L_ZL14no_device_codePKciS0_iS0_.uses_flat_scratch)
	.set _ZL15flash_attn_tileILi64ELi64ELi8ELi1ELb1EEvPKcS1_S1_S1_S1_PKiPfP15HIP_vector_typeIfLj2EEffffjfiS5_IjLj3EEiiiiiiiiiiiliiliiiiil.has_dyn_sized_stack, or(0, .L_ZL14no_device_codePKciS0_iS0_.has_dyn_sized_stack)
	.set _ZL15flash_attn_tileILi64ELi64ELi8ELi1ELb1EEvPKcS1_S1_S1_S1_PKiPfP15HIP_vector_typeIfLj2EEffffjfiS5_IjLj3EEiiiiiiiiiiiliiliiiiil.has_recursion, or(0, .L_ZL14no_device_codePKciS0_iS0_.has_recursion)
	.set _ZL15flash_attn_tileILi64ELi64ELi8ELi1ELb1EEvPKcS1_S1_S1_S1_PKiPfP15HIP_vector_typeIfLj2EEffffjfiS5_IjLj3EEiiiiiiiiiiiliiliiiiil.has_indirect_call, or(0, .L_ZL14no_device_codePKciS0_iS0_.has_indirect_call)
	.section	.AMDGPU.csdata,"",@progbits
; Kernel info:
; codeLenInByte = 40
; TotalNumSgprs: 40
; NumVgprs: 50
; NumAgprs: 0
; TotalNumVgprs: 50
; ScratchSize: 16
; MemoryBound: 0
; FloatMode: 240
; IeeeMode: 1
; LDSByteSize: 0 bytes/workgroup (compile time only)
; SGPRBlocks: 4
; VGPRBlocks: 6
; NumSGPRsForWavesPerEU: 40
; NumVGPRsForWavesPerEU: 50
; AccumOffset: 52
; Occupancy: 8
; WaveLimiterHint : 1
; COMPUTE_PGM_RSRC2:SCRATCH_EN: 1
; COMPUTE_PGM_RSRC2:USER_SGPR: 2
; COMPUTE_PGM_RSRC2:TRAP_HANDLER: 0
; COMPUTE_PGM_RSRC2:TGID_X_EN: 1
; COMPUTE_PGM_RSRC2:TGID_Y_EN: 0
; COMPUTE_PGM_RSRC2:TGID_Z_EN: 0
; COMPUTE_PGM_RSRC2:TIDIG_COMP_CNT: 0
; COMPUTE_PGM_RSRC3_GFX90A:ACCUM_OFFSET: 12
; COMPUTE_PGM_RSRC3_GFX90A:TG_SPLIT: 0
	.section	.text._ZL15flash_attn_tileILi64ELi64ELi4ELi1ELb1EEvPKcS1_S1_S1_S1_PKiPfP15HIP_vector_typeIfLj2EEffffjfiS5_IjLj3EEiiiiiiiiiiiliiliiiiil,"axG",@progbits,_ZL15flash_attn_tileILi64ELi64ELi4ELi1ELb1EEvPKcS1_S1_S1_S1_PKiPfP15HIP_vector_typeIfLj2EEffffjfiS5_IjLj3EEiiiiiiiiiiiliiliiiiil,comdat
	.globl	_ZL15flash_attn_tileILi64ELi64ELi4ELi1ELb1EEvPKcS1_S1_S1_S1_PKiPfP15HIP_vector_typeIfLj2EEffffjfiS5_IjLj3EEiiiiiiiiiiiliiliiiiil ; -- Begin function _ZL15flash_attn_tileILi64ELi64ELi4ELi1ELb1EEvPKcS1_S1_S1_S1_PKiPfP15HIP_vector_typeIfLj2EEffffjfiS5_IjLj3EEiiiiiiiiiiiliiliiiiil
	.p2align	8
	.type	_ZL15flash_attn_tileILi64ELi64ELi4ELi1ELb1EEvPKcS1_S1_S1_S1_PKiPfP15HIP_vector_typeIfLj2EEffffjfiS5_IjLj3EEiiiiiiiiiiiliiliiiiil,@function
_ZL15flash_attn_tileILi64ELi64ELi4ELi1ELb1EEvPKcS1_S1_S1_S1_PKiPfP15HIP_vector_typeIfLj2EEffffjfiS5_IjLj3EEiiiiiiiiiiiliiliiiiil: ; @_ZL15flash_attn_tileILi64ELi64ELi4ELi1ELb1EEvPKcS1_S1_S1_S1_PKiPfP15HIP_vector_typeIfLj2EEffffjfiS5_IjLj3EEiiiiiiiiiiiliiliiiiil
; %bb.0:
	s_add_u32 s8, s0, 0xd0
	s_addc_u32 s9, s1, 0
	s_getpc_b64 s[0:1]
	s_add_u32 s0, s0, _ZL14no_device_codePKciS0_iS0_@rel32@lo+4
	s_addc_u32 s1, s1, _ZL14no_device_codePKciS0_iS0_@rel32@hi+12
	s_mov_b32 s32, 0
	s_swappc_b64 s[30:31], s[0:1]
	.section	.rodata,"a",@progbits
	.p2align	6, 0x0
	.amdhsa_kernel _ZL15flash_attn_tileILi64ELi64ELi4ELi1ELb1EEvPKcS1_S1_S1_S1_PKiPfP15HIP_vector_typeIfLj2EEffffjfiS5_IjLj3EEiiiiiiiiiiiliiliiiiil
		.amdhsa_group_segment_fixed_size 0
		.amdhsa_private_segment_fixed_size 16
		.amdhsa_kernarg_size 464
		.amdhsa_user_sgpr_count 2
		.amdhsa_user_sgpr_dispatch_ptr 0
		.amdhsa_user_sgpr_queue_ptr 0
		.amdhsa_user_sgpr_kernarg_segment_ptr 1
		.amdhsa_user_sgpr_dispatch_id 0
		.amdhsa_user_sgpr_kernarg_preload_length 0
		.amdhsa_user_sgpr_kernarg_preload_offset 0
		.amdhsa_user_sgpr_private_segment_size 0
		.amdhsa_uses_dynamic_stack 0
		.amdhsa_enable_private_segment 1
		.amdhsa_system_sgpr_workgroup_id_x 1
		.amdhsa_system_sgpr_workgroup_id_y 0
		.amdhsa_system_sgpr_workgroup_id_z 0
		.amdhsa_system_sgpr_workgroup_info 0
		.amdhsa_system_vgpr_workitem_id 0
		.amdhsa_next_free_vgpr 50
		.amdhsa_next_free_sgpr 34
		.amdhsa_accum_offset 52
		.amdhsa_reserve_vcc 1
		.amdhsa_float_round_mode_32 0
		.amdhsa_float_round_mode_16_64 0
		.amdhsa_float_denorm_mode_32 3
		.amdhsa_float_denorm_mode_16_64 3
		.amdhsa_dx10_clamp 1
		.amdhsa_ieee_mode 1
		.amdhsa_fp16_overflow 0
		.amdhsa_tg_split 0
		.amdhsa_exception_fp_ieee_invalid_op 0
		.amdhsa_exception_fp_denorm_src 0
		.amdhsa_exception_fp_ieee_div_zero 0
		.amdhsa_exception_fp_ieee_overflow 0
		.amdhsa_exception_fp_ieee_underflow 0
		.amdhsa_exception_fp_ieee_inexact 0
		.amdhsa_exception_int_div_zero 0
	.end_amdhsa_kernel
	.section	.text._ZL15flash_attn_tileILi64ELi64ELi4ELi1ELb1EEvPKcS1_S1_S1_S1_PKiPfP15HIP_vector_typeIfLj2EEffffjfiS5_IjLj3EEiiiiiiiiiiiliiliiiiil,"axG",@progbits,_ZL15flash_attn_tileILi64ELi64ELi4ELi1ELb1EEvPKcS1_S1_S1_S1_PKiPfP15HIP_vector_typeIfLj2EEffffjfiS5_IjLj3EEiiiiiiiiiiiliiliiiiil,comdat
.Lfunc_end93:
	.size	_ZL15flash_attn_tileILi64ELi64ELi4ELi1ELb1EEvPKcS1_S1_S1_S1_PKiPfP15HIP_vector_typeIfLj2EEffffjfiS5_IjLj3EEiiiiiiiiiiiliiliiiiil, .Lfunc_end93-_ZL15flash_attn_tileILi64ELi64ELi4ELi1ELb1EEvPKcS1_S1_S1_S1_PKiPfP15HIP_vector_typeIfLj2EEffffjfiS5_IjLj3EEiiiiiiiiiiiliiliiiiil
                                        ; -- End function
	.set _ZL15flash_attn_tileILi64ELi64ELi4ELi1ELb1EEvPKcS1_S1_S1_S1_PKiPfP15HIP_vector_typeIfLj2EEffffjfiS5_IjLj3EEiiiiiiiiiiiliiliiiiil.num_vgpr, max(0, .L_ZL14no_device_codePKciS0_iS0_.num_vgpr)
	.set _ZL15flash_attn_tileILi64ELi64ELi4ELi1ELb1EEvPKcS1_S1_S1_S1_PKiPfP15HIP_vector_typeIfLj2EEffffjfiS5_IjLj3EEiiiiiiiiiiiliiliiiiil.num_agpr, max(0, .L_ZL14no_device_codePKciS0_iS0_.num_agpr)
	.set _ZL15flash_attn_tileILi64ELi64ELi4ELi1ELb1EEvPKcS1_S1_S1_S1_PKiPfP15HIP_vector_typeIfLj2EEffffjfiS5_IjLj3EEiiiiiiiiiiiliiliiiiil.numbered_sgpr, max(33, .L_ZL14no_device_codePKciS0_iS0_.numbered_sgpr)
	.set _ZL15flash_attn_tileILi64ELi64ELi4ELi1ELb1EEvPKcS1_S1_S1_S1_PKiPfP15HIP_vector_typeIfLj2EEffffjfiS5_IjLj3EEiiiiiiiiiiiliiliiiiil.num_named_barrier, max(0, .L_ZL14no_device_codePKciS0_iS0_.num_named_barrier)
	.set _ZL15flash_attn_tileILi64ELi64ELi4ELi1ELb1EEvPKcS1_S1_S1_S1_PKiPfP15HIP_vector_typeIfLj2EEffffjfiS5_IjLj3EEiiiiiiiiiiiliiliiiiil.private_seg_size, 0+max(.L_ZL14no_device_codePKciS0_iS0_.private_seg_size)
	.set _ZL15flash_attn_tileILi64ELi64ELi4ELi1ELb1EEvPKcS1_S1_S1_S1_PKiPfP15HIP_vector_typeIfLj2EEffffjfiS5_IjLj3EEiiiiiiiiiiiliiliiiiil.uses_vcc, or(1, .L_ZL14no_device_codePKciS0_iS0_.uses_vcc)
	.set _ZL15flash_attn_tileILi64ELi64ELi4ELi1ELb1EEvPKcS1_S1_S1_S1_PKiPfP15HIP_vector_typeIfLj2EEffffjfiS5_IjLj3EEiiiiiiiiiiiliiliiiiil.uses_flat_scratch, or(0, .L_ZL14no_device_codePKciS0_iS0_.uses_flat_scratch)
	.set _ZL15flash_attn_tileILi64ELi64ELi4ELi1ELb1EEvPKcS1_S1_S1_S1_PKiPfP15HIP_vector_typeIfLj2EEffffjfiS5_IjLj3EEiiiiiiiiiiiliiliiiiil.has_dyn_sized_stack, or(0, .L_ZL14no_device_codePKciS0_iS0_.has_dyn_sized_stack)
	.set _ZL15flash_attn_tileILi64ELi64ELi4ELi1ELb1EEvPKcS1_S1_S1_S1_PKiPfP15HIP_vector_typeIfLj2EEffffjfiS5_IjLj3EEiiiiiiiiiiiliiliiiiil.has_recursion, or(0, .L_ZL14no_device_codePKciS0_iS0_.has_recursion)
	.set _ZL15flash_attn_tileILi64ELi64ELi4ELi1ELb1EEvPKcS1_S1_S1_S1_PKiPfP15HIP_vector_typeIfLj2EEffffjfiS5_IjLj3EEiiiiiiiiiiiliiliiiiil.has_indirect_call, or(0, .L_ZL14no_device_codePKciS0_iS0_.has_indirect_call)
	.section	.AMDGPU.csdata,"",@progbits
; Kernel info:
; codeLenInByte = 40
; TotalNumSgprs: 40
; NumVgprs: 50
; NumAgprs: 0
; TotalNumVgprs: 50
; ScratchSize: 16
; MemoryBound: 0
; FloatMode: 240
; IeeeMode: 1
; LDSByteSize: 0 bytes/workgroup (compile time only)
; SGPRBlocks: 4
; VGPRBlocks: 6
; NumSGPRsForWavesPerEU: 40
; NumVGPRsForWavesPerEU: 50
; AccumOffset: 52
; Occupancy: 8
; WaveLimiterHint : 1
; COMPUTE_PGM_RSRC2:SCRATCH_EN: 1
; COMPUTE_PGM_RSRC2:USER_SGPR: 2
; COMPUTE_PGM_RSRC2:TRAP_HANDLER: 0
; COMPUTE_PGM_RSRC2:TGID_X_EN: 1
; COMPUTE_PGM_RSRC2:TGID_Y_EN: 0
; COMPUTE_PGM_RSRC2:TGID_Z_EN: 0
; COMPUTE_PGM_RSRC2:TIDIG_COMP_CNT: 0
; COMPUTE_PGM_RSRC3_GFX90A:ACCUM_OFFSET: 12
; COMPUTE_PGM_RSRC3_GFX90A:TG_SPLIT: 0
	.section	.text._ZL15flash_attn_tileILi64ELi64ELi2ELi1ELb1EEvPKcS1_S1_S1_S1_PKiPfP15HIP_vector_typeIfLj2EEffffjfiS5_IjLj3EEiiiiiiiiiiiliiliiiiil,"axG",@progbits,_ZL15flash_attn_tileILi64ELi64ELi2ELi1ELb1EEvPKcS1_S1_S1_S1_PKiPfP15HIP_vector_typeIfLj2EEffffjfiS5_IjLj3EEiiiiiiiiiiiliiliiiiil,comdat
	.globl	_ZL15flash_attn_tileILi64ELi64ELi2ELi1ELb1EEvPKcS1_S1_S1_S1_PKiPfP15HIP_vector_typeIfLj2EEffffjfiS5_IjLj3EEiiiiiiiiiiiliiliiiiil ; -- Begin function _ZL15flash_attn_tileILi64ELi64ELi2ELi1ELb1EEvPKcS1_S1_S1_S1_PKiPfP15HIP_vector_typeIfLj2EEffffjfiS5_IjLj3EEiiiiiiiiiiiliiliiiiil
	.p2align	8
	.type	_ZL15flash_attn_tileILi64ELi64ELi2ELi1ELb1EEvPKcS1_S1_S1_S1_PKiPfP15HIP_vector_typeIfLj2EEffffjfiS5_IjLj3EEiiiiiiiiiiiliiliiiiil,@function
_ZL15flash_attn_tileILi64ELi64ELi2ELi1ELb1EEvPKcS1_S1_S1_S1_PKiPfP15HIP_vector_typeIfLj2EEffffjfiS5_IjLj3EEiiiiiiiiiiiliiliiiiil: ; @_ZL15flash_attn_tileILi64ELi64ELi2ELi1ELb1EEvPKcS1_S1_S1_S1_PKiPfP15HIP_vector_typeIfLj2EEffffjfiS5_IjLj3EEiiiiiiiiiiiliiliiiiil
; %bb.0:
	s_add_u32 s8, s0, 0xd0
	s_addc_u32 s9, s1, 0
	s_getpc_b64 s[0:1]
	s_add_u32 s0, s0, _ZL14no_device_codePKciS0_iS0_@rel32@lo+4
	s_addc_u32 s1, s1, _ZL14no_device_codePKciS0_iS0_@rel32@hi+12
	s_mov_b32 s32, 0
	s_swappc_b64 s[30:31], s[0:1]
	.section	.rodata,"a",@progbits
	.p2align	6, 0x0
	.amdhsa_kernel _ZL15flash_attn_tileILi64ELi64ELi2ELi1ELb1EEvPKcS1_S1_S1_S1_PKiPfP15HIP_vector_typeIfLj2EEffffjfiS5_IjLj3EEiiiiiiiiiiiliiliiiiil
		.amdhsa_group_segment_fixed_size 0
		.amdhsa_private_segment_fixed_size 16
		.amdhsa_kernarg_size 464
		.amdhsa_user_sgpr_count 2
		.amdhsa_user_sgpr_dispatch_ptr 0
		.amdhsa_user_sgpr_queue_ptr 0
		.amdhsa_user_sgpr_kernarg_segment_ptr 1
		.amdhsa_user_sgpr_dispatch_id 0
		.amdhsa_user_sgpr_kernarg_preload_length 0
		.amdhsa_user_sgpr_kernarg_preload_offset 0
		.amdhsa_user_sgpr_private_segment_size 0
		.amdhsa_uses_dynamic_stack 0
		.amdhsa_enable_private_segment 1
		.amdhsa_system_sgpr_workgroup_id_x 1
		.amdhsa_system_sgpr_workgroup_id_y 0
		.amdhsa_system_sgpr_workgroup_id_z 0
		.amdhsa_system_sgpr_workgroup_info 0
		.amdhsa_system_vgpr_workitem_id 0
		.amdhsa_next_free_vgpr 50
		.amdhsa_next_free_sgpr 34
		.amdhsa_accum_offset 52
		.amdhsa_reserve_vcc 1
		.amdhsa_float_round_mode_32 0
		.amdhsa_float_round_mode_16_64 0
		.amdhsa_float_denorm_mode_32 3
		.amdhsa_float_denorm_mode_16_64 3
		.amdhsa_dx10_clamp 1
		.amdhsa_ieee_mode 1
		.amdhsa_fp16_overflow 0
		.amdhsa_tg_split 0
		.amdhsa_exception_fp_ieee_invalid_op 0
		.amdhsa_exception_fp_denorm_src 0
		.amdhsa_exception_fp_ieee_div_zero 0
		.amdhsa_exception_fp_ieee_overflow 0
		.amdhsa_exception_fp_ieee_underflow 0
		.amdhsa_exception_fp_ieee_inexact 0
		.amdhsa_exception_int_div_zero 0
	.end_amdhsa_kernel
	.section	.text._ZL15flash_attn_tileILi64ELi64ELi2ELi1ELb1EEvPKcS1_S1_S1_S1_PKiPfP15HIP_vector_typeIfLj2EEffffjfiS5_IjLj3EEiiiiiiiiiiiliiliiiiil,"axG",@progbits,_ZL15flash_attn_tileILi64ELi64ELi2ELi1ELb1EEvPKcS1_S1_S1_S1_PKiPfP15HIP_vector_typeIfLj2EEffffjfiS5_IjLj3EEiiiiiiiiiiiliiliiiiil,comdat
.Lfunc_end94:
	.size	_ZL15flash_attn_tileILi64ELi64ELi2ELi1ELb1EEvPKcS1_S1_S1_S1_PKiPfP15HIP_vector_typeIfLj2EEffffjfiS5_IjLj3EEiiiiiiiiiiiliiliiiiil, .Lfunc_end94-_ZL15flash_attn_tileILi64ELi64ELi2ELi1ELb1EEvPKcS1_S1_S1_S1_PKiPfP15HIP_vector_typeIfLj2EEffffjfiS5_IjLj3EEiiiiiiiiiiiliiliiiiil
                                        ; -- End function
	.set _ZL15flash_attn_tileILi64ELi64ELi2ELi1ELb1EEvPKcS1_S1_S1_S1_PKiPfP15HIP_vector_typeIfLj2EEffffjfiS5_IjLj3EEiiiiiiiiiiiliiliiiiil.num_vgpr, max(0, .L_ZL14no_device_codePKciS0_iS0_.num_vgpr)
	.set _ZL15flash_attn_tileILi64ELi64ELi2ELi1ELb1EEvPKcS1_S1_S1_S1_PKiPfP15HIP_vector_typeIfLj2EEffffjfiS5_IjLj3EEiiiiiiiiiiiliiliiiiil.num_agpr, max(0, .L_ZL14no_device_codePKciS0_iS0_.num_agpr)
	.set _ZL15flash_attn_tileILi64ELi64ELi2ELi1ELb1EEvPKcS1_S1_S1_S1_PKiPfP15HIP_vector_typeIfLj2EEffffjfiS5_IjLj3EEiiiiiiiiiiiliiliiiiil.numbered_sgpr, max(33, .L_ZL14no_device_codePKciS0_iS0_.numbered_sgpr)
	.set _ZL15flash_attn_tileILi64ELi64ELi2ELi1ELb1EEvPKcS1_S1_S1_S1_PKiPfP15HIP_vector_typeIfLj2EEffffjfiS5_IjLj3EEiiiiiiiiiiiliiliiiiil.num_named_barrier, max(0, .L_ZL14no_device_codePKciS0_iS0_.num_named_barrier)
	.set _ZL15flash_attn_tileILi64ELi64ELi2ELi1ELb1EEvPKcS1_S1_S1_S1_PKiPfP15HIP_vector_typeIfLj2EEffffjfiS5_IjLj3EEiiiiiiiiiiiliiliiiiil.private_seg_size, 0+max(.L_ZL14no_device_codePKciS0_iS0_.private_seg_size)
	.set _ZL15flash_attn_tileILi64ELi64ELi2ELi1ELb1EEvPKcS1_S1_S1_S1_PKiPfP15HIP_vector_typeIfLj2EEffffjfiS5_IjLj3EEiiiiiiiiiiiliiliiiiil.uses_vcc, or(1, .L_ZL14no_device_codePKciS0_iS0_.uses_vcc)
	.set _ZL15flash_attn_tileILi64ELi64ELi2ELi1ELb1EEvPKcS1_S1_S1_S1_PKiPfP15HIP_vector_typeIfLj2EEffffjfiS5_IjLj3EEiiiiiiiiiiiliiliiiiil.uses_flat_scratch, or(0, .L_ZL14no_device_codePKciS0_iS0_.uses_flat_scratch)
	.set _ZL15flash_attn_tileILi64ELi64ELi2ELi1ELb1EEvPKcS1_S1_S1_S1_PKiPfP15HIP_vector_typeIfLj2EEffffjfiS5_IjLj3EEiiiiiiiiiiiliiliiiiil.has_dyn_sized_stack, or(0, .L_ZL14no_device_codePKciS0_iS0_.has_dyn_sized_stack)
	.set _ZL15flash_attn_tileILi64ELi64ELi2ELi1ELb1EEvPKcS1_S1_S1_S1_PKiPfP15HIP_vector_typeIfLj2EEffffjfiS5_IjLj3EEiiiiiiiiiiiliiliiiiil.has_recursion, or(0, .L_ZL14no_device_codePKciS0_iS0_.has_recursion)
	.set _ZL15flash_attn_tileILi64ELi64ELi2ELi1ELb1EEvPKcS1_S1_S1_S1_PKiPfP15HIP_vector_typeIfLj2EEffffjfiS5_IjLj3EEiiiiiiiiiiiliiliiiiil.has_indirect_call, or(0, .L_ZL14no_device_codePKciS0_iS0_.has_indirect_call)
	.section	.AMDGPU.csdata,"",@progbits
; Kernel info:
; codeLenInByte = 40
; TotalNumSgprs: 40
; NumVgprs: 50
; NumAgprs: 0
; TotalNumVgprs: 50
; ScratchSize: 16
; MemoryBound: 0
; FloatMode: 240
; IeeeMode: 1
; LDSByteSize: 0 bytes/workgroup (compile time only)
; SGPRBlocks: 4
; VGPRBlocks: 6
; NumSGPRsForWavesPerEU: 40
; NumVGPRsForWavesPerEU: 50
; AccumOffset: 52
; Occupancy: 8
; WaveLimiterHint : 1
; COMPUTE_PGM_RSRC2:SCRATCH_EN: 1
; COMPUTE_PGM_RSRC2:USER_SGPR: 2
; COMPUTE_PGM_RSRC2:TRAP_HANDLER: 0
; COMPUTE_PGM_RSRC2:TGID_X_EN: 1
; COMPUTE_PGM_RSRC2:TGID_Y_EN: 0
; COMPUTE_PGM_RSRC2:TGID_Z_EN: 0
; COMPUTE_PGM_RSRC2:TIDIG_COMP_CNT: 0
; COMPUTE_PGM_RSRC3_GFX90A:ACCUM_OFFSET: 12
; COMPUTE_PGM_RSRC3_GFX90A:TG_SPLIT: 0
	.text
	.p2alignl 6, 3212836864
	.fill 256, 4, 3212836864
	.section	.AMDGPU.gpr_maximums,"",@progbits
	.set amdgpu.max_num_vgpr, 50
	.set amdgpu.max_num_agpr, 0
	.set amdgpu.max_num_sgpr, 34
	.text
	.type	.str.3,@object                  ; @.str.3
	.section	.rodata.str1.1,"aMS",@progbits,1
.str.3:
	.asciz	"/root/src/amdgpu-assembly/repos/ggml-org__llama.cpp/ggml/src/ggml-cuda/template-instances/../fattn-tile.cuh"
	.size	.str.3, 108

	.type	__FUNCTION__._ZL15flash_attn_tileILi64ELi64ELi8ELi8ELb1EEvPKcS1_S1_S1_S1_PKiPfP15HIP_vector_typeIfLj2EEffffjfiS5_IjLj3EEiiiiiiiiiiiliiliiiiil,@object ; @__FUNCTION__._ZL15flash_attn_tileILi64ELi64ELi8ELi8ELb1EEvPKcS1_S1_S1_S1_PKiPfP15HIP_vector_typeIfLj2EEffffjfiS5_IjLj3EEiiiiiiiiiiiliiliiiiil
__FUNCTION__._ZL15flash_attn_tileILi64ELi64ELi8ELi8ELb1EEvPKcS1_S1_S1_S1_PKiPfP15HIP_vector_typeIfLj2EEffffjfiS5_IjLj3EEiiiiiiiiiiiliiliiiiil:
	.asciz	"flash_attn_tile"
	.size	__FUNCTION__._ZL15flash_attn_tileILi64ELi64ELi8ELi8ELb1EEvPKcS1_S1_S1_S1_PKiPfP15HIP_vector_typeIfLj2EEffffjfiS5_IjLj3EEiiiiiiiiiiiliiliiiiil, 16

	.type	.str.5,@object                  ; @.str.5
.str.5:
	.asciz	"%s:%d: ERROR: HIP kernel %s has no device code compatible with HIP arch %d.\n"
	.size	.str.5, 77

	.type	__hip_cuid_4f8c3dff361f0716,@object ; @__hip_cuid_4f8c3dff361f0716
	.section	.bss,"aw",@nobits
	.globl	__hip_cuid_4f8c3dff361f0716
__hip_cuid_4f8c3dff361f0716:
	.byte	0                               ; 0x0
	.size	__hip_cuid_4f8c3dff361f0716, 1

	.ident	"AMD clang version 22.0.0git (https://github.com/RadeonOpenCompute/llvm-project roc-7.2.4 26084 f58b06dce1f9c15707c5f808fd002e18c2accf7e)"
	.section	".note.GNU-stack","",@progbits
	.addrsig
	.addrsig_sym __hip_cuid_4f8c3dff361f0716
	.amdgpu_metadata
---
amdhsa.kernels:
  - .agpr_count:     0
    .args:
      - .address_space:  global
        .offset:         0
        .size:           8
        .value_kind:     global_buffer
      - .address_space:  global
        .offset:         8
        .size:           8
        .value_kind:     global_buffer
      - .address_space:  global
        .offset:         16
        .size:           8
        .value_kind:     global_buffer
      - .address_space:  global
        .offset:         24
        .size:           8
        .value_kind:     global_buffer
      - .address_space:  global
        .offset:         32
        .size:           8
        .value_kind:     global_buffer
      - .address_space:  global
        .offset:         40
        .size:           8
        .value_kind:     global_buffer
      - .address_space:  global
        .offset:         48
        .size:           8
        .value_kind:     global_buffer
      - .address_space:  global
        .offset:         56
        .size:           8
        .value_kind:     global_buffer
      - .offset:         64
        .size:           4
        .value_kind:     by_value
      - .offset:         68
        .size:           4
        .value_kind:     by_value
      - .offset:         72
        .size:           4
        .value_kind:     by_value
      - .offset:         76
        .size:           4
        .value_kind:     by_value
      - .offset:         80
        .size:           4
        .value_kind:     by_value
      - .offset:         84
        .size:           4
        .value_kind:     by_value
      - .offset:         88
        .size:           4
        .value_kind:     by_value
      - .offset:         92
        .size:           12
        .value_kind:     by_value
      - .offset:         104
        .size:           4
        .value_kind:     by_value
      - .offset:         108
        .size:           4
        .value_kind:     by_value
      - .offset:         112
        .size:           4
        .value_kind:     by_value
      - .offset:         116
        .size:           4
        .value_kind:     by_value
      - .offset:         120
        .size:           4
        .value_kind:     by_value
      - .offset:         124
        .size:           4
        .value_kind:     by_value
      - .offset:         128
        .size:           4
        .value_kind:     by_value
      - .offset:         132
        .size:           4
        .value_kind:     by_value
      - .offset:         136
        .size:           4
        .value_kind:     by_value
      - .offset:         140
        .size:           4
        .value_kind:     by_value
      - .offset:         144
        .size:           4
        .value_kind:     by_value
      - .offset:         152
        .size:           8
        .value_kind:     by_value
      - .offset:         160
        .size:           4
        .value_kind:     by_value
      - .offset:         164
        .size:           4
        .value_kind:     by_value
      - .offset:         168
        .size:           8
        .value_kind:     by_value
      - .offset:         176
        .size:           4
        .value_kind:     by_value
      - .offset:         180
        .size:           4
        .value_kind:     by_value
      - .offset:         184
        .size:           4
        .value_kind:     by_value
      - .offset:         188
        .size:           4
        .value_kind:     by_value
      - .offset:         192
        .size:           4
        .value_kind:     by_value
      - .offset:         200
        .size:           8
        .value_kind:     by_value
      - .offset:         208
        .size:           4
        .value_kind:     hidden_block_count_x
      - .offset:         212
        .size:           4
        .value_kind:     hidden_block_count_y
      - .offset:         216
        .size:           4
        .value_kind:     hidden_block_count_z
      - .offset:         220
        .size:           2
        .value_kind:     hidden_group_size_x
      - .offset:         222
        .size:           2
        .value_kind:     hidden_group_size_y
      - .offset:         224
        .size:           2
        .value_kind:     hidden_group_size_z
      - .offset:         226
        .size:           2
        .value_kind:     hidden_remainder_x
      - .offset:         228
        .size:           2
        .value_kind:     hidden_remainder_y
      - .offset:         230
        .size:           2
        .value_kind:     hidden_remainder_z
      - .offset:         248
        .size:           8
        .value_kind:     hidden_global_offset_x
      - .offset:         256
        .size:           8
        .value_kind:     hidden_global_offset_y
      - .offset:         264
        .size:           8
        .value_kind:     hidden_global_offset_z
      - .offset:         272
        .size:           2
        .value_kind:     hidden_grid_dims
    .group_segment_fixed_size: 25600
    .kernarg_segment_align: 8
    .kernarg_segment_size: 464
    .language:       OpenCL C
    .language_version:
      - 2
      - 0
    .max_flat_workgroup_size: 256
    .name:           _ZL15flash_attn_tileILi64ELi64ELi8ELi8ELb0EEvPKcS1_S1_S1_S1_PKiPfP15HIP_vector_typeIfLj2EEffffjfiS5_IjLj3EEiiiiiiiiiiiliiliiiiil
    .private_segment_fixed_size: 0
    .sgpr_count:     48
    .sgpr_spill_count: 0
    .symbol:         _ZL15flash_attn_tileILi64ELi64ELi8ELi8ELb0EEvPKcS1_S1_S1_S1_PKiPfP15HIP_vector_typeIfLj2EEffffjfiS5_IjLj3EEiiiiiiiiiiiliiliiiiil.kd
    .uniform_work_group_size: 1
    .uses_dynamic_stack: false
    .vgpr_count:     142
    .vgpr_spill_count: 0
    .wavefront_size: 64
  - .agpr_count:     0
    .args:
      - .actual_access:  read_only
        .address_space:  global
        .offset:         0
        .size:           8
        .value_kind:     global_buffer
      - .actual_access:  write_only
        .address_space:  global
        .offset:         8
        .size:           8
        .value_kind:     global_buffer
      - .offset:         16
        .size:           4
        .value_kind:     by_value
      - .offset:         20
        .size:           4
        .value_kind:     by_value
      - .offset:         24
        .size:           4
        .value_kind:     by_value
      - .offset:         32
        .size:           4
        .value_kind:     hidden_block_count_x
      - .offset:         36
        .size:           4
        .value_kind:     hidden_block_count_y
      - .offset:         40
        .size:           4
        .value_kind:     hidden_block_count_z
      - .offset:         44
        .size:           2
        .value_kind:     hidden_group_size_x
      - .offset:         46
        .size:           2
        .value_kind:     hidden_group_size_y
      - .offset:         48
        .size:           2
        .value_kind:     hidden_group_size_z
      - .offset:         50
        .size:           2
        .value_kind:     hidden_remainder_x
      - .offset:         52
        .size:           2
        .value_kind:     hidden_remainder_y
      - .offset:         54
        .size:           2
        .value_kind:     hidden_remainder_z
      - .offset:         72
        .size:           8
        .value_kind:     hidden_global_offset_x
      - .offset:         80
        .size:           8
        .value_kind:     hidden_global_offset_y
      - .offset:         88
        .size:           8
        .value_kind:     hidden_global_offset_z
      - .offset:         96
        .size:           2
        .value_kind:     hidden_grid_dims
    .group_segment_fixed_size: 128
    .kernarg_segment_align: 8
    .kernarg_segment_size: 288
    .language:       OpenCL C
    .language_version:
      - 2
      - 0
    .max_flat_workgroup_size: 128
    .name:           _ZL25flash_attn_mask_to_KV_maxILi8EEvPK7__half2Piiii
    .private_segment_fixed_size: 0
    .sgpr_count:     52
    .sgpr_spill_count: 0
    .symbol:         _ZL25flash_attn_mask_to_KV_maxILi8EEvPK7__half2Piiii.kd
    .uniform_work_group_size: 1
    .uses_dynamic_stack: false
    .vgpr_count:     12
    .vgpr_spill_count: 0
    .wavefront_size: 64
  - .agpr_count:     0
    .args:
      - .address_space:  global
        .offset:         0
        .size:           8
        .value_kind:     global_buffer
      - .address_space:  global
        .offset:         8
        .size:           8
        .value_kind:     global_buffer
      - .offset:         16
        .size:           4
        .value_kind:     by_value
      - .offset:         20
        .size:           4
        .value_kind:     by_value
      - .offset:         24
        .size:           4
        .value_kind:     by_value
      - .offset:         28
        .size:           4
        .value_kind:     by_value
      - .offset:         32
        .size:           4
        .value_kind:     by_value
      - .offset:         36
        .size:           4
        .value_kind:     by_value
      - .offset:         40
        .size:           12
        .value_kind:     by_value
      - .offset:         52
        .size:           12
        .value_kind:     by_value
      - .offset:         64
        .size:           12
        .value_kind:     by_value
    .group_segment_fixed_size: 0
    .kernarg_segment_align: 8
    .kernarg_segment_size: 76
    .language:       OpenCL C
    .language_version:
      - 2
      - 0
    .max_flat_workgroup_size: 64
    .name:           _ZL33flash_attn_stream_k_fixup_uniformILi64ELi8ELi8EEvPfPK15HIP_vector_typeIfLj2EEiiiiiiS1_IjLj3EES5_S5_
    .private_segment_fixed_size: 0
    .sgpr_count:     30
    .sgpr_spill_count: 0
    .symbol:         _ZL33flash_attn_stream_k_fixup_uniformILi64ELi8ELi8EEvPfPK15HIP_vector_typeIfLj2EEiiiiiiS1_IjLj3EES5_S5_.kd
    .uniform_work_group_size: 1
    .uses_dynamic_stack: false
    .vgpr_count:     17
    .vgpr_spill_count: 0
    .wavefront_size: 64
  - .agpr_count:     0
    .args:
      - .address_space:  global
        .offset:         0
        .size:           8
        .value_kind:     global_buffer
      - .address_space:  global
        .offset:         8
        .size:           8
        .value_kind:     global_buffer
      - .offset:         16
        .size:           4
        .value_kind:     by_value
      - .offset:         20
        .size:           4
        .value_kind:     by_value
      - .offset:         24
        .size:           4
        .value_kind:     by_value
      - .offset:         28
        .size:           4
        .value_kind:     by_value
      - .offset:         32
        .size:           12
        .value_kind:     by_value
      - .offset:         44
        .size:           12
        .value_kind:     by_value
      - .offset:         56
        .size:           12
        .value_kind:     by_value
      - .offset:         68
        .size:           12
        .value_kind:     by_value
      - .offset:         80
        .size:           4
        .value_kind:     hidden_block_count_x
      - .offset:         84
        .size:           4
        .value_kind:     hidden_block_count_y
      - .offset:         88
        .size:           4
        .value_kind:     hidden_block_count_z
      - .offset:         92
        .size:           2
        .value_kind:     hidden_group_size_x
      - .offset:         94
        .size:           2
        .value_kind:     hidden_group_size_y
      - .offset:         96
        .size:           2
        .value_kind:     hidden_group_size_z
      - .offset:         98
        .size:           2
        .value_kind:     hidden_remainder_x
      - .offset:         100
        .size:           2
        .value_kind:     hidden_remainder_y
      - .offset:         102
        .size:           2
        .value_kind:     hidden_remainder_z
      - .offset:         120
        .size:           8
        .value_kind:     hidden_global_offset_x
      - .offset:         128
        .size:           8
        .value_kind:     hidden_global_offset_y
      - .offset:         136
        .size:           8
        .value_kind:     hidden_global_offset_z
      - .offset:         144
        .size:           2
        .value_kind:     hidden_grid_dims
    .group_segment_fixed_size: 0
    .kernarg_segment_align: 8
    .kernarg_segment_size: 336
    .language:       OpenCL C
    .language_version:
      - 2
      - 0
    .max_flat_workgroup_size: 64
    .name:           _ZL33flash_attn_stream_k_fixup_generalILi64ELi8ELi8EEvPfPK15HIP_vector_typeIfLj2EEiiiiS1_IjLj3EES5_S5_S5_
    .private_segment_fixed_size: 0
    .sgpr_count:     42
    .sgpr_spill_count: 0
    .symbol:         _ZL33flash_attn_stream_k_fixup_generalILi64ELi8ELi8EEvPfPK15HIP_vector_typeIfLj2EEiiiiS1_IjLj3EES5_S5_S5_.kd
    .uniform_work_group_size: 1
    .uses_dynamic_stack: false
    .vgpr_count:     18
    .vgpr_spill_count: 0
    .wavefront_size: 64
  - .agpr_count:     0
    .args:
      - .address_space:  global
        .offset:         0
        .size:           8
        .value_kind:     global_buffer
      - .address_space:  global
        .offset:         8
        .size:           8
        .value_kind:     global_buffer
      - .address_space:  global
        .offset:         16
        .size:           8
        .value_kind:     global_buffer
      - .offset:         24
        .size:           4
        .value_kind:     by_value
      - .offset:         32
        .size:           4
        .value_kind:     hidden_block_count_x
      - .offset:         36
        .size:           4
        .value_kind:     hidden_block_count_y
      - .offset:         40
        .size:           4
        .value_kind:     hidden_block_count_z
      - .offset:         44
        .size:           2
        .value_kind:     hidden_group_size_x
      - .offset:         46
        .size:           2
        .value_kind:     hidden_group_size_y
      - .offset:         48
        .size:           2
        .value_kind:     hidden_group_size_z
      - .offset:         50
        .size:           2
        .value_kind:     hidden_remainder_x
      - .offset:         52
        .size:           2
        .value_kind:     hidden_remainder_y
      - .offset:         54
        .size:           2
        .value_kind:     hidden_remainder_z
      - .offset:         72
        .size:           8
        .value_kind:     hidden_global_offset_x
      - .offset:         80
        .size:           8
        .value_kind:     hidden_global_offset_y
      - .offset:         88
        .size:           8
        .value_kind:     hidden_global_offset_z
      - .offset:         96
        .size:           2
        .value_kind:     hidden_grid_dims
      - .offset:         152
        .size:           4
        .value_kind:     hidden_dynamic_lds_size
    .group_segment_fixed_size: 0
    .kernarg_segment_align: 8
    .kernarg_segment_size: 288
    .language:       OpenCL C
    .language_version:
      - 2
      - 0
    .max_flat_workgroup_size: 64
    .name:           _ZL26flash_attn_combine_resultsILi64EEvPKfPK15HIP_vector_typeIfLj2EEPfi
    .private_segment_fixed_size: 0
    .sgpr_count:     32
    .sgpr_spill_count: 0
    .symbol:         _ZL26flash_attn_combine_resultsILi64EEvPKfPK15HIP_vector_typeIfLj2EEPfi.kd
    .uniform_work_group_size: 1
    .uses_dynamic_stack: false
    .vgpr_count:     59
    .vgpr_spill_count: 0
    .wavefront_size: 64
  - .agpr_count:     0
    .args:
      - .address_space:  global
        .offset:         0
        .size:           8
        .value_kind:     global_buffer
      - .address_space:  global
        .offset:         8
        .size:           8
        .value_kind:     global_buffer
      - .address_space:  global
        .offset:         16
        .size:           8
        .value_kind:     global_buffer
      - .address_space:  global
        .offset:         24
        .size:           8
        .value_kind:     global_buffer
      - .address_space:  global
        .offset:         32
        .size:           8
        .value_kind:     global_buffer
      - .address_space:  global
        .offset:         40
        .size:           8
        .value_kind:     global_buffer
      - .address_space:  global
        .offset:         48
        .size:           8
        .value_kind:     global_buffer
      - .address_space:  global
        .offset:         56
        .size:           8
        .value_kind:     global_buffer
      - .offset:         64
        .size:           4
        .value_kind:     by_value
      - .offset:         68
        .size:           4
        .value_kind:     by_value
      - .offset:         72
        .size:           4
        .value_kind:     by_value
      - .offset:         76
        .size:           4
        .value_kind:     by_value
      - .offset:         80
        .size:           4
        .value_kind:     by_value
      - .offset:         84
        .size:           4
        .value_kind:     by_value
      - .offset:         88
        .size:           4
        .value_kind:     by_value
      - .offset:         92
        .size:           12
        .value_kind:     by_value
      - .offset:         104
        .size:           4
        .value_kind:     by_value
      - .offset:         108
        .size:           4
        .value_kind:     by_value
      - .offset:         112
        .size:           4
        .value_kind:     by_value
      - .offset:         116
        .size:           4
        .value_kind:     by_value
      - .offset:         120
        .size:           4
        .value_kind:     by_value
      - .offset:         124
        .size:           4
        .value_kind:     by_value
      - .offset:         128
        .size:           4
        .value_kind:     by_value
      - .offset:         132
        .size:           4
        .value_kind:     by_value
      - .offset:         136
        .size:           4
        .value_kind:     by_value
      - .offset:         140
        .size:           4
        .value_kind:     by_value
      - .offset:         144
        .size:           4
        .value_kind:     by_value
      - .offset:         152
        .size:           8
        .value_kind:     by_value
      - .offset:         160
        .size:           4
        .value_kind:     by_value
      - .offset:         164
        .size:           4
        .value_kind:     by_value
      - .offset:         168
        .size:           8
        .value_kind:     by_value
      - .offset:         176
        .size:           4
        .value_kind:     by_value
      - .offset:         180
        .size:           4
        .value_kind:     by_value
      - .offset:         184
        .size:           4
        .value_kind:     by_value
      - .offset:         188
        .size:           4
        .value_kind:     by_value
      - .offset:         192
        .size:           4
        .value_kind:     by_value
      - .offset:         200
        .size:           8
        .value_kind:     by_value
      - .offset:         208
        .size:           4
        .value_kind:     hidden_block_count_x
      - .offset:         212
        .size:           4
        .value_kind:     hidden_block_count_y
      - .offset:         216
        .size:           4
        .value_kind:     hidden_block_count_z
      - .offset:         220
        .size:           2
        .value_kind:     hidden_group_size_x
      - .offset:         222
        .size:           2
        .value_kind:     hidden_group_size_y
      - .offset:         224
        .size:           2
        .value_kind:     hidden_group_size_z
      - .offset:         226
        .size:           2
        .value_kind:     hidden_remainder_x
      - .offset:         228
        .size:           2
        .value_kind:     hidden_remainder_y
      - .offset:         230
        .size:           2
        .value_kind:     hidden_remainder_z
      - .offset:         248
        .size:           8
        .value_kind:     hidden_global_offset_x
      - .offset:         256
        .size:           8
        .value_kind:     hidden_global_offset_y
      - .offset:         264
        .size:           8
        .value_kind:     hidden_global_offset_z
      - .offset:         272
        .size:           2
        .value_kind:     hidden_grid_dims
    .group_segment_fixed_size: 17408
    .kernarg_segment_align: 8
    .kernarg_segment_size: 464
    .language:       OpenCL C
    .language_version:
      - 2
      - 0
    .max_flat_workgroup_size: 256
    .name:           _ZL15flash_attn_tileILi64ELi64ELi4ELi8ELb0EEvPKcS1_S1_S1_S1_PKiPfP15HIP_vector_typeIfLj2EEffffjfiS5_IjLj3EEiiiiiiiiiiiliiliiiiil
    .private_segment_fixed_size: 0
    .sgpr_count:     46
    .sgpr_spill_count: 0
    .symbol:         _ZL15flash_attn_tileILi64ELi64ELi4ELi8ELb0EEvPKcS1_S1_S1_S1_PKiPfP15HIP_vector_typeIfLj2EEffffjfiS5_IjLj3EEiiiiiiiiiiiliiliiiiil.kd
    .uniform_work_group_size: 1
    .uses_dynamic_stack: false
    .vgpr_count:     86
    .vgpr_spill_count: 0
    .wavefront_size: 64
  - .agpr_count:     0
    .args:
      - .actual_access:  read_only
        .address_space:  global
        .offset:         0
        .size:           8
        .value_kind:     global_buffer
      - .actual_access:  write_only
        .address_space:  global
        .offset:         8
        .size:           8
        .value_kind:     global_buffer
      - .offset:         16
        .size:           4
        .value_kind:     by_value
      - .offset:         20
        .size:           4
        .value_kind:     by_value
      - .offset:         24
        .size:           4
        .value_kind:     by_value
      - .offset:         32
        .size:           4
        .value_kind:     hidden_block_count_x
      - .offset:         36
        .size:           4
        .value_kind:     hidden_block_count_y
      - .offset:         40
        .size:           4
        .value_kind:     hidden_block_count_z
      - .offset:         44
        .size:           2
        .value_kind:     hidden_group_size_x
      - .offset:         46
        .size:           2
        .value_kind:     hidden_group_size_y
      - .offset:         48
        .size:           2
        .value_kind:     hidden_group_size_z
      - .offset:         50
        .size:           2
        .value_kind:     hidden_remainder_x
      - .offset:         52
        .size:           2
        .value_kind:     hidden_remainder_y
      - .offset:         54
        .size:           2
        .value_kind:     hidden_remainder_z
      - .offset:         72
        .size:           8
        .value_kind:     hidden_global_offset_x
      - .offset:         80
        .size:           8
        .value_kind:     hidden_global_offset_y
      - .offset:         88
        .size:           8
        .value_kind:     hidden_global_offset_z
      - .offset:         96
        .size:           2
        .value_kind:     hidden_grid_dims
    .group_segment_fixed_size: 128
    .kernarg_segment_align: 8
    .kernarg_segment_size: 288
    .language:       OpenCL C
    .language_version:
      - 2
      - 0
    .max_flat_workgroup_size: 128
    .name:           _ZL25flash_attn_mask_to_KV_maxILi4EEvPK7__half2Piiii
    .private_segment_fixed_size: 0
    .sgpr_count:     36
    .sgpr_spill_count: 0
    .symbol:         _ZL25flash_attn_mask_to_KV_maxILi4EEvPK7__half2Piiii.kd
    .uniform_work_group_size: 1
    .uses_dynamic_stack: false
    .vgpr_count:     17
    .vgpr_spill_count: 0
    .wavefront_size: 64
  - .agpr_count:     0
    .args:
      - .address_space:  global
        .offset:         0
        .size:           8
        .value_kind:     global_buffer
      - .address_space:  global
        .offset:         8
        .size:           8
        .value_kind:     global_buffer
      - .offset:         16
        .size:           4
        .value_kind:     by_value
      - .offset:         20
        .size:           4
        .value_kind:     by_value
      - .offset:         24
        .size:           4
        .value_kind:     by_value
      - .offset:         28
        .size:           4
        .value_kind:     by_value
      - .offset:         32
        .size:           4
        .value_kind:     by_value
      - .offset:         36
        .size:           4
        .value_kind:     by_value
      - .offset:         40
        .size:           12
        .value_kind:     by_value
      - .offset:         52
        .size:           12
        .value_kind:     by_value
      - .offset:         64
        .size:           12
        .value_kind:     by_value
    .group_segment_fixed_size: 0
    .kernarg_segment_align: 8
    .kernarg_segment_size: 76
    .language:       OpenCL C
    .language_version:
      - 2
      - 0
    .max_flat_workgroup_size: 64
    .name:           _ZL33flash_attn_stream_k_fixup_uniformILi64ELi4ELi8EEvPfPK15HIP_vector_typeIfLj2EEiiiiiiS1_IjLj3EES5_S5_
    .private_segment_fixed_size: 0
    .sgpr_count:     30
    .sgpr_spill_count: 0
    .symbol:         _ZL33flash_attn_stream_k_fixup_uniformILi64ELi4ELi8EEvPfPK15HIP_vector_typeIfLj2EEiiiiiiS1_IjLj3EES5_S5_.kd
    .uniform_work_group_size: 1
    .uses_dynamic_stack: false
    .vgpr_count:     17
    .vgpr_spill_count: 0
    .wavefront_size: 64
  - .agpr_count:     0
    .args:
      - .address_space:  global
        .offset:         0
        .size:           8
        .value_kind:     global_buffer
      - .address_space:  global
        .offset:         8
        .size:           8
        .value_kind:     global_buffer
      - .offset:         16
        .size:           4
        .value_kind:     by_value
      - .offset:         20
        .size:           4
        .value_kind:     by_value
      - .offset:         24
        .size:           4
        .value_kind:     by_value
      - .offset:         28
        .size:           4
        .value_kind:     by_value
      - .offset:         32
        .size:           12
        .value_kind:     by_value
      - .offset:         44
        .size:           12
        .value_kind:     by_value
      - .offset:         56
        .size:           12
        .value_kind:     by_value
      - .offset:         68
        .size:           12
        .value_kind:     by_value
      - .offset:         80
        .size:           4
        .value_kind:     hidden_block_count_x
      - .offset:         84
        .size:           4
        .value_kind:     hidden_block_count_y
      - .offset:         88
        .size:           4
        .value_kind:     hidden_block_count_z
      - .offset:         92
        .size:           2
        .value_kind:     hidden_group_size_x
      - .offset:         94
        .size:           2
        .value_kind:     hidden_group_size_y
      - .offset:         96
        .size:           2
        .value_kind:     hidden_group_size_z
      - .offset:         98
        .size:           2
        .value_kind:     hidden_remainder_x
      - .offset:         100
        .size:           2
        .value_kind:     hidden_remainder_y
      - .offset:         102
        .size:           2
        .value_kind:     hidden_remainder_z
      - .offset:         120
        .size:           8
        .value_kind:     hidden_global_offset_x
      - .offset:         128
        .size:           8
        .value_kind:     hidden_global_offset_y
      - .offset:         136
        .size:           8
        .value_kind:     hidden_global_offset_z
      - .offset:         144
        .size:           2
        .value_kind:     hidden_grid_dims
    .group_segment_fixed_size: 0
    .kernarg_segment_align: 8
    .kernarg_segment_size: 336
    .language:       OpenCL C
    .language_version:
      - 2
      - 0
    .max_flat_workgroup_size: 64
    .name:           _ZL33flash_attn_stream_k_fixup_generalILi64ELi4ELi8EEvPfPK15HIP_vector_typeIfLj2EEiiiiS1_IjLj3EES5_S5_S5_
    .private_segment_fixed_size: 0
    .sgpr_count:     42
    .sgpr_spill_count: 0
    .symbol:         _ZL33flash_attn_stream_k_fixup_generalILi64ELi4ELi8EEvPfPK15HIP_vector_typeIfLj2EEiiiiS1_IjLj3EES5_S5_S5_.kd
    .uniform_work_group_size: 1
    .uses_dynamic_stack: false
    .vgpr_count:     18
    .vgpr_spill_count: 0
    .wavefront_size: 64
  - .agpr_count:     0
    .args:
      - .address_space:  global
        .offset:         0
        .size:           8
        .value_kind:     global_buffer
      - .address_space:  global
        .offset:         8
        .size:           8
        .value_kind:     global_buffer
      - .address_space:  global
        .offset:         16
        .size:           8
        .value_kind:     global_buffer
      - .address_space:  global
        .offset:         24
        .size:           8
        .value_kind:     global_buffer
      - .address_space:  global
        .offset:         32
        .size:           8
        .value_kind:     global_buffer
      - .address_space:  global
        .offset:         40
        .size:           8
        .value_kind:     global_buffer
      - .address_space:  global
        .offset:         48
        .size:           8
        .value_kind:     global_buffer
      - .address_space:  global
        .offset:         56
        .size:           8
        .value_kind:     global_buffer
      - .offset:         64
        .size:           4
        .value_kind:     by_value
      - .offset:         68
        .size:           4
        .value_kind:     by_value
      - .offset:         72
        .size:           4
        .value_kind:     by_value
      - .offset:         76
        .size:           4
        .value_kind:     by_value
      - .offset:         80
        .size:           4
        .value_kind:     by_value
      - .offset:         84
        .size:           4
        .value_kind:     by_value
      - .offset:         88
        .size:           4
        .value_kind:     by_value
      - .offset:         92
        .size:           12
        .value_kind:     by_value
      - .offset:         104
        .size:           4
        .value_kind:     by_value
      - .offset:         108
        .size:           4
        .value_kind:     by_value
      - .offset:         112
        .size:           4
        .value_kind:     by_value
      - .offset:         116
        .size:           4
        .value_kind:     by_value
      - .offset:         120
        .size:           4
        .value_kind:     by_value
      - .offset:         124
        .size:           4
        .value_kind:     by_value
      - .offset:         128
        .size:           4
        .value_kind:     by_value
      - .offset:         132
        .size:           4
        .value_kind:     by_value
      - .offset:         136
        .size:           4
        .value_kind:     by_value
      - .offset:         140
        .size:           4
        .value_kind:     by_value
      - .offset:         144
        .size:           4
        .value_kind:     by_value
      - .offset:         152
        .size:           8
        .value_kind:     by_value
      - .offset:         160
        .size:           4
        .value_kind:     by_value
      - .offset:         164
        .size:           4
        .value_kind:     by_value
      - .offset:         168
        .size:           8
        .value_kind:     by_value
      - .offset:         176
        .size:           4
        .value_kind:     by_value
      - .offset:         180
        .size:           4
        .value_kind:     by_value
      - .offset:         184
        .size:           4
        .value_kind:     by_value
      - .offset:         188
        .size:           4
        .value_kind:     by_value
      - .offset:         192
        .size:           4
        .value_kind:     by_value
      - .offset:         200
        .size:           8
        .value_kind:     by_value
      - .offset:         208
        .size:           4
        .value_kind:     hidden_block_count_x
      - .offset:         212
        .size:           4
        .value_kind:     hidden_block_count_y
      - .offset:         216
        .size:           4
        .value_kind:     hidden_block_count_z
      - .offset:         220
        .size:           2
        .value_kind:     hidden_group_size_x
      - .offset:         222
        .size:           2
        .value_kind:     hidden_group_size_y
      - .offset:         224
        .size:           2
        .value_kind:     hidden_group_size_z
      - .offset:         226
        .size:           2
        .value_kind:     hidden_remainder_x
      - .offset:         228
        .size:           2
        .value_kind:     hidden_remainder_y
      - .offset:         230
        .size:           2
        .value_kind:     hidden_remainder_z
      - .offset:         248
        .size:           8
        .value_kind:     hidden_global_offset_x
      - .offset:         256
        .size:           8
        .value_kind:     hidden_global_offset_y
      - .offset:         264
        .size:           8
        .value_kind:     hidden_global_offset_z
      - .offset:         272
        .size:           2
        .value_kind:     hidden_grid_dims
    .group_segment_fixed_size: 24576
    .kernarg_segment_align: 8
    .kernarg_segment_size: 464
    .language:       OpenCL C
    .language_version:
      - 2
      - 0
    .max_flat_workgroup_size: 256
    .name:           _ZL15flash_attn_tileILi64ELi64ELi2ELi8ELb0EEvPKcS1_S1_S1_S1_PKiPfP15HIP_vector_typeIfLj2EEffffjfiS5_IjLj3EEiiiiiiiiiiiliiliiiiil
    .private_segment_fixed_size: 0
    .sgpr_count:     46
    .sgpr_spill_count: 0
    .symbol:         _ZL15flash_attn_tileILi64ELi64ELi2ELi8ELb0EEvPKcS1_S1_S1_S1_PKiPfP15HIP_vector_typeIfLj2EEffffjfiS5_IjLj3EEiiiiiiiiiiiliiliiiiil.kd
    .uniform_work_group_size: 1
    .uses_dynamic_stack: false
    .vgpr_count:     102
    .vgpr_spill_count: 0
    .wavefront_size: 64
  - .agpr_count:     0
    .args:
      - .actual_access:  read_only
        .address_space:  global
        .offset:         0
        .size:           8
        .value_kind:     global_buffer
      - .actual_access:  write_only
        .address_space:  global
        .offset:         8
        .size:           8
        .value_kind:     global_buffer
      - .offset:         16
        .size:           4
        .value_kind:     by_value
      - .offset:         20
        .size:           4
        .value_kind:     by_value
      - .offset:         24
        .size:           4
        .value_kind:     by_value
      - .offset:         32
        .size:           4
        .value_kind:     hidden_block_count_x
      - .offset:         36
        .size:           4
        .value_kind:     hidden_block_count_y
      - .offset:         40
        .size:           4
        .value_kind:     hidden_block_count_z
      - .offset:         44
        .size:           2
        .value_kind:     hidden_group_size_x
      - .offset:         46
        .size:           2
        .value_kind:     hidden_group_size_y
      - .offset:         48
        .size:           2
        .value_kind:     hidden_group_size_z
      - .offset:         50
        .size:           2
        .value_kind:     hidden_remainder_x
      - .offset:         52
        .size:           2
        .value_kind:     hidden_remainder_y
      - .offset:         54
        .size:           2
        .value_kind:     hidden_remainder_z
      - .offset:         72
        .size:           8
        .value_kind:     hidden_global_offset_x
      - .offset:         80
        .size:           8
        .value_kind:     hidden_global_offset_y
      - .offset:         88
        .size:           8
        .value_kind:     hidden_global_offset_z
      - .offset:         96
        .size:           2
        .value_kind:     hidden_grid_dims
    .group_segment_fixed_size: 128
    .kernarg_segment_align: 8
    .kernarg_segment_size: 288
    .language:       OpenCL C
    .language_version:
      - 2
      - 0
    .max_flat_workgroup_size: 128
    .name:           _ZL25flash_attn_mask_to_KV_maxILi2EEvPK7__half2Piiii
    .private_segment_fixed_size: 0
    .sgpr_count:     28
    .sgpr_spill_count: 0
    .symbol:         _ZL25flash_attn_mask_to_KV_maxILi2EEvPK7__half2Piiii.kd
    .uniform_work_group_size: 1
    .uses_dynamic_stack: false
    .vgpr_count:     17
    .vgpr_spill_count: 0
    .wavefront_size: 64
  - .agpr_count:     0
    .args:
      - .address_space:  global
        .offset:         0
        .size:           8
        .value_kind:     global_buffer
      - .address_space:  global
        .offset:         8
        .size:           8
        .value_kind:     global_buffer
      - .offset:         16
        .size:           4
        .value_kind:     by_value
      - .offset:         20
        .size:           4
        .value_kind:     by_value
      - .offset:         24
        .size:           4
        .value_kind:     by_value
      - .offset:         28
        .size:           4
        .value_kind:     by_value
      - .offset:         32
        .size:           4
        .value_kind:     by_value
      - .offset:         36
        .size:           4
        .value_kind:     by_value
      - .offset:         40
        .size:           12
        .value_kind:     by_value
      - .offset:         52
        .size:           12
        .value_kind:     by_value
      - .offset:         64
        .size:           12
        .value_kind:     by_value
    .group_segment_fixed_size: 0
    .kernarg_segment_align: 8
    .kernarg_segment_size: 76
    .language:       OpenCL C
    .language_version:
      - 2
      - 0
    .max_flat_workgroup_size: 64
    .name:           _ZL33flash_attn_stream_k_fixup_uniformILi64ELi2ELi8EEvPfPK15HIP_vector_typeIfLj2EEiiiiiiS1_IjLj3EES5_S5_
    .private_segment_fixed_size: 0
    .sgpr_count:     30
    .sgpr_spill_count: 0
    .symbol:         _ZL33flash_attn_stream_k_fixup_uniformILi64ELi2ELi8EEvPfPK15HIP_vector_typeIfLj2EEiiiiiiS1_IjLj3EES5_S5_.kd
    .uniform_work_group_size: 1
    .uses_dynamic_stack: false
    .vgpr_count:     17
    .vgpr_spill_count: 0
    .wavefront_size: 64
  - .agpr_count:     0
    .args:
      - .address_space:  global
        .offset:         0
        .size:           8
        .value_kind:     global_buffer
      - .address_space:  global
        .offset:         8
        .size:           8
        .value_kind:     global_buffer
      - .offset:         16
        .size:           4
        .value_kind:     by_value
      - .offset:         20
        .size:           4
        .value_kind:     by_value
      - .offset:         24
        .size:           4
        .value_kind:     by_value
      - .offset:         28
        .size:           4
        .value_kind:     by_value
      - .offset:         32
        .size:           12
        .value_kind:     by_value
      - .offset:         44
        .size:           12
        .value_kind:     by_value
      - .offset:         56
        .size:           12
        .value_kind:     by_value
      - .offset:         68
        .size:           12
        .value_kind:     by_value
      - .offset:         80
        .size:           4
        .value_kind:     hidden_block_count_x
      - .offset:         84
        .size:           4
        .value_kind:     hidden_block_count_y
      - .offset:         88
        .size:           4
        .value_kind:     hidden_block_count_z
      - .offset:         92
        .size:           2
        .value_kind:     hidden_group_size_x
      - .offset:         94
        .size:           2
        .value_kind:     hidden_group_size_y
      - .offset:         96
        .size:           2
        .value_kind:     hidden_group_size_z
      - .offset:         98
        .size:           2
        .value_kind:     hidden_remainder_x
      - .offset:         100
        .size:           2
        .value_kind:     hidden_remainder_y
      - .offset:         102
        .size:           2
        .value_kind:     hidden_remainder_z
      - .offset:         120
        .size:           8
        .value_kind:     hidden_global_offset_x
      - .offset:         128
        .size:           8
        .value_kind:     hidden_global_offset_y
      - .offset:         136
        .size:           8
        .value_kind:     hidden_global_offset_z
      - .offset:         144
        .size:           2
        .value_kind:     hidden_grid_dims
    .group_segment_fixed_size: 0
    .kernarg_segment_align: 8
    .kernarg_segment_size: 336
    .language:       OpenCL C
    .language_version:
      - 2
      - 0
    .max_flat_workgroup_size: 64
    .name:           _ZL33flash_attn_stream_k_fixup_generalILi64ELi2ELi8EEvPfPK15HIP_vector_typeIfLj2EEiiiiS1_IjLj3EES5_S5_S5_
    .private_segment_fixed_size: 0
    .sgpr_count:     42
    .sgpr_spill_count: 0
    .symbol:         _ZL33flash_attn_stream_k_fixup_generalILi64ELi2ELi8EEvPfPK15HIP_vector_typeIfLj2EEiiiiS1_IjLj3EES5_S5_S5_.kd
    .uniform_work_group_size: 1
    .uses_dynamic_stack: false
    .vgpr_count:     18
    .vgpr_spill_count: 0
    .wavefront_size: 64
  - .agpr_count:     0
    .args:
      - .address_space:  global
        .offset:         0
        .size:           8
        .value_kind:     global_buffer
      - .address_space:  global
        .offset:         8
        .size:           8
        .value_kind:     global_buffer
      - .address_space:  global
        .offset:         16
        .size:           8
        .value_kind:     global_buffer
      - .address_space:  global
        .offset:         24
        .size:           8
        .value_kind:     global_buffer
      - .address_space:  global
        .offset:         32
        .size:           8
        .value_kind:     global_buffer
      - .address_space:  global
        .offset:         40
        .size:           8
        .value_kind:     global_buffer
      - .address_space:  global
        .offset:         48
        .size:           8
        .value_kind:     global_buffer
      - .address_space:  global
        .offset:         56
        .size:           8
        .value_kind:     global_buffer
      - .offset:         64
        .size:           4
        .value_kind:     by_value
      - .offset:         68
        .size:           4
        .value_kind:     by_value
      - .offset:         72
        .size:           4
        .value_kind:     by_value
      - .offset:         76
        .size:           4
        .value_kind:     by_value
      - .offset:         80
        .size:           4
        .value_kind:     by_value
      - .offset:         84
        .size:           4
        .value_kind:     by_value
      - .offset:         88
        .size:           4
        .value_kind:     by_value
      - .offset:         92
        .size:           12
        .value_kind:     by_value
      - .offset:         104
        .size:           4
        .value_kind:     by_value
      - .offset:         108
        .size:           4
        .value_kind:     by_value
      - .offset:         112
        .size:           4
        .value_kind:     by_value
      - .offset:         116
        .size:           4
        .value_kind:     by_value
      - .offset:         120
        .size:           4
        .value_kind:     by_value
      - .offset:         124
        .size:           4
        .value_kind:     by_value
      - .offset:         128
        .size:           4
        .value_kind:     by_value
      - .offset:         132
        .size:           4
        .value_kind:     by_value
      - .offset:         136
        .size:           4
        .value_kind:     by_value
      - .offset:         140
        .size:           4
        .value_kind:     by_value
      - .offset:         144
        .size:           4
        .value_kind:     by_value
      - .offset:         152
        .size:           8
        .value_kind:     by_value
      - .offset:         160
        .size:           4
        .value_kind:     by_value
      - .offset:         164
        .size:           4
        .value_kind:     by_value
      - .offset:         168
        .size:           8
        .value_kind:     by_value
      - .offset:         176
        .size:           4
        .value_kind:     by_value
      - .offset:         180
        .size:           4
        .value_kind:     by_value
      - .offset:         184
        .size:           4
        .value_kind:     by_value
      - .offset:         188
        .size:           4
        .value_kind:     by_value
      - .offset:         192
        .size:           4
        .value_kind:     by_value
      - .offset:         200
        .size:           8
        .value_kind:     by_value
      - .offset:         208
        .size:           4
        .value_kind:     hidden_block_count_x
      - .offset:         212
        .size:           4
        .value_kind:     hidden_block_count_y
      - .offset:         216
        .size:           4
        .value_kind:     hidden_block_count_z
      - .offset:         220
        .size:           2
        .value_kind:     hidden_group_size_x
      - .offset:         222
        .size:           2
        .value_kind:     hidden_group_size_y
      - .offset:         224
        .size:           2
        .value_kind:     hidden_group_size_z
      - .offset:         226
        .size:           2
        .value_kind:     hidden_remainder_x
      - .offset:         228
        .size:           2
        .value_kind:     hidden_remainder_y
      - .offset:         230
        .size:           2
        .value_kind:     hidden_remainder_z
      - .offset:         248
        .size:           8
        .value_kind:     hidden_global_offset_x
      - .offset:         256
        .size:           8
        .value_kind:     hidden_global_offset_y
      - .offset:         264
        .size:           8
        .value_kind:     hidden_global_offset_z
      - .offset:         272
        .size:           2
        .value_kind:     hidden_grid_dims
    .group_segment_fixed_size: 6144
    .kernarg_segment_align: 8
    .kernarg_segment_size: 464
    .language:       OpenCL C
    .language_version:
      - 2
      - 0
    .max_flat_workgroup_size: 128
    .name:           _ZL15flash_attn_tileILi64ELi64ELi1ELi8ELb0EEvPKcS1_S1_S1_S1_PKiPfP15HIP_vector_typeIfLj2EEffffjfiS5_IjLj3EEiiiiiiiiiiiliiliiiiil
    .private_segment_fixed_size: 0
    .sgpr_count:     46
    .sgpr_spill_count: 0
    .symbol:         _ZL15flash_attn_tileILi64ELi64ELi1ELi8ELb0EEvPKcS1_S1_S1_S1_PKiPfP15HIP_vector_typeIfLj2EEffffjfiS5_IjLj3EEiiiiiiiiiiiliiliiiiil.kd
    .uniform_work_group_size: 1
    .uses_dynamic_stack: false
    .vgpr_count:     138
    .vgpr_spill_count: 0
    .wavefront_size: 64
  - .agpr_count:     0
    .args:
      - .actual_access:  read_only
        .address_space:  global
        .offset:         0
        .size:           8
        .value_kind:     global_buffer
      - .actual_access:  write_only
        .address_space:  global
        .offset:         8
        .size:           8
        .value_kind:     global_buffer
      - .offset:         16
        .size:           4
        .value_kind:     by_value
      - .offset:         20
        .size:           4
        .value_kind:     by_value
      - .offset:         24
        .size:           4
        .value_kind:     by_value
      - .offset:         32
        .size:           4
        .value_kind:     hidden_block_count_x
      - .offset:         36
        .size:           4
        .value_kind:     hidden_block_count_y
      - .offset:         40
        .size:           4
        .value_kind:     hidden_block_count_z
      - .offset:         44
        .size:           2
        .value_kind:     hidden_group_size_x
      - .offset:         46
        .size:           2
        .value_kind:     hidden_group_size_y
      - .offset:         48
        .size:           2
        .value_kind:     hidden_group_size_z
      - .offset:         50
        .size:           2
        .value_kind:     hidden_remainder_x
      - .offset:         52
        .size:           2
        .value_kind:     hidden_remainder_y
      - .offset:         54
        .size:           2
        .value_kind:     hidden_remainder_z
      - .offset:         72
        .size:           8
        .value_kind:     hidden_global_offset_x
      - .offset:         80
        .size:           8
        .value_kind:     hidden_global_offset_y
      - .offset:         88
        .size:           8
        .value_kind:     hidden_global_offset_z
      - .offset:         96
        .size:           2
        .value_kind:     hidden_grid_dims
    .group_segment_fixed_size: 128
    .kernarg_segment_align: 8
    .kernarg_segment_size: 288
    .language:       OpenCL C
    .language_version:
      - 2
      - 0
    .max_flat_workgroup_size: 128
    .name:           _ZL25flash_attn_mask_to_KV_maxILi1EEvPK7__half2Piiii
    .private_segment_fixed_size: 0
    .sgpr_count:     26
    .sgpr_spill_count: 0
    .symbol:         _ZL25flash_attn_mask_to_KV_maxILi1EEvPK7__half2Piiii.kd
    .uniform_work_group_size: 1
    .uses_dynamic_stack: false
    .vgpr_count:     17
    .vgpr_spill_count: 0
    .wavefront_size: 64
  - .agpr_count:     0
    .args:
      - .address_space:  global
        .offset:         0
        .size:           8
        .value_kind:     global_buffer
      - .address_space:  global
        .offset:         8
        .size:           8
        .value_kind:     global_buffer
      - .offset:         16
        .size:           4
        .value_kind:     by_value
      - .offset:         20
        .size:           4
        .value_kind:     by_value
      - .offset:         24
        .size:           4
        .value_kind:     by_value
      - .offset:         28
        .size:           4
        .value_kind:     by_value
      - .offset:         32
        .size:           4
        .value_kind:     by_value
      - .offset:         36
        .size:           4
        .value_kind:     by_value
      - .offset:         40
        .size:           12
        .value_kind:     by_value
      - .offset:         52
        .size:           12
        .value_kind:     by_value
      - .offset:         64
        .size:           12
        .value_kind:     by_value
    .group_segment_fixed_size: 0
    .kernarg_segment_align: 8
    .kernarg_segment_size: 76
    .language:       OpenCL C
    .language_version:
      - 2
      - 0
    .max_flat_workgroup_size: 64
    .name:           _ZL33flash_attn_stream_k_fixup_uniformILi64ELi1ELi8EEvPfPK15HIP_vector_typeIfLj2EEiiiiiiS1_IjLj3EES5_S5_
    .private_segment_fixed_size: 0
    .sgpr_count:     26
    .sgpr_spill_count: 0
    .symbol:         _ZL33flash_attn_stream_k_fixup_uniformILi64ELi1ELi8EEvPfPK15HIP_vector_typeIfLj2EEiiiiiiS1_IjLj3EES5_S5_.kd
    .uniform_work_group_size: 1
    .uses_dynamic_stack: false
    .vgpr_count:     17
    .vgpr_spill_count: 0
    .wavefront_size: 64
  - .agpr_count:     0
    .args:
      - .address_space:  global
        .offset:         0
        .size:           8
        .value_kind:     global_buffer
      - .address_space:  global
        .offset:         8
        .size:           8
        .value_kind:     global_buffer
      - .offset:         16
        .size:           4
        .value_kind:     by_value
      - .offset:         20
        .size:           4
        .value_kind:     by_value
      - .offset:         24
        .size:           4
        .value_kind:     by_value
      - .offset:         28
        .size:           4
        .value_kind:     by_value
      - .offset:         32
        .size:           12
        .value_kind:     by_value
      - .offset:         44
        .size:           12
        .value_kind:     by_value
      - .offset:         56
        .size:           12
        .value_kind:     by_value
      - .offset:         68
        .size:           12
        .value_kind:     by_value
      - .offset:         80
        .size:           4
        .value_kind:     hidden_block_count_x
      - .offset:         84
        .size:           4
        .value_kind:     hidden_block_count_y
      - .offset:         88
        .size:           4
        .value_kind:     hidden_block_count_z
      - .offset:         92
        .size:           2
        .value_kind:     hidden_group_size_x
      - .offset:         94
        .size:           2
        .value_kind:     hidden_group_size_y
      - .offset:         96
        .size:           2
        .value_kind:     hidden_group_size_z
      - .offset:         98
        .size:           2
        .value_kind:     hidden_remainder_x
      - .offset:         100
        .size:           2
        .value_kind:     hidden_remainder_y
      - .offset:         102
        .size:           2
        .value_kind:     hidden_remainder_z
      - .offset:         120
        .size:           8
        .value_kind:     hidden_global_offset_x
      - .offset:         128
        .size:           8
        .value_kind:     hidden_global_offset_y
      - .offset:         136
        .size:           8
        .value_kind:     hidden_global_offset_z
      - .offset:         144
        .size:           2
        .value_kind:     hidden_grid_dims
    .group_segment_fixed_size: 0
    .kernarg_segment_align: 8
    .kernarg_segment_size: 336
    .language:       OpenCL C
    .language_version:
      - 2
      - 0
    .max_flat_workgroup_size: 64
    .name:           _ZL33flash_attn_stream_k_fixup_generalILi64ELi1ELi8EEvPfPK15HIP_vector_typeIfLj2EEiiiiS1_IjLj3EES5_S5_S5_
    .private_segment_fixed_size: 0
    .sgpr_count:     43
    .sgpr_spill_count: 0
    .symbol:         _ZL33flash_attn_stream_k_fixup_generalILi64ELi1ELi8EEvPfPK15HIP_vector_typeIfLj2EEiiiiS1_IjLj3EES5_S5_S5_.kd
    .uniform_work_group_size: 1
    .uses_dynamic_stack: false
    .vgpr_count:     18
    .vgpr_spill_count: 0
    .wavefront_size: 64
  - .agpr_count:     0
    .args:
      - .address_space:  global
        .offset:         0
        .size:           8
        .value_kind:     global_buffer
      - .address_space:  global
        .offset:         8
        .size:           8
        .value_kind:     global_buffer
      - .address_space:  global
        .offset:         16
        .size:           8
        .value_kind:     global_buffer
      - .address_space:  global
        .offset:         24
        .size:           8
        .value_kind:     global_buffer
      - .address_space:  global
        .offset:         32
        .size:           8
        .value_kind:     global_buffer
      - .address_space:  global
        .offset:         40
        .size:           8
        .value_kind:     global_buffer
      - .address_space:  global
        .offset:         48
        .size:           8
        .value_kind:     global_buffer
      - .address_space:  global
        .offset:         56
        .size:           8
        .value_kind:     global_buffer
      - .offset:         64
        .size:           4
        .value_kind:     by_value
      - .offset:         68
        .size:           4
        .value_kind:     by_value
      - .offset:         72
        .size:           4
        .value_kind:     by_value
      - .offset:         76
        .size:           4
        .value_kind:     by_value
      - .offset:         80
        .size:           4
        .value_kind:     by_value
      - .offset:         84
        .size:           4
        .value_kind:     by_value
      - .offset:         88
        .size:           4
        .value_kind:     by_value
      - .offset:         92
        .size:           12
        .value_kind:     by_value
      - .offset:         104
        .size:           4
        .value_kind:     by_value
      - .offset:         108
        .size:           4
        .value_kind:     by_value
      - .offset:         112
        .size:           4
        .value_kind:     by_value
      - .offset:         116
        .size:           4
        .value_kind:     by_value
      - .offset:         120
        .size:           4
        .value_kind:     by_value
      - .offset:         124
        .size:           4
        .value_kind:     by_value
      - .offset:         128
        .size:           4
        .value_kind:     by_value
      - .offset:         132
        .size:           4
        .value_kind:     by_value
      - .offset:         136
        .size:           4
        .value_kind:     by_value
      - .offset:         140
        .size:           4
        .value_kind:     by_value
      - .offset:         144
        .size:           4
        .value_kind:     by_value
      - .offset:         152
        .size:           8
        .value_kind:     by_value
      - .offset:         160
        .size:           4
        .value_kind:     by_value
      - .offset:         164
        .size:           4
        .value_kind:     by_value
      - .offset:         168
        .size:           8
        .value_kind:     by_value
      - .offset:         176
        .size:           4
        .value_kind:     by_value
      - .offset:         180
        .size:           4
        .value_kind:     by_value
      - .offset:         184
        .size:           4
        .value_kind:     by_value
      - .offset:         188
        .size:           4
        .value_kind:     by_value
      - .offset:         192
        .size:           4
        .value_kind:     by_value
      - .offset:         200
        .size:           8
        .value_kind:     by_value
      - .offset:         208
        .size:           4
        .value_kind:     hidden_block_count_x
      - .offset:         212
        .size:           4
        .value_kind:     hidden_block_count_y
      - .offset:         216
        .size:           4
        .value_kind:     hidden_block_count_z
      - .offset:         220
        .size:           2
        .value_kind:     hidden_group_size_x
      - .offset:         222
        .size:           2
        .value_kind:     hidden_group_size_y
      - .offset:         224
        .size:           2
        .value_kind:     hidden_group_size_z
      - .offset:         226
        .size:           2
        .value_kind:     hidden_remainder_x
      - .offset:         228
        .size:           2
        .value_kind:     hidden_remainder_y
      - .offset:         230
        .size:           2
        .value_kind:     hidden_remainder_z
      - .offset:         248
        .size:           8
        .value_kind:     hidden_global_offset_x
      - .offset:         256
        .size:           8
        .value_kind:     hidden_global_offset_y
      - .offset:         264
        .size:           8
        .value_kind:     hidden_global_offset_z
      - .offset:         272
        .size:           2
        .value_kind:     hidden_grid_dims
    .group_segment_fixed_size: 25600
    .kernarg_segment_align: 8
    .kernarg_segment_size: 464
    .language:       OpenCL C
    .language_version:
      - 2
      - 0
    .max_flat_workgroup_size: 256
    .name:           _ZL15flash_attn_tileILi64ELi64ELi16ELi4ELb0EEvPKcS1_S1_S1_S1_PKiPfP15HIP_vector_typeIfLj2EEffffjfiS5_IjLj3EEiiiiiiiiiiiliiliiiiil
    .private_segment_fixed_size: 0
    .sgpr_count:     52
    .sgpr_spill_count: 0
    .symbol:         _ZL15flash_attn_tileILi64ELi64ELi16ELi4ELb0EEvPKcS1_S1_S1_S1_PKiPfP15HIP_vector_typeIfLj2EEffffjfiS5_IjLj3EEiiiiiiiiiiiliiliiiiil.kd
    .uniform_work_group_size: 1
    .uses_dynamic_stack: false
    .vgpr_count:     152
    .vgpr_spill_count: 0
    .wavefront_size: 64
  - .agpr_count:     0
    .args:
      - .actual_access:  read_only
        .address_space:  global
        .offset:         0
        .size:           8
        .value_kind:     global_buffer
      - .actual_access:  write_only
        .address_space:  global
        .offset:         8
        .size:           8
        .value_kind:     global_buffer
      - .offset:         16
        .size:           4
        .value_kind:     by_value
      - .offset:         20
        .size:           4
        .value_kind:     by_value
      - .offset:         24
        .size:           4
        .value_kind:     by_value
      - .offset:         32
        .size:           4
        .value_kind:     hidden_block_count_x
      - .offset:         36
        .size:           4
        .value_kind:     hidden_block_count_y
      - .offset:         40
        .size:           4
        .value_kind:     hidden_block_count_z
      - .offset:         44
        .size:           2
        .value_kind:     hidden_group_size_x
      - .offset:         46
        .size:           2
        .value_kind:     hidden_group_size_y
      - .offset:         48
        .size:           2
        .value_kind:     hidden_group_size_z
      - .offset:         50
        .size:           2
        .value_kind:     hidden_remainder_x
      - .offset:         52
        .size:           2
        .value_kind:     hidden_remainder_y
      - .offset:         54
        .size:           2
        .value_kind:     hidden_remainder_z
      - .offset:         72
        .size:           8
        .value_kind:     hidden_global_offset_x
      - .offset:         80
        .size:           8
        .value_kind:     hidden_global_offset_y
      - .offset:         88
        .size:           8
        .value_kind:     hidden_global_offset_z
      - .offset:         96
        .size:           2
        .value_kind:     hidden_grid_dims
    .group_segment_fixed_size: 128
    .kernarg_segment_align: 8
    .kernarg_segment_size: 288
    .language:       OpenCL C
    .language_version:
      - 2
      - 0
    .max_flat_workgroup_size: 128
    .name:           _ZL25flash_attn_mask_to_KV_maxILi16EEvPK7__half2Piiii
    .private_segment_fixed_size: 0
    .sgpr_count:     84
    .sgpr_spill_count: 0
    .symbol:         _ZL25flash_attn_mask_to_KV_maxILi16EEvPK7__half2Piiii.kd
    .uniform_work_group_size: 1
    .uses_dynamic_stack: false
    .vgpr_count:     12
    .vgpr_spill_count: 0
    .wavefront_size: 64
  - .agpr_count:     0
    .args:
      - .address_space:  global
        .offset:         0
        .size:           8
        .value_kind:     global_buffer
      - .address_space:  global
        .offset:         8
        .size:           8
        .value_kind:     global_buffer
      - .offset:         16
        .size:           4
        .value_kind:     by_value
      - .offset:         20
        .size:           4
        .value_kind:     by_value
      - .offset:         24
        .size:           4
        .value_kind:     by_value
      - .offset:         28
        .size:           4
        .value_kind:     by_value
      - .offset:         32
        .size:           4
        .value_kind:     by_value
      - .offset:         36
        .size:           4
        .value_kind:     by_value
      - .offset:         40
        .size:           12
        .value_kind:     by_value
      - .offset:         52
        .size:           12
        .value_kind:     by_value
      - .offset:         64
        .size:           12
        .value_kind:     by_value
    .group_segment_fixed_size: 0
    .kernarg_segment_align: 8
    .kernarg_segment_size: 76
    .language:       OpenCL C
    .language_version:
      - 2
      - 0
    .max_flat_workgroup_size: 64
    .name:           _ZL33flash_attn_stream_k_fixup_uniformILi64ELi16ELi4EEvPfPK15HIP_vector_typeIfLj2EEiiiiiiS1_IjLj3EES5_S5_
    .private_segment_fixed_size: 0
    .sgpr_count:     30
    .sgpr_spill_count: 0
    .symbol:         _ZL33flash_attn_stream_k_fixup_uniformILi64ELi16ELi4EEvPfPK15HIP_vector_typeIfLj2EEiiiiiiS1_IjLj3EES5_S5_.kd
    .uniform_work_group_size: 1
    .uses_dynamic_stack: false
    .vgpr_count:     17
    .vgpr_spill_count: 0
    .wavefront_size: 64
  - .agpr_count:     0
    .args:
      - .address_space:  global
        .offset:         0
        .size:           8
        .value_kind:     global_buffer
      - .address_space:  global
        .offset:         8
        .size:           8
        .value_kind:     global_buffer
      - .offset:         16
        .size:           4
        .value_kind:     by_value
      - .offset:         20
        .size:           4
        .value_kind:     by_value
      - .offset:         24
        .size:           4
        .value_kind:     by_value
      - .offset:         28
        .size:           4
        .value_kind:     by_value
      - .offset:         32
        .size:           12
        .value_kind:     by_value
      - .offset:         44
        .size:           12
        .value_kind:     by_value
      - .offset:         56
        .size:           12
        .value_kind:     by_value
      - .offset:         68
        .size:           12
        .value_kind:     by_value
      - .offset:         80
        .size:           4
        .value_kind:     hidden_block_count_x
      - .offset:         84
        .size:           4
        .value_kind:     hidden_block_count_y
      - .offset:         88
        .size:           4
        .value_kind:     hidden_block_count_z
      - .offset:         92
        .size:           2
        .value_kind:     hidden_group_size_x
      - .offset:         94
        .size:           2
        .value_kind:     hidden_group_size_y
      - .offset:         96
        .size:           2
        .value_kind:     hidden_group_size_z
      - .offset:         98
        .size:           2
        .value_kind:     hidden_remainder_x
      - .offset:         100
        .size:           2
        .value_kind:     hidden_remainder_y
      - .offset:         102
        .size:           2
        .value_kind:     hidden_remainder_z
      - .offset:         120
        .size:           8
        .value_kind:     hidden_global_offset_x
      - .offset:         128
        .size:           8
        .value_kind:     hidden_global_offset_y
      - .offset:         136
        .size:           8
        .value_kind:     hidden_global_offset_z
      - .offset:         144
        .size:           2
        .value_kind:     hidden_grid_dims
    .group_segment_fixed_size: 0
    .kernarg_segment_align: 8
    .kernarg_segment_size: 336
    .language:       OpenCL C
    .language_version:
      - 2
      - 0
    .max_flat_workgroup_size: 64
    .name:           _ZL33flash_attn_stream_k_fixup_generalILi64ELi16ELi4EEvPfPK15HIP_vector_typeIfLj2EEiiiiS1_IjLj3EES5_S5_S5_
    .private_segment_fixed_size: 0
    .sgpr_count:     42
    .sgpr_spill_count: 0
    .symbol:         _ZL33flash_attn_stream_k_fixup_generalILi64ELi16ELi4EEvPfPK15HIP_vector_typeIfLj2EEiiiiS1_IjLj3EES5_S5_S5_.kd
    .uniform_work_group_size: 1
    .uses_dynamic_stack: false
    .vgpr_count:     18
    .vgpr_spill_count: 0
    .wavefront_size: 64
  - .agpr_count:     0
    .args:
      - .address_space:  global
        .offset:         0
        .size:           8
        .value_kind:     global_buffer
      - .address_space:  global
        .offset:         8
        .size:           8
        .value_kind:     global_buffer
      - .address_space:  global
        .offset:         16
        .size:           8
        .value_kind:     global_buffer
      - .address_space:  global
        .offset:         24
        .size:           8
        .value_kind:     global_buffer
      - .address_space:  global
        .offset:         32
        .size:           8
        .value_kind:     global_buffer
      - .address_space:  global
        .offset:         40
        .size:           8
        .value_kind:     global_buffer
      - .address_space:  global
        .offset:         48
        .size:           8
        .value_kind:     global_buffer
      - .address_space:  global
        .offset:         56
        .size:           8
        .value_kind:     global_buffer
      - .offset:         64
        .size:           4
        .value_kind:     by_value
      - .offset:         68
        .size:           4
        .value_kind:     by_value
      - .offset:         72
        .size:           4
        .value_kind:     by_value
      - .offset:         76
        .size:           4
        .value_kind:     by_value
      - .offset:         80
        .size:           4
        .value_kind:     by_value
      - .offset:         84
        .size:           4
        .value_kind:     by_value
      - .offset:         88
        .size:           4
        .value_kind:     by_value
      - .offset:         92
        .size:           12
        .value_kind:     by_value
      - .offset:         104
        .size:           4
        .value_kind:     by_value
      - .offset:         108
        .size:           4
        .value_kind:     by_value
      - .offset:         112
        .size:           4
        .value_kind:     by_value
      - .offset:         116
        .size:           4
        .value_kind:     by_value
      - .offset:         120
        .size:           4
        .value_kind:     by_value
      - .offset:         124
        .size:           4
        .value_kind:     by_value
      - .offset:         128
        .size:           4
        .value_kind:     by_value
      - .offset:         132
        .size:           4
        .value_kind:     by_value
      - .offset:         136
        .size:           4
        .value_kind:     by_value
      - .offset:         140
        .size:           4
        .value_kind:     by_value
      - .offset:         144
        .size:           4
        .value_kind:     by_value
      - .offset:         152
        .size:           8
        .value_kind:     by_value
      - .offset:         160
        .size:           4
        .value_kind:     by_value
      - .offset:         164
        .size:           4
        .value_kind:     by_value
      - .offset:         168
        .size:           8
        .value_kind:     by_value
      - .offset:         176
        .size:           4
        .value_kind:     by_value
      - .offset:         180
        .size:           4
        .value_kind:     by_value
      - .offset:         184
        .size:           4
        .value_kind:     by_value
      - .offset:         188
        .size:           4
        .value_kind:     by_value
      - .offset:         192
        .size:           4
        .value_kind:     by_value
      - .offset:         200
        .size:           8
        .value_kind:     by_value
      - .offset:         208
        .size:           4
        .value_kind:     hidden_block_count_x
      - .offset:         212
        .size:           4
        .value_kind:     hidden_block_count_y
      - .offset:         216
        .size:           4
        .value_kind:     hidden_block_count_z
      - .offset:         220
        .size:           2
        .value_kind:     hidden_group_size_x
      - .offset:         222
        .size:           2
        .value_kind:     hidden_group_size_y
      - .offset:         224
        .size:           2
        .value_kind:     hidden_group_size_z
      - .offset:         226
        .size:           2
        .value_kind:     hidden_remainder_x
      - .offset:         228
        .size:           2
        .value_kind:     hidden_remainder_y
      - .offset:         230
        .size:           2
        .value_kind:     hidden_remainder_z
      - .offset:         248
        .size:           8
        .value_kind:     hidden_global_offset_x
      - .offset:         256
        .size:           8
        .value_kind:     hidden_global_offset_y
      - .offset:         264
        .size:           8
        .value_kind:     hidden_global_offset_z
      - .offset:         272
        .size:           2
        .value_kind:     hidden_grid_dims
    .group_segment_fixed_size: 17408
    .kernarg_segment_align: 8
    .kernarg_segment_size: 464
    .language:       OpenCL C
    .language_version:
      - 2
      - 0
    .max_flat_workgroup_size: 256
    .name:           _ZL15flash_attn_tileILi64ELi64ELi8ELi4ELb0EEvPKcS1_S1_S1_S1_PKiPfP15HIP_vector_typeIfLj2EEffffjfiS5_IjLj3EEiiiiiiiiiiiliiliiiiil
    .private_segment_fixed_size: 0
    .sgpr_count:     48
    .sgpr_spill_count: 0
    .symbol:         _ZL15flash_attn_tileILi64ELi64ELi8ELi4ELb0EEvPKcS1_S1_S1_S1_PKiPfP15HIP_vector_typeIfLj2EEffffjfiS5_IjLj3EEiiiiiiiiiiiliiliiiiil.kd
    .uniform_work_group_size: 1
    .uses_dynamic_stack: false
    .vgpr_count:     86
    .vgpr_spill_count: 0
    .wavefront_size: 64
  - .agpr_count:     0
    .args:
      - .address_space:  global
        .offset:         0
        .size:           8
        .value_kind:     global_buffer
      - .address_space:  global
        .offset:         8
        .size:           8
        .value_kind:     global_buffer
      - .offset:         16
        .size:           4
        .value_kind:     by_value
      - .offset:         20
        .size:           4
        .value_kind:     by_value
      - .offset:         24
        .size:           4
        .value_kind:     by_value
      - .offset:         28
        .size:           4
        .value_kind:     by_value
      - .offset:         32
        .size:           4
        .value_kind:     by_value
      - .offset:         36
        .size:           4
        .value_kind:     by_value
      - .offset:         40
        .size:           12
        .value_kind:     by_value
      - .offset:         52
        .size:           12
        .value_kind:     by_value
      - .offset:         64
        .size:           12
        .value_kind:     by_value
    .group_segment_fixed_size: 0
    .kernarg_segment_align: 8
    .kernarg_segment_size: 76
    .language:       OpenCL C
    .language_version:
      - 2
      - 0
    .max_flat_workgroup_size: 64
    .name:           _ZL33flash_attn_stream_k_fixup_uniformILi64ELi8ELi4EEvPfPK15HIP_vector_typeIfLj2EEiiiiiiS1_IjLj3EES5_S5_
    .private_segment_fixed_size: 0
    .sgpr_count:     30
    .sgpr_spill_count: 0
    .symbol:         _ZL33flash_attn_stream_k_fixup_uniformILi64ELi8ELi4EEvPfPK15HIP_vector_typeIfLj2EEiiiiiiS1_IjLj3EES5_S5_.kd
    .uniform_work_group_size: 1
    .uses_dynamic_stack: false
    .vgpr_count:     17
    .vgpr_spill_count: 0
    .wavefront_size: 64
  - .agpr_count:     0
    .args:
      - .address_space:  global
        .offset:         0
        .size:           8
        .value_kind:     global_buffer
      - .address_space:  global
        .offset:         8
        .size:           8
        .value_kind:     global_buffer
      - .offset:         16
        .size:           4
        .value_kind:     by_value
      - .offset:         20
        .size:           4
        .value_kind:     by_value
      - .offset:         24
        .size:           4
        .value_kind:     by_value
      - .offset:         28
        .size:           4
        .value_kind:     by_value
      - .offset:         32
        .size:           12
        .value_kind:     by_value
      - .offset:         44
        .size:           12
        .value_kind:     by_value
      - .offset:         56
        .size:           12
        .value_kind:     by_value
      - .offset:         68
        .size:           12
        .value_kind:     by_value
      - .offset:         80
        .size:           4
        .value_kind:     hidden_block_count_x
      - .offset:         84
        .size:           4
        .value_kind:     hidden_block_count_y
      - .offset:         88
        .size:           4
        .value_kind:     hidden_block_count_z
      - .offset:         92
        .size:           2
        .value_kind:     hidden_group_size_x
      - .offset:         94
        .size:           2
        .value_kind:     hidden_group_size_y
      - .offset:         96
        .size:           2
        .value_kind:     hidden_group_size_z
      - .offset:         98
        .size:           2
        .value_kind:     hidden_remainder_x
      - .offset:         100
        .size:           2
        .value_kind:     hidden_remainder_y
      - .offset:         102
        .size:           2
        .value_kind:     hidden_remainder_z
      - .offset:         120
        .size:           8
        .value_kind:     hidden_global_offset_x
      - .offset:         128
        .size:           8
        .value_kind:     hidden_global_offset_y
      - .offset:         136
        .size:           8
        .value_kind:     hidden_global_offset_z
      - .offset:         144
        .size:           2
        .value_kind:     hidden_grid_dims
    .group_segment_fixed_size: 0
    .kernarg_segment_align: 8
    .kernarg_segment_size: 336
    .language:       OpenCL C
    .language_version:
      - 2
      - 0
    .max_flat_workgroup_size: 64
    .name:           _ZL33flash_attn_stream_k_fixup_generalILi64ELi8ELi4EEvPfPK15HIP_vector_typeIfLj2EEiiiiS1_IjLj3EES5_S5_S5_
    .private_segment_fixed_size: 0
    .sgpr_count:     42
    .sgpr_spill_count: 0
    .symbol:         _ZL33flash_attn_stream_k_fixup_generalILi64ELi8ELi4EEvPfPK15HIP_vector_typeIfLj2EEiiiiS1_IjLj3EES5_S5_S5_.kd
    .uniform_work_group_size: 1
    .uses_dynamic_stack: false
    .vgpr_count:     18
    .vgpr_spill_count: 0
    .wavefront_size: 64
  - .agpr_count:     0
    .args:
      - .address_space:  global
        .offset:         0
        .size:           8
        .value_kind:     global_buffer
      - .address_space:  global
        .offset:         8
        .size:           8
        .value_kind:     global_buffer
      - .address_space:  global
        .offset:         16
        .size:           8
        .value_kind:     global_buffer
      - .address_space:  global
        .offset:         24
        .size:           8
        .value_kind:     global_buffer
      - .address_space:  global
        .offset:         32
        .size:           8
        .value_kind:     global_buffer
      - .address_space:  global
        .offset:         40
        .size:           8
        .value_kind:     global_buffer
      - .address_space:  global
        .offset:         48
        .size:           8
        .value_kind:     global_buffer
      - .address_space:  global
        .offset:         56
        .size:           8
        .value_kind:     global_buffer
      - .offset:         64
        .size:           4
        .value_kind:     by_value
      - .offset:         68
        .size:           4
        .value_kind:     by_value
      - .offset:         72
        .size:           4
        .value_kind:     by_value
      - .offset:         76
        .size:           4
        .value_kind:     by_value
      - .offset:         80
        .size:           4
        .value_kind:     by_value
      - .offset:         84
        .size:           4
        .value_kind:     by_value
      - .offset:         88
        .size:           4
        .value_kind:     by_value
      - .offset:         92
        .size:           12
        .value_kind:     by_value
      - .offset:         104
        .size:           4
        .value_kind:     by_value
      - .offset:         108
        .size:           4
        .value_kind:     by_value
      - .offset:         112
        .size:           4
        .value_kind:     by_value
      - .offset:         116
        .size:           4
        .value_kind:     by_value
      - .offset:         120
        .size:           4
        .value_kind:     by_value
      - .offset:         124
        .size:           4
        .value_kind:     by_value
      - .offset:         128
        .size:           4
        .value_kind:     by_value
      - .offset:         132
        .size:           4
        .value_kind:     by_value
      - .offset:         136
        .size:           4
        .value_kind:     by_value
      - .offset:         140
        .size:           4
        .value_kind:     by_value
      - .offset:         144
        .size:           4
        .value_kind:     by_value
      - .offset:         152
        .size:           8
        .value_kind:     by_value
      - .offset:         160
        .size:           4
        .value_kind:     by_value
      - .offset:         164
        .size:           4
        .value_kind:     by_value
      - .offset:         168
        .size:           8
        .value_kind:     by_value
      - .offset:         176
        .size:           4
        .value_kind:     by_value
      - .offset:         180
        .size:           4
        .value_kind:     by_value
      - .offset:         184
        .size:           4
        .value_kind:     by_value
      - .offset:         188
        .size:           4
        .value_kind:     by_value
      - .offset:         192
        .size:           4
        .value_kind:     by_value
      - .offset:         200
        .size:           8
        .value_kind:     by_value
      - .offset:         208
        .size:           4
        .value_kind:     hidden_block_count_x
      - .offset:         212
        .size:           4
        .value_kind:     hidden_block_count_y
      - .offset:         216
        .size:           4
        .value_kind:     hidden_block_count_z
      - .offset:         220
        .size:           2
        .value_kind:     hidden_group_size_x
      - .offset:         222
        .size:           2
        .value_kind:     hidden_group_size_y
      - .offset:         224
        .size:           2
        .value_kind:     hidden_group_size_z
      - .offset:         226
        .size:           2
        .value_kind:     hidden_remainder_x
      - .offset:         228
        .size:           2
        .value_kind:     hidden_remainder_y
      - .offset:         230
        .size:           2
        .value_kind:     hidden_remainder_z
      - .offset:         248
        .size:           8
        .value_kind:     hidden_global_offset_x
      - .offset:         256
        .size:           8
        .value_kind:     hidden_global_offset_y
      - .offset:         264
        .size:           8
        .value_kind:     hidden_global_offset_z
      - .offset:         272
        .size:           2
        .value_kind:     hidden_grid_dims
    .group_segment_fixed_size: 24576
    .kernarg_segment_align: 8
    .kernarg_segment_size: 464
    .language:       OpenCL C
    .language_version:
      - 2
      - 0
    .max_flat_workgroup_size: 256
    .name:           _ZL15flash_attn_tileILi64ELi64ELi4ELi4ELb0EEvPKcS1_S1_S1_S1_PKiPfP15HIP_vector_typeIfLj2EEffffjfiS5_IjLj3EEiiiiiiiiiiiliiliiiiil
    .private_segment_fixed_size: 0
    .sgpr_count:     46
    .sgpr_spill_count: 0
    .symbol:         _ZL15flash_attn_tileILi64ELi64ELi4ELi4ELb0EEvPKcS1_S1_S1_S1_PKiPfP15HIP_vector_typeIfLj2EEffffjfiS5_IjLj3EEiiiiiiiiiiiliiliiiiil.kd
    .uniform_work_group_size: 1
    .uses_dynamic_stack: false
    .vgpr_count:     102
    .vgpr_spill_count: 0
    .wavefront_size: 64
  - .agpr_count:     0
    .args:
      - .address_space:  global
        .offset:         0
        .size:           8
        .value_kind:     global_buffer
      - .address_space:  global
        .offset:         8
        .size:           8
        .value_kind:     global_buffer
      - .offset:         16
        .size:           4
        .value_kind:     by_value
      - .offset:         20
        .size:           4
        .value_kind:     by_value
      - .offset:         24
        .size:           4
        .value_kind:     by_value
      - .offset:         28
        .size:           4
        .value_kind:     by_value
      - .offset:         32
        .size:           4
        .value_kind:     by_value
      - .offset:         36
        .size:           4
        .value_kind:     by_value
      - .offset:         40
        .size:           12
        .value_kind:     by_value
      - .offset:         52
        .size:           12
        .value_kind:     by_value
      - .offset:         64
        .size:           12
        .value_kind:     by_value
    .group_segment_fixed_size: 0
    .kernarg_segment_align: 8
    .kernarg_segment_size: 76
    .language:       OpenCL C
    .language_version:
      - 2
      - 0
    .max_flat_workgroup_size: 64
    .name:           _ZL33flash_attn_stream_k_fixup_uniformILi64ELi4ELi4EEvPfPK15HIP_vector_typeIfLj2EEiiiiiiS1_IjLj3EES5_S5_
    .private_segment_fixed_size: 0
    .sgpr_count:     30
    .sgpr_spill_count: 0
    .symbol:         _ZL33flash_attn_stream_k_fixup_uniformILi64ELi4ELi4EEvPfPK15HIP_vector_typeIfLj2EEiiiiiiS1_IjLj3EES5_S5_.kd
    .uniform_work_group_size: 1
    .uses_dynamic_stack: false
    .vgpr_count:     17
    .vgpr_spill_count: 0
    .wavefront_size: 64
  - .agpr_count:     0
    .args:
      - .address_space:  global
        .offset:         0
        .size:           8
        .value_kind:     global_buffer
      - .address_space:  global
        .offset:         8
        .size:           8
        .value_kind:     global_buffer
      - .offset:         16
        .size:           4
        .value_kind:     by_value
      - .offset:         20
        .size:           4
        .value_kind:     by_value
      - .offset:         24
        .size:           4
        .value_kind:     by_value
      - .offset:         28
        .size:           4
        .value_kind:     by_value
      - .offset:         32
        .size:           12
        .value_kind:     by_value
      - .offset:         44
        .size:           12
        .value_kind:     by_value
      - .offset:         56
        .size:           12
        .value_kind:     by_value
      - .offset:         68
        .size:           12
        .value_kind:     by_value
      - .offset:         80
        .size:           4
        .value_kind:     hidden_block_count_x
      - .offset:         84
        .size:           4
        .value_kind:     hidden_block_count_y
      - .offset:         88
        .size:           4
        .value_kind:     hidden_block_count_z
      - .offset:         92
        .size:           2
        .value_kind:     hidden_group_size_x
      - .offset:         94
        .size:           2
        .value_kind:     hidden_group_size_y
      - .offset:         96
        .size:           2
        .value_kind:     hidden_group_size_z
      - .offset:         98
        .size:           2
        .value_kind:     hidden_remainder_x
      - .offset:         100
        .size:           2
        .value_kind:     hidden_remainder_y
      - .offset:         102
        .size:           2
        .value_kind:     hidden_remainder_z
      - .offset:         120
        .size:           8
        .value_kind:     hidden_global_offset_x
      - .offset:         128
        .size:           8
        .value_kind:     hidden_global_offset_y
      - .offset:         136
        .size:           8
        .value_kind:     hidden_global_offset_z
      - .offset:         144
        .size:           2
        .value_kind:     hidden_grid_dims
    .group_segment_fixed_size: 0
    .kernarg_segment_align: 8
    .kernarg_segment_size: 336
    .language:       OpenCL C
    .language_version:
      - 2
      - 0
    .max_flat_workgroup_size: 64
    .name:           _ZL33flash_attn_stream_k_fixup_generalILi64ELi4ELi4EEvPfPK15HIP_vector_typeIfLj2EEiiiiS1_IjLj3EES5_S5_S5_
    .private_segment_fixed_size: 0
    .sgpr_count:     42
    .sgpr_spill_count: 0
    .symbol:         _ZL33flash_attn_stream_k_fixup_generalILi64ELi4ELi4EEvPfPK15HIP_vector_typeIfLj2EEiiiiS1_IjLj3EES5_S5_S5_.kd
    .uniform_work_group_size: 1
    .uses_dynamic_stack: false
    .vgpr_count:     18
    .vgpr_spill_count: 0
    .wavefront_size: 64
  - .agpr_count:     0
    .args:
      - .address_space:  global
        .offset:         0
        .size:           8
        .value_kind:     global_buffer
      - .address_space:  global
        .offset:         8
        .size:           8
        .value_kind:     global_buffer
      - .address_space:  global
        .offset:         16
        .size:           8
        .value_kind:     global_buffer
      - .address_space:  global
        .offset:         24
        .size:           8
        .value_kind:     global_buffer
      - .address_space:  global
        .offset:         32
        .size:           8
        .value_kind:     global_buffer
      - .address_space:  global
        .offset:         40
        .size:           8
        .value_kind:     global_buffer
      - .address_space:  global
        .offset:         48
        .size:           8
        .value_kind:     global_buffer
      - .address_space:  global
        .offset:         56
        .size:           8
        .value_kind:     global_buffer
      - .offset:         64
        .size:           4
        .value_kind:     by_value
      - .offset:         68
        .size:           4
        .value_kind:     by_value
      - .offset:         72
        .size:           4
        .value_kind:     by_value
      - .offset:         76
        .size:           4
        .value_kind:     by_value
      - .offset:         80
        .size:           4
        .value_kind:     by_value
      - .offset:         84
        .size:           4
        .value_kind:     by_value
      - .offset:         88
        .size:           4
        .value_kind:     by_value
      - .offset:         92
        .size:           12
        .value_kind:     by_value
      - .offset:         104
        .size:           4
        .value_kind:     by_value
      - .offset:         108
        .size:           4
        .value_kind:     by_value
      - .offset:         112
        .size:           4
        .value_kind:     by_value
      - .offset:         116
        .size:           4
        .value_kind:     by_value
      - .offset:         120
        .size:           4
        .value_kind:     by_value
      - .offset:         124
        .size:           4
        .value_kind:     by_value
      - .offset:         128
        .size:           4
        .value_kind:     by_value
      - .offset:         132
        .size:           4
        .value_kind:     by_value
      - .offset:         136
        .size:           4
        .value_kind:     by_value
      - .offset:         140
        .size:           4
        .value_kind:     by_value
      - .offset:         144
        .size:           4
        .value_kind:     by_value
      - .offset:         152
        .size:           8
        .value_kind:     by_value
      - .offset:         160
        .size:           4
        .value_kind:     by_value
      - .offset:         164
        .size:           4
        .value_kind:     by_value
      - .offset:         168
        .size:           8
        .value_kind:     by_value
      - .offset:         176
        .size:           4
        .value_kind:     by_value
      - .offset:         180
        .size:           4
        .value_kind:     by_value
      - .offset:         184
        .size:           4
        .value_kind:     by_value
      - .offset:         188
        .size:           4
        .value_kind:     by_value
      - .offset:         192
        .size:           4
        .value_kind:     by_value
      - .offset:         200
        .size:           8
        .value_kind:     by_value
      - .offset:         208
        .size:           4
        .value_kind:     hidden_block_count_x
      - .offset:         212
        .size:           4
        .value_kind:     hidden_block_count_y
      - .offset:         216
        .size:           4
        .value_kind:     hidden_block_count_z
      - .offset:         220
        .size:           2
        .value_kind:     hidden_group_size_x
      - .offset:         222
        .size:           2
        .value_kind:     hidden_group_size_y
      - .offset:         224
        .size:           2
        .value_kind:     hidden_group_size_z
      - .offset:         226
        .size:           2
        .value_kind:     hidden_remainder_x
      - .offset:         228
        .size:           2
        .value_kind:     hidden_remainder_y
      - .offset:         230
        .size:           2
        .value_kind:     hidden_remainder_z
      - .offset:         248
        .size:           8
        .value_kind:     hidden_global_offset_x
      - .offset:         256
        .size:           8
        .value_kind:     hidden_global_offset_y
      - .offset:         264
        .size:           8
        .value_kind:     hidden_global_offset_z
      - .offset:         272
        .size:           2
        .value_kind:     hidden_grid_dims
    .group_segment_fixed_size: 6144
    .kernarg_segment_align: 8
    .kernarg_segment_size: 464
    .language:       OpenCL C
    .language_version:
      - 2
      - 0
    .max_flat_workgroup_size: 128
    .name:           _ZL15flash_attn_tileILi64ELi64ELi2ELi4ELb0EEvPKcS1_S1_S1_S1_PKiPfP15HIP_vector_typeIfLj2EEffffjfiS5_IjLj3EEiiiiiiiiiiiliiliiiiil
    .private_segment_fixed_size: 0
    .sgpr_count:     46
    .sgpr_spill_count: 0
    .symbol:         _ZL15flash_attn_tileILi64ELi64ELi2ELi4ELb0EEvPKcS1_S1_S1_S1_PKiPfP15HIP_vector_typeIfLj2EEffffjfiS5_IjLj3EEiiiiiiiiiiiliiliiiiil.kd
    .uniform_work_group_size: 1
    .uses_dynamic_stack: false
    .vgpr_count:     138
    .vgpr_spill_count: 0
    .wavefront_size: 64
  - .agpr_count:     0
    .args:
      - .address_space:  global
        .offset:         0
        .size:           8
        .value_kind:     global_buffer
      - .address_space:  global
        .offset:         8
        .size:           8
        .value_kind:     global_buffer
      - .offset:         16
        .size:           4
        .value_kind:     by_value
      - .offset:         20
        .size:           4
        .value_kind:     by_value
      - .offset:         24
        .size:           4
        .value_kind:     by_value
      - .offset:         28
        .size:           4
        .value_kind:     by_value
      - .offset:         32
        .size:           4
        .value_kind:     by_value
      - .offset:         36
        .size:           4
        .value_kind:     by_value
      - .offset:         40
        .size:           12
        .value_kind:     by_value
      - .offset:         52
        .size:           12
        .value_kind:     by_value
      - .offset:         64
        .size:           12
        .value_kind:     by_value
    .group_segment_fixed_size: 0
    .kernarg_segment_align: 8
    .kernarg_segment_size: 76
    .language:       OpenCL C
    .language_version:
      - 2
      - 0
    .max_flat_workgroup_size: 64
    .name:           _ZL33flash_attn_stream_k_fixup_uniformILi64ELi2ELi4EEvPfPK15HIP_vector_typeIfLj2EEiiiiiiS1_IjLj3EES5_S5_
    .private_segment_fixed_size: 0
    .sgpr_count:     30
    .sgpr_spill_count: 0
    .symbol:         _ZL33flash_attn_stream_k_fixup_uniformILi64ELi2ELi4EEvPfPK15HIP_vector_typeIfLj2EEiiiiiiS1_IjLj3EES5_S5_.kd
    .uniform_work_group_size: 1
    .uses_dynamic_stack: false
    .vgpr_count:     17
    .vgpr_spill_count: 0
    .wavefront_size: 64
  - .agpr_count:     0
    .args:
      - .address_space:  global
        .offset:         0
        .size:           8
        .value_kind:     global_buffer
      - .address_space:  global
        .offset:         8
        .size:           8
        .value_kind:     global_buffer
      - .offset:         16
        .size:           4
        .value_kind:     by_value
      - .offset:         20
        .size:           4
        .value_kind:     by_value
      - .offset:         24
        .size:           4
        .value_kind:     by_value
      - .offset:         28
        .size:           4
        .value_kind:     by_value
      - .offset:         32
        .size:           12
        .value_kind:     by_value
      - .offset:         44
        .size:           12
        .value_kind:     by_value
      - .offset:         56
        .size:           12
        .value_kind:     by_value
      - .offset:         68
        .size:           12
        .value_kind:     by_value
      - .offset:         80
        .size:           4
        .value_kind:     hidden_block_count_x
      - .offset:         84
        .size:           4
        .value_kind:     hidden_block_count_y
      - .offset:         88
        .size:           4
        .value_kind:     hidden_block_count_z
      - .offset:         92
        .size:           2
        .value_kind:     hidden_group_size_x
      - .offset:         94
        .size:           2
        .value_kind:     hidden_group_size_y
      - .offset:         96
        .size:           2
        .value_kind:     hidden_group_size_z
      - .offset:         98
        .size:           2
        .value_kind:     hidden_remainder_x
      - .offset:         100
        .size:           2
        .value_kind:     hidden_remainder_y
      - .offset:         102
        .size:           2
        .value_kind:     hidden_remainder_z
      - .offset:         120
        .size:           8
        .value_kind:     hidden_global_offset_x
      - .offset:         128
        .size:           8
        .value_kind:     hidden_global_offset_y
      - .offset:         136
        .size:           8
        .value_kind:     hidden_global_offset_z
      - .offset:         144
        .size:           2
        .value_kind:     hidden_grid_dims
    .group_segment_fixed_size: 0
    .kernarg_segment_align: 8
    .kernarg_segment_size: 336
    .language:       OpenCL C
    .language_version:
      - 2
      - 0
    .max_flat_workgroup_size: 64
    .name:           _ZL33flash_attn_stream_k_fixup_generalILi64ELi2ELi4EEvPfPK15HIP_vector_typeIfLj2EEiiiiS1_IjLj3EES5_S5_S5_
    .private_segment_fixed_size: 0
    .sgpr_count:     42
    .sgpr_spill_count: 0
    .symbol:         _ZL33flash_attn_stream_k_fixup_generalILi64ELi2ELi4EEvPfPK15HIP_vector_typeIfLj2EEiiiiS1_IjLj3EES5_S5_S5_.kd
    .uniform_work_group_size: 1
    .uses_dynamic_stack: false
    .vgpr_count:     18
    .vgpr_spill_count: 0
    .wavefront_size: 64
  - .agpr_count:     0
    .args:
      - .address_space:  global
        .offset:         0
        .size:           8
        .value_kind:     global_buffer
      - .address_space:  global
        .offset:         8
        .size:           8
        .value_kind:     global_buffer
      - .address_space:  global
        .offset:         16
        .size:           8
        .value_kind:     global_buffer
      - .address_space:  global
        .offset:         24
        .size:           8
        .value_kind:     global_buffer
      - .address_space:  global
        .offset:         32
        .size:           8
        .value_kind:     global_buffer
      - .address_space:  global
        .offset:         40
        .size:           8
        .value_kind:     global_buffer
      - .address_space:  global
        .offset:         48
        .size:           8
        .value_kind:     global_buffer
      - .address_space:  global
        .offset:         56
        .size:           8
        .value_kind:     global_buffer
      - .offset:         64
        .size:           4
        .value_kind:     by_value
      - .offset:         68
        .size:           4
        .value_kind:     by_value
      - .offset:         72
        .size:           4
        .value_kind:     by_value
      - .offset:         76
        .size:           4
        .value_kind:     by_value
      - .offset:         80
        .size:           4
        .value_kind:     by_value
      - .offset:         84
        .size:           4
        .value_kind:     by_value
      - .offset:         88
        .size:           4
        .value_kind:     by_value
      - .offset:         92
        .size:           12
        .value_kind:     by_value
      - .offset:         104
        .size:           4
        .value_kind:     by_value
      - .offset:         108
        .size:           4
        .value_kind:     by_value
      - .offset:         112
        .size:           4
        .value_kind:     by_value
      - .offset:         116
        .size:           4
        .value_kind:     by_value
      - .offset:         120
        .size:           4
        .value_kind:     by_value
      - .offset:         124
        .size:           4
        .value_kind:     by_value
      - .offset:         128
        .size:           4
        .value_kind:     by_value
      - .offset:         132
        .size:           4
        .value_kind:     by_value
      - .offset:         136
        .size:           4
        .value_kind:     by_value
      - .offset:         140
        .size:           4
        .value_kind:     by_value
      - .offset:         144
        .size:           4
        .value_kind:     by_value
      - .offset:         152
        .size:           8
        .value_kind:     by_value
      - .offset:         160
        .size:           4
        .value_kind:     by_value
      - .offset:         164
        .size:           4
        .value_kind:     by_value
      - .offset:         168
        .size:           8
        .value_kind:     by_value
      - .offset:         176
        .size:           4
        .value_kind:     by_value
      - .offset:         180
        .size:           4
        .value_kind:     by_value
      - .offset:         184
        .size:           4
        .value_kind:     by_value
      - .offset:         188
        .size:           4
        .value_kind:     by_value
      - .offset:         192
        .size:           4
        .value_kind:     by_value
      - .offset:         200
        .size:           8
        .value_kind:     by_value
      - .offset:         208
        .size:           4
        .value_kind:     hidden_block_count_x
      - .offset:         212
        .size:           4
        .value_kind:     hidden_block_count_y
      - .offset:         216
        .size:           4
        .value_kind:     hidden_block_count_z
      - .offset:         220
        .size:           2
        .value_kind:     hidden_group_size_x
      - .offset:         222
        .size:           2
        .value_kind:     hidden_group_size_y
      - .offset:         224
        .size:           2
        .value_kind:     hidden_group_size_z
      - .offset:         226
        .size:           2
        .value_kind:     hidden_remainder_x
      - .offset:         228
        .size:           2
        .value_kind:     hidden_remainder_y
      - .offset:         230
        .size:           2
        .value_kind:     hidden_remainder_z
      - .offset:         248
        .size:           8
        .value_kind:     hidden_global_offset_x
      - .offset:         256
        .size:           8
        .value_kind:     hidden_global_offset_y
      - .offset:         264
        .size:           8
        .value_kind:     hidden_global_offset_z
      - .offset:         272
        .size:           2
        .value_kind:     hidden_grid_dims
    .group_segment_fixed_size: 10240
    .kernarg_segment_align: 8
    .kernarg_segment_size: 464
    .language:       OpenCL C
    .language_version:
      - 2
      - 0
    .max_flat_workgroup_size: 128
    .name:           _ZL15flash_attn_tileILi64ELi64ELi1ELi4ELb0EEvPKcS1_S1_S1_S1_PKiPfP15HIP_vector_typeIfLj2EEffffjfiS5_IjLj3EEiiiiiiiiiiiliiliiiiil
    .private_segment_fixed_size: 0
    .sgpr_count:     45
    .sgpr_spill_count: 0
    .symbol:         _ZL15flash_attn_tileILi64ELi64ELi1ELi4ELb0EEvPKcS1_S1_S1_S1_PKiPfP15HIP_vector_typeIfLj2EEffffjfiS5_IjLj3EEiiiiiiiiiiiliiliiiiil.kd
    .uniform_work_group_size: 1
    .uses_dynamic_stack: false
    .vgpr_count:     154
    .vgpr_spill_count: 0
    .wavefront_size: 64
  - .agpr_count:     0
    .args:
      - .address_space:  global
        .offset:         0
        .size:           8
        .value_kind:     global_buffer
      - .address_space:  global
        .offset:         8
        .size:           8
        .value_kind:     global_buffer
      - .offset:         16
        .size:           4
        .value_kind:     by_value
      - .offset:         20
        .size:           4
        .value_kind:     by_value
      - .offset:         24
        .size:           4
        .value_kind:     by_value
      - .offset:         28
        .size:           4
        .value_kind:     by_value
      - .offset:         32
        .size:           4
        .value_kind:     by_value
      - .offset:         36
        .size:           4
        .value_kind:     by_value
      - .offset:         40
        .size:           12
        .value_kind:     by_value
      - .offset:         52
        .size:           12
        .value_kind:     by_value
      - .offset:         64
        .size:           12
        .value_kind:     by_value
    .group_segment_fixed_size: 0
    .kernarg_segment_align: 8
    .kernarg_segment_size: 76
    .language:       OpenCL C
    .language_version:
      - 2
      - 0
    .max_flat_workgroup_size: 64
    .name:           _ZL33flash_attn_stream_k_fixup_uniformILi64ELi1ELi4EEvPfPK15HIP_vector_typeIfLj2EEiiiiiiS1_IjLj3EES5_S5_
    .private_segment_fixed_size: 0
    .sgpr_count:     26
    .sgpr_spill_count: 0
    .symbol:         _ZL33flash_attn_stream_k_fixup_uniformILi64ELi1ELi4EEvPfPK15HIP_vector_typeIfLj2EEiiiiiiS1_IjLj3EES5_S5_.kd
    .uniform_work_group_size: 1
    .uses_dynamic_stack: false
    .vgpr_count:     17
    .vgpr_spill_count: 0
    .wavefront_size: 64
  - .agpr_count:     0
    .args:
      - .address_space:  global
        .offset:         0
        .size:           8
        .value_kind:     global_buffer
      - .address_space:  global
        .offset:         8
        .size:           8
        .value_kind:     global_buffer
      - .offset:         16
        .size:           4
        .value_kind:     by_value
      - .offset:         20
        .size:           4
        .value_kind:     by_value
      - .offset:         24
        .size:           4
        .value_kind:     by_value
      - .offset:         28
        .size:           4
        .value_kind:     by_value
      - .offset:         32
        .size:           12
        .value_kind:     by_value
      - .offset:         44
        .size:           12
        .value_kind:     by_value
      - .offset:         56
        .size:           12
        .value_kind:     by_value
      - .offset:         68
        .size:           12
        .value_kind:     by_value
      - .offset:         80
        .size:           4
        .value_kind:     hidden_block_count_x
      - .offset:         84
        .size:           4
        .value_kind:     hidden_block_count_y
      - .offset:         88
        .size:           4
        .value_kind:     hidden_block_count_z
      - .offset:         92
        .size:           2
        .value_kind:     hidden_group_size_x
      - .offset:         94
        .size:           2
        .value_kind:     hidden_group_size_y
      - .offset:         96
        .size:           2
        .value_kind:     hidden_group_size_z
      - .offset:         98
        .size:           2
        .value_kind:     hidden_remainder_x
      - .offset:         100
        .size:           2
        .value_kind:     hidden_remainder_y
      - .offset:         102
        .size:           2
        .value_kind:     hidden_remainder_z
      - .offset:         120
        .size:           8
        .value_kind:     hidden_global_offset_x
      - .offset:         128
        .size:           8
        .value_kind:     hidden_global_offset_y
      - .offset:         136
        .size:           8
        .value_kind:     hidden_global_offset_z
      - .offset:         144
        .size:           2
        .value_kind:     hidden_grid_dims
    .group_segment_fixed_size: 0
    .kernarg_segment_align: 8
    .kernarg_segment_size: 336
    .language:       OpenCL C
    .language_version:
      - 2
      - 0
    .max_flat_workgroup_size: 64
    .name:           _ZL33flash_attn_stream_k_fixup_generalILi64ELi1ELi4EEvPfPK15HIP_vector_typeIfLj2EEiiiiS1_IjLj3EES5_S5_S5_
    .private_segment_fixed_size: 0
    .sgpr_count:     43
    .sgpr_spill_count: 0
    .symbol:         _ZL33flash_attn_stream_k_fixup_generalILi64ELi1ELi4EEvPfPK15HIP_vector_typeIfLj2EEiiiiS1_IjLj3EES5_S5_S5_.kd
    .uniform_work_group_size: 1
    .uses_dynamic_stack: false
    .vgpr_count:     18
    .vgpr_spill_count: 0
    .wavefront_size: 64
  - .agpr_count:     0
    .args:
      - .address_space:  global
        .offset:         0
        .size:           8
        .value_kind:     global_buffer
      - .address_space:  global
        .offset:         8
        .size:           8
        .value_kind:     global_buffer
      - .address_space:  global
        .offset:         16
        .size:           8
        .value_kind:     global_buffer
      - .address_space:  global
        .offset:         24
        .size:           8
        .value_kind:     global_buffer
      - .address_space:  global
        .offset:         32
        .size:           8
        .value_kind:     global_buffer
      - .address_space:  global
        .offset:         40
        .size:           8
        .value_kind:     global_buffer
      - .address_space:  global
        .offset:         48
        .size:           8
        .value_kind:     global_buffer
      - .address_space:  global
        .offset:         56
        .size:           8
        .value_kind:     global_buffer
      - .offset:         64
        .size:           4
        .value_kind:     by_value
      - .offset:         68
        .size:           4
        .value_kind:     by_value
      - .offset:         72
        .size:           4
        .value_kind:     by_value
      - .offset:         76
        .size:           4
        .value_kind:     by_value
      - .offset:         80
        .size:           4
        .value_kind:     by_value
      - .offset:         84
        .size:           4
        .value_kind:     by_value
      - .offset:         88
        .size:           4
        .value_kind:     by_value
      - .offset:         92
        .size:           12
        .value_kind:     by_value
      - .offset:         104
        .size:           4
        .value_kind:     by_value
      - .offset:         108
        .size:           4
        .value_kind:     by_value
      - .offset:         112
        .size:           4
        .value_kind:     by_value
      - .offset:         116
        .size:           4
        .value_kind:     by_value
      - .offset:         120
        .size:           4
        .value_kind:     by_value
      - .offset:         124
        .size:           4
        .value_kind:     by_value
      - .offset:         128
        .size:           4
        .value_kind:     by_value
      - .offset:         132
        .size:           4
        .value_kind:     by_value
      - .offset:         136
        .size:           4
        .value_kind:     by_value
      - .offset:         140
        .size:           4
        .value_kind:     by_value
      - .offset:         144
        .size:           4
        .value_kind:     by_value
      - .offset:         152
        .size:           8
        .value_kind:     by_value
      - .offset:         160
        .size:           4
        .value_kind:     by_value
      - .offset:         164
        .size:           4
        .value_kind:     by_value
      - .offset:         168
        .size:           8
        .value_kind:     by_value
      - .offset:         176
        .size:           4
        .value_kind:     by_value
      - .offset:         180
        .size:           4
        .value_kind:     by_value
      - .offset:         184
        .size:           4
        .value_kind:     by_value
      - .offset:         188
        .size:           4
        .value_kind:     by_value
      - .offset:         192
        .size:           4
        .value_kind:     by_value
      - .offset:         200
        .size:           8
        .value_kind:     by_value
      - .offset:         208
        .size:           4
        .value_kind:     hidden_block_count_x
      - .offset:         212
        .size:           4
        .value_kind:     hidden_block_count_y
      - .offset:         216
        .size:           4
        .value_kind:     hidden_block_count_z
      - .offset:         220
        .size:           2
        .value_kind:     hidden_group_size_x
      - .offset:         222
        .size:           2
        .value_kind:     hidden_group_size_y
      - .offset:         224
        .size:           2
        .value_kind:     hidden_group_size_z
      - .offset:         226
        .size:           2
        .value_kind:     hidden_remainder_x
      - .offset:         228
        .size:           2
        .value_kind:     hidden_remainder_y
      - .offset:         230
        .size:           2
        .value_kind:     hidden_remainder_z
      - .offset:         248
        .size:           8
        .value_kind:     hidden_global_offset_x
      - .offset:         256
        .size:           8
        .value_kind:     hidden_global_offset_y
      - .offset:         264
        .size:           8
        .value_kind:     hidden_global_offset_z
      - .offset:         272
        .size:           2
        .value_kind:     hidden_grid_dims
    .group_segment_fixed_size: 25600
    .kernarg_segment_align: 8
    .kernarg_segment_size: 464
    .language:       OpenCL C
    .language_version:
      - 2
      - 0
    .max_flat_workgroup_size: 256
    .name:           _ZL15flash_attn_tileILi64ELi64ELi32ELi2ELb0EEvPKcS1_S1_S1_S1_PKiPfP15HIP_vector_typeIfLj2EEffffjfiS5_IjLj3EEiiiiiiiiiiiliiliiiiil
    .private_segment_fixed_size: 0
    .sgpr_count:     50
    .sgpr_spill_count: 0
    .symbol:         _ZL15flash_attn_tileILi64ELi64ELi32ELi2ELb0EEvPKcS1_S1_S1_S1_PKiPfP15HIP_vector_typeIfLj2EEffffjfiS5_IjLj3EEiiiiiiiiiiiliiliiiiil.kd
    .uniform_work_group_size: 1
    .uses_dynamic_stack: false
    .vgpr_count:     158
    .vgpr_spill_count: 0
    .wavefront_size: 64
  - .agpr_count:     0
    .args:
      - .actual_access:  read_only
        .address_space:  global
        .offset:         0
        .size:           8
        .value_kind:     global_buffer
      - .actual_access:  write_only
        .address_space:  global
        .offset:         8
        .size:           8
        .value_kind:     global_buffer
      - .offset:         16
        .size:           4
        .value_kind:     by_value
      - .offset:         20
        .size:           4
        .value_kind:     by_value
      - .offset:         24
        .size:           4
        .value_kind:     by_value
      - .offset:         32
        .size:           4
        .value_kind:     hidden_block_count_x
      - .offset:         36
        .size:           4
        .value_kind:     hidden_block_count_y
      - .offset:         40
        .size:           4
        .value_kind:     hidden_block_count_z
      - .offset:         44
        .size:           2
        .value_kind:     hidden_group_size_x
      - .offset:         46
        .size:           2
        .value_kind:     hidden_group_size_y
      - .offset:         48
        .size:           2
        .value_kind:     hidden_group_size_z
      - .offset:         50
        .size:           2
        .value_kind:     hidden_remainder_x
      - .offset:         52
        .size:           2
        .value_kind:     hidden_remainder_y
      - .offset:         54
        .size:           2
        .value_kind:     hidden_remainder_z
      - .offset:         72
        .size:           8
        .value_kind:     hidden_global_offset_x
      - .offset:         80
        .size:           8
        .value_kind:     hidden_global_offset_y
      - .offset:         88
        .size:           8
        .value_kind:     hidden_global_offset_z
      - .offset:         96
        .size:           2
        .value_kind:     hidden_grid_dims
    .group_segment_fixed_size: 128
    .kernarg_segment_align: 8
    .kernarg_segment_size: 288
    .language:       OpenCL C
    .language_version:
      - 2
      - 0
    .max_flat_workgroup_size: 128
    .name:           _ZL25flash_attn_mask_to_KV_maxILi32EEvPK7__half2Piiii
    .private_segment_fixed_size: 0
    .sgpr_count:     106
    .sgpr_spill_count: 42
    .symbol:         _ZL25flash_attn_mask_to_KV_maxILi32EEvPK7__half2Piiii.kd
    .uniform_work_group_size: 1
    .uses_dynamic_stack: false
    .vgpr_count:     13
    .vgpr_spill_count: 0
    .wavefront_size: 64
  - .agpr_count:     0
    .args:
      - .address_space:  global
        .offset:         0
        .size:           8
        .value_kind:     global_buffer
      - .address_space:  global
        .offset:         8
        .size:           8
        .value_kind:     global_buffer
      - .offset:         16
        .size:           4
        .value_kind:     by_value
      - .offset:         20
        .size:           4
        .value_kind:     by_value
      - .offset:         24
        .size:           4
        .value_kind:     by_value
      - .offset:         28
        .size:           4
        .value_kind:     by_value
      - .offset:         32
        .size:           4
        .value_kind:     by_value
      - .offset:         36
        .size:           4
        .value_kind:     by_value
      - .offset:         40
        .size:           12
        .value_kind:     by_value
      - .offset:         52
        .size:           12
        .value_kind:     by_value
      - .offset:         64
        .size:           12
        .value_kind:     by_value
    .group_segment_fixed_size: 0
    .kernarg_segment_align: 8
    .kernarg_segment_size: 76
    .language:       OpenCL C
    .language_version:
      - 2
      - 0
    .max_flat_workgroup_size: 64
    .name:           _ZL33flash_attn_stream_k_fixup_uniformILi64ELi32ELi2EEvPfPK15HIP_vector_typeIfLj2EEiiiiiiS1_IjLj3EES5_S5_
    .private_segment_fixed_size: 0
    .sgpr_count:     30
    .sgpr_spill_count: 0
    .symbol:         _ZL33flash_attn_stream_k_fixup_uniformILi64ELi32ELi2EEvPfPK15HIP_vector_typeIfLj2EEiiiiiiS1_IjLj3EES5_S5_.kd
    .uniform_work_group_size: 1
    .uses_dynamic_stack: false
    .vgpr_count:     17
    .vgpr_spill_count: 0
    .wavefront_size: 64
  - .agpr_count:     0
    .args:
      - .address_space:  global
        .offset:         0
        .size:           8
        .value_kind:     global_buffer
      - .address_space:  global
        .offset:         8
        .size:           8
        .value_kind:     global_buffer
      - .offset:         16
        .size:           4
        .value_kind:     by_value
      - .offset:         20
        .size:           4
        .value_kind:     by_value
      - .offset:         24
        .size:           4
        .value_kind:     by_value
      - .offset:         28
        .size:           4
        .value_kind:     by_value
      - .offset:         32
        .size:           12
        .value_kind:     by_value
      - .offset:         44
        .size:           12
        .value_kind:     by_value
      - .offset:         56
        .size:           12
        .value_kind:     by_value
      - .offset:         68
        .size:           12
        .value_kind:     by_value
      - .offset:         80
        .size:           4
        .value_kind:     hidden_block_count_x
      - .offset:         84
        .size:           4
        .value_kind:     hidden_block_count_y
      - .offset:         88
        .size:           4
        .value_kind:     hidden_block_count_z
      - .offset:         92
        .size:           2
        .value_kind:     hidden_group_size_x
      - .offset:         94
        .size:           2
        .value_kind:     hidden_group_size_y
      - .offset:         96
        .size:           2
        .value_kind:     hidden_group_size_z
      - .offset:         98
        .size:           2
        .value_kind:     hidden_remainder_x
      - .offset:         100
        .size:           2
        .value_kind:     hidden_remainder_y
      - .offset:         102
        .size:           2
        .value_kind:     hidden_remainder_z
      - .offset:         120
        .size:           8
        .value_kind:     hidden_global_offset_x
      - .offset:         128
        .size:           8
        .value_kind:     hidden_global_offset_y
      - .offset:         136
        .size:           8
        .value_kind:     hidden_global_offset_z
      - .offset:         144
        .size:           2
        .value_kind:     hidden_grid_dims
    .group_segment_fixed_size: 0
    .kernarg_segment_align: 8
    .kernarg_segment_size: 336
    .language:       OpenCL C
    .language_version:
      - 2
      - 0
    .max_flat_workgroup_size: 64
    .name:           _ZL33flash_attn_stream_k_fixup_generalILi64ELi32ELi2EEvPfPK15HIP_vector_typeIfLj2EEiiiiS1_IjLj3EES5_S5_S5_
    .private_segment_fixed_size: 0
    .sgpr_count:     42
    .sgpr_spill_count: 0
    .symbol:         _ZL33flash_attn_stream_k_fixup_generalILi64ELi32ELi2EEvPfPK15HIP_vector_typeIfLj2EEiiiiS1_IjLj3EES5_S5_S5_.kd
    .uniform_work_group_size: 1
    .uses_dynamic_stack: false
    .vgpr_count:     18
    .vgpr_spill_count: 0
    .wavefront_size: 64
  - .agpr_count:     0
    .args:
      - .address_space:  global
        .offset:         0
        .size:           8
        .value_kind:     global_buffer
      - .address_space:  global
        .offset:         8
        .size:           8
        .value_kind:     global_buffer
      - .address_space:  global
        .offset:         16
        .size:           8
        .value_kind:     global_buffer
      - .address_space:  global
        .offset:         24
        .size:           8
        .value_kind:     global_buffer
      - .address_space:  global
        .offset:         32
        .size:           8
        .value_kind:     global_buffer
      - .address_space:  global
        .offset:         40
        .size:           8
        .value_kind:     global_buffer
      - .address_space:  global
        .offset:         48
        .size:           8
        .value_kind:     global_buffer
      - .address_space:  global
        .offset:         56
        .size:           8
        .value_kind:     global_buffer
      - .offset:         64
        .size:           4
        .value_kind:     by_value
      - .offset:         68
        .size:           4
        .value_kind:     by_value
      - .offset:         72
        .size:           4
        .value_kind:     by_value
      - .offset:         76
        .size:           4
        .value_kind:     by_value
      - .offset:         80
        .size:           4
        .value_kind:     by_value
      - .offset:         84
        .size:           4
        .value_kind:     by_value
      - .offset:         88
        .size:           4
        .value_kind:     by_value
      - .offset:         92
        .size:           12
        .value_kind:     by_value
      - .offset:         104
        .size:           4
        .value_kind:     by_value
      - .offset:         108
        .size:           4
        .value_kind:     by_value
      - .offset:         112
        .size:           4
        .value_kind:     by_value
      - .offset:         116
        .size:           4
        .value_kind:     by_value
      - .offset:         120
        .size:           4
        .value_kind:     by_value
      - .offset:         124
        .size:           4
        .value_kind:     by_value
      - .offset:         128
        .size:           4
        .value_kind:     by_value
      - .offset:         132
        .size:           4
        .value_kind:     by_value
      - .offset:         136
        .size:           4
        .value_kind:     by_value
      - .offset:         140
        .size:           4
        .value_kind:     by_value
      - .offset:         144
        .size:           4
        .value_kind:     by_value
      - .offset:         152
        .size:           8
        .value_kind:     by_value
      - .offset:         160
        .size:           4
        .value_kind:     by_value
      - .offset:         164
        .size:           4
        .value_kind:     by_value
      - .offset:         168
        .size:           8
        .value_kind:     by_value
      - .offset:         176
        .size:           4
        .value_kind:     by_value
      - .offset:         180
        .size:           4
        .value_kind:     by_value
      - .offset:         184
        .size:           4
        .value_kind:     by_value
      - .offset:         188
        .size:           4
        .value_kind:     by_value
      - .offset:         192
        .size:           4
        .value_kind:     by_value
      - .offset:         200
        .size:           8
        .value_kind:     by_value
      - .offset:         208
        .size:           4
        .value_kind:     hidden_block_count_x
      - .offset:         212
        .size:           4
        .value_kind:     hidden_block_count_y
      - .offset:         216
        .size:           4
        .value_kind:     hidden_block_count_z
      - .offset:         220
        .size:           2
        .value_kind:     hidden_group_size_x
      - .offset:         222
        .size:           2
        .value_kind:     hidden_group_size_y
      - .offset:         224
        .size:           2
        .value_kind:     hidden_group_size_z
      - .offset:         226
        .size:           2
        .value_kind:     hidden_remainder_x
      - .offset:         228
        .size:           2
        .value_kind:     hidden_remainder_y
      - .offset:         230
        .size:           2
        .value_kind:     hidden_remainder_z
      - .offset:         248
        .size:           8
        .value_kind:     hidden_global_offset_x
      - .offset:         256
        .size:           8
        .value_kind:     hidden_global_offset_y
      - .offset:         264
        .size:           8
        .value_kind:     hidden_global_offset_z
      - .offset:         272
        .size:           2
        .value_kind:     hidden_grid_dims
    .group_segment_fixed_size: 17408
    .kernarg_segment_align: 8
    .kernarg_segment_size: 464
    .language:       OpenCL C
    .language_version:
      - 2
      - 0
    .max_flat_workgroup_size: 256
    .name:           _ZL15flash_attn_tileILi64ELi64ELi16ELi2ELb0EEvPKcS1_S1_S1_S1_PKiPfP15HIP_vector_typeIfLj2EEffffjfiS5_IjLj3EEiiiiiiiiiiiliiliiiiil
    .private_segment_fixed_size: 0
    .sgpr_count:     50
    .sgpr_spill_count: 0
    .symbol:         _ZL15flash_attn_tileILi64ELi64ELi16ELi2ELb0EEvPKcS1_S1_S1_S1_PKiPfP15HIP_vector_typeIfLj2EEffffjfiS5_IjLj3EEiiiiiiiiiiiliiliiiiil.kd
    .uniform_work_group_size: 1
    .uses_dynamic_stack: false
    .vgpr_count:     88
    .vgpr_spill_count: 0
    .wavefront_size: 64
  - .agpr_count:     0
    .args:
      - .address_space:  global
        .offset:         0
        .size:           8
        .value_kind:     global_buffer
      - .address_space:  global
        .offset:         8
        .size:           8
        .value_kind:     global_buffer
      - .offset:         16
        .size:           4
        .value_kind:     by_value
      - .offset:         20
        .size:           4
        .value_kind:     by_value
      - .offset:         24
        .size:           4
        .value_kind:     by_value
      - .offset:         28
        .size:           4
        .value_kind:     by_value
      - .offset:         32
        .size:           4
        .value_kind:     by_value
      - .offset:         36
        .size:           4
        .value_kind:     by_value
      - .offset:         40
        .size:           12
        .value_kind:     by_value
      - .offset:         52
        .size:           12
        .value_kind:     by_value
      - .offset:         64
        .size:           12
        .value_kind:     by_value
    .group_segment_fixed_size: 0
    .kernarg_segment_align: 8
    .kernarg_segment_size: 76
    .language:       OpenCL C
    .language_version:
      - 2
      - 0
    .max_flat_workgroup_size: 64
    .name:           _ZL33flash_attn_stream_k_fixup_uniformILi64ELi16ELi2EEvPfPK15HIP_vector_typeIfLj2EEiiiiiiS1_IjLj3EES5_S5_
    .private_segment_fixed_size: 0
    .sgpr_count:     30
    .sgpr_spill_count: 0
    .symbol:         _ZL33flash_attn_stream_k_fixup_uniformILi64ELi16ELi2EEvPfPK15HIP_vector_typeIfLj2EEiiiiiiS1_IjLj3EES5_S5_.kd
    .uniform_work_group_size: 1
    .uses_dynamic_stack: false
    .vgpr_count:     17
    .vgpr_spill_count: 0
    .wavefront_size: 64
  - .agpr_count:     0
    .args:
      - .address_space:  global
        .offset:         0
        .size:           8
        .value_kind:     global_buffer
      - .address_space:  global
        .offset:         8
        .size:           8
        .value_kind:     global_buffer
      - .offset:         16
        .size:           4
        .value_kind:     by_value
      - .offset:         20
        .size:           4
        .value_kind:     by_value
      - .offset:         24
        .size:           4
        .value_kind:     by_value
      - .offset:         28
        .size:           4
        .value_kind:     by_value
      - .offset:         32
        .size:           12
        .value_kind:     by_value
      - .offset:         44
        .size:           12
        .value_kind:     by_value
      - .offset:         56
        .size:           12
        .value_kind:     by_value
      - .offset:         68
        .size:           12
        .value_kind:     by_value
      - .offset:         80
        .size:           4
        .value_kind:     hidden_block_count_x
      - .offset:         84
        .size:           4
        .value_kind:     hidden_block_count_y
      - .offset:         88
        .size:           4
        .value_kind:     hidden_block_count_z
      - .offset:         92
        .size:           2
        .value_kind:     hidden_group_size_x
      - .offset:         94
        .size:           2
        .value_kind:     hidden_group_size_y
      - .offset:         96
        .size:           2
        .value_kind:     hidden_group_size_z
      - .offset:         98
        .size:           2
        .value_kind:     hidden_remainder_x
      - .offset:         100
        .size:           2
        .value_kind:     hidden_remainder_y
      - .offset:         102
        .size:           2
        .value_kind:     hidden_remainder_z
      - .offset:         120
        .size:           8
        .value_kind:     hidden_global_offset_x
      - .offset:         128
        .size:           8
        .value_kind:     hidden_global_offset_y
      - .offset:         136
        .size:           8
        .value_kind:     hidden_global_offset_z
      - .offset:         144
        .size:           2
        .value_kind:     hidden_grid_dims
    .group_segment_fixed_size: 0
    .kernarg_segment_align: 8
    .kernarg_segment_size: 336
    .language:       OpenCL C
    .language_version:
      - 2
      - 0
    .max_flat_workgroup_size: 64
    .name:           _ZL33flash_attn_stream_k_fixup_generalILi64ELi16ELi2EEvPfPK15HIP_vector_typeIfLj2EEiiiiS1_IjLj3EES5_S5_S5_
    .private_segment_fixed_size: 0
    .sgpr_count:     42
    .sgpr_spill_count: 0
    .symbol:         _ZL33flash_attn_stream_k_fixup_generalILi64ELi16ELi2EEvPfPK15HIP_vector_typeIfLj2EEiiiiS1_IjLj3EES5_S5_S5_.kd
    .uniform_work_group_size: 1
    .uses_dynamic_stack: false
    .vgpr_count:     18
    .vgpr_spill_count: 0
    .wavefront_size: 64
  - .agpr_count:     0
    .args:
      - .address_space:  global
        .offset:         0
        .size:           8
        .value_kind:     global_buffer
      - .address_space:  global
        .offset:         8
        .size:           8
        .value_kind:     global_buffer
      - .address_space:  global
        .offset:         16
        .size:           8
        .value_kind:     global_buffer
      - .address_space:  global
        .offset:         24
        .size:           8
        .value_kind:     global_buffer
      - .address_space:  global
        .offset:         32
        .size:           8
        .value_kind:     global_buffer
      - .address_space:  global
        .offset:         40
        .size:           8
        .value_kind:     global_buffer
      - .address_space:  global
        .offset:         48
        .size:           8
        .value_kind:     global_buffer
      - .address_space:  global
        .offset:         56
        .size:           8
        .value_kind:     global_buffer
      - .offset:         64
        .size:           4
        .value_kind:     by_value
      - .offset:         68
        .size:           4
        .value_kind:     by_value
      - .offset:         72
        .size:           4
        .value_kind:     by_value
      - .offset:         76
        .size:           4
        .value_kind:     by_value
      - .offset:         80
        .size:           4
        .value_kind:     by_value
      - .offset:         84
        .size:           4
        .value_kind:     by_value
      - .offset:         88
        .size:           4
        .value_kind:     by_value
      - .offset:         92
        .size:           12
        .value_kind:     by_value
      - .offset:         104
        .size:           4
        .value_kind:     by_value
      - .offset:         108
        .size:           4
        .value_kind:     by_value
      - .offset:         112
        .size:           4
        .value_kind:     by_value
      - .offset:         116
        .size:           4
        .value_kind:     by_value
      - .offset:         120
        .size:           4
        .value_kind:     by_value
      - .offset:         124
        .size:           4
        .value_kind:     by_value
      - .offset:         128
        .size:           4
        .value_kind:     by_value
      - .offset:         132
        .size:           4
        .value_kind:     by_value
      - .offset:         136
        .size:           4
        .value_kind:     by_value
      - .offset:         140
        .size:           4
        .value_kind:     by_value
      - .offset:         144
        .size:           4
        .value_kind:     by_value
      - .offset:         152
        .size:           8
        .value_kind:     by_value
      - .offset:         160
        .size:           4
        .value_kind:     by_value
      - .offset:         164
        .size:           4
        .value_kind:     by_value
      - .offset:         168
        .size:           8
        .value_kind:     by_value
      - .offset:         176
        .size:           4
        .value_kind:     by_value
      - .offset:         180
        .size:           4
        .value_kind:     by_value
      - .offset:         184
        .size:           4
        .value_kind:     by_value
      - .offset:         188
        .size:           4
        .value_kind:     by_value
      - .offset:         192
        .size:           4
        .value_kind:     by_value
      - .offset:         200
        .size:           8
        .value_kind:     by_value
      - .offset:         208
        .size:           4
        .value_kind:     hidden_block_count_x
      - .offset:         212
        .size:           4
        .value_kind:     hidden_block_count_y
      - .offset:         216
        .size:           4
        .value_kind:     hidden_block_count_z
      - .offset:         220
        .size:           2
        .value_kind:     hidden_group_size_x
      - .offset:         222
        .size:           2
        .value_kind:     hidden_group_size_y
      - .offset:         224
        .size:           2
        .value_kind:     hidden_group_size_z
      - .offset:         226
        .size:           2
        .value_kind:     hidden_remainder_x
      - .offset:         228
        .size:           2
        .value_kind:     hidden_remainder_y
      - .offset:         230
        .size:           2
        .value_kind:     hidden_remainder_z
      - .offset:         248
        .size:           8
        .value_kind:     hidden_global_offset_x
      - .offset:         256
        .size:           8
        .value_kind:     hidden_global_offset_y
      - .offset:         264
        .size:           8
        .value_kind:     hidden_global_offset_z
      - .offset:         272
        .size:           2
        .value_kind:     hidden_grid_dims
    .group_segment_fixed_size: 24576
    .kernarg_segment_align: 8
    .kernarg_segment_size: 464
    .language:       OpenCL C
    .language_version:
      - 2
      - 0
    .max_flat_workgroup_size: 256
    .name:           _ZL15flash_attn_tileILi64ELi64ELi8ELi2ELb0EEvPKcS1_S1_S1_S1_PKiPfP15HIP_vector_typeIfLj2EEffffjfiS5_IjLj3EEiiiiiiiiiiiliiliiiiil
    .private_segment_fixed_size: 0
    .sgpr_count:     45
    .sgpr_spill_count: 0
    .symbol:         _ZL15flash_attn_tileILi64ELi64ELi8ELi2ELb0EEvPKcS1_S1_S1_S1_PKiPfP15HIP_vector_typeIfLj2EEffffjfiS5_IjLj3EEiiiiiiiiiiiliiliiiiil.kd
    .uniform_work_group_size: 1
    .uses_dynamic_stack: false
    .vgpr_count:     102
    .vgpr_spill_count: 0
    .wavefront_size: 64
  - .agpr_count:     0
    .args:
      - .address_space:  global
        .offset:         0
        .size:           8
        .value_kind:     global_buffer
      - .address_space:  global
        .offset:         8
        .size:           8
        .value_kind:     global_buffer
      - .offset:         16
        .size:           4
        .value_kind:     by_value
      - .offset:         20
        .size:           4
        .value_kind:     by_value
      - .offset:         24
        .size:           4
        .value_kind:     by_value
      - .offset:         28
        .size:           4
        .value_kind:     by_value
      - .offset:         32
        .size:           4
        .value_kind:     by_value
      - .offset:         36
        .size:           4
        .value_kind:     by_value
      - .offset:         40
        .size:           12
        .value_kind:     by_value
      - .offset:         52
        .size:           12
        .value_kind:     by_value
      - .offset:         64
        .size:           12
        .value_kind:     by_value
    .group_segment_fixed_size: 0
    .kernarg_segment_align: 8
    .kernarg_segment_size: 76
    .language:       OpenCL C
    .language_version:
      - 2
      - 0
    .max_flat_workgroup_size: 64
    .name:           _ZL33flash_attn_stream_k_fixup_uniformILi64ELi8ELi2EEvPfPK15HIP_vector_typeIfLj2EEiiiiiiS1_IjLj3EES5_S5_
    .private_segment_fixed_size: 0
    .sgpr_count:     30
    .sgpr_spill_count: 0
    .symbol:         _ZL33flash_attn_stream_k_fixup_uniformILi64ELi8ELi2EEvPfPK15HIP_vector_typeIfLj2EEiiiiiiS1_IjLj3EES5_S5_.kd
    .uniform_work_group_size: 1
    .uses_dynamic_stack: false
    .vgpr_count:     17
    .vgpr_spill_count: 0
    .wavefront_size: 64
  - .agpr_count:     0
    .args:
      - .address_space:  global
        .offset:         0
        .size:           8
        .value_kind:     global_buffer
      - .address_space:  global
        .offset:         8
        .size:           8
        .value_kind:     global_buffer
      - .offset:         16
        .size:           4
        .value_kind:     by_value
      - .offset:         20
        .size:           4
        .value_kind:     by_value
      - .offset:         24
        .size:           4
        .value_kind:     by_value
      - .offset:         28
        .size:           4
        .value_kind:     by_value
      - .offset:         32
        .size:           12
        .value_kind:     by_value
      - .offset:         44
        .size:           12
        .value_kind:     by_value
      - .offset:         56
        .size:           12
        .value_kind:     by_value
      - .offset:         68
        .size:           12
        .value_kind:     by_value
      - .offset:         80
        .size:           4
        .value_kind:     hidden_block_count_x
      - .offset:         84
        .size:           4
        .value_kind:     hidden_block_count_y
      - .offset:         88
        .size:           4
        .value_kind:     hidden_block_count_z
      - .offset:         92
        .size:           2
        .value_kind:     hidden_group_size_x
      - .offset:         94
        .size:           2
        .value_kind:     hidden_group_size_y
      - .offset:         96
        .size:           2
        .value_kind:     hidden_group_size_z
      - .offset:         98
        .size:           2
        .value_kind:     hidden_remainder_x
      - .offset:         100
        .size:           2
        .value_kind:     hidden_remainder_y
      - .offset:         102
        .size:           2
        .value_kind:     hidden_remainder_z
      - .offset:         120
        .size:           8
        .value_kind:     hidden_global_offset_x
      - .offset:         128
        .size:           8
        .value_kind:     hidden_global_offset_y
      - .offset:         136
        .size:           8
        .value_kind:     hidden_global_offset_z
      - .offset:         144
        .size:           2
        .value_kind:     hidden_grid_dims
    .group_segment_fixed_size: 0
    .kernarg_segment_align: 8
    .kernarg_segment_size: 336
    .language:       OpenCL C
    .language_version:
      - 2
      - 0
    .max_flat_workgroup_size: 64
    .name:           _ZL33flash_attn_stream_k_fixup_generalILi64ELi8ELi2EEvPfPK15HIP_vector_typeIfLj2EEiiiiS1_IjLj3EES5_S5_S5_
    .private_segment_fixed_size: 0
    .sgpr_count:     42
    .sgpr_spill_count: 0
    .symbol:         _ZL33flash_attn_stream_k_fixup_generalILi64ELi8ELi2EEvPfPK15HIP_vector_typeIfLj2EEiiiiS1_IjLj3EES5_S5_S5_.kd
    .uniform_work_group_size: 1
    .uses_dynamic_stack: false
    .vgpr_count:     18
    .vgpr_spill_count: 0
    .wavefront_size: 64
  - .agpr_count:     0
    .args:
      - .address_space:  global
        .offset:         0
        .size:           8
        .value_kind:     global_buffer
      - .address_space:  global
        .offset:         8
        .size:           8
        .value_kind:     global_buffer
      - .address_space:  global
        .offset:         16
        .size:           8
        .value_kind:     global_buffer
      - .address_space:  global
        .offset:         24
        .size:           8
        .value_kind:     global_buffer
      - .address_space:  global
        .offset:         32
        .size:           8
        .value_kind:     global_buffer
      - .address_space:  global
        .offset:         40
        .size:           8
        .value_kind:     global_buffer
      - .address_space:  global
        .offset:         48
        .size:           8
        .value_kind:     global_buffer
      - .address_space:  global
        .offset:         56
        .size:           8
        .value_kind:     global_buffer
      - .offset:         64
        .size:           4
        .value_kind:     by_value
      - .offset:         68
        .size:           4
        .value_kind:     by_value
      - .offset:         72
        .size:           4
        .value_kind:     by_value
      - .offset:         76
        .size:           4
        .value_kind:     by_value
      - .offset:         80
        .size:           4
        .value_kind:     by_value
      - .offset:         84
        .size:           4
        .value_kind:     by_value
      - .offset:         88
        .size:           4
        .value_kind:     by_value
      - .offset:         92
        .size:           12
        .value_kind:     by_value
      - .offset:         104
        .size:           4
        .value_kind:     by_value
      - .offset:         108
        .size:           4
        .value_kind:     by_value
      - .offset:         112
        .size:           4
        .value_kind:     by_value
      - .offset:         116
        .size:           4
        .value_kind:     by_value
      - .offset:         120
        .size:           4
        .value_kind:     by_value
      - .offset:         124
        .size:           4
        .value_kind:     by_value
      - .offset:         128
        .size:           4
        .value_kind:     by_value
      - .offset:         132
        .size:           4
        .value_kind:     by_value
      - .offset:         136
        .size:           4
        .value_kind:     by_value
      - .offset:         140
        .size:           4
        .value_kind:     by_value
      - .offset:         144
        .size:           4
        .value_kind:     by_value
      - .offset:         152
        .size:           8
        .value_kind:     by_value
      - .offset:         160
        .size:           4
        .value_kind:     by_value
      - .offset:         164
        .size:           4
        .value_kind:     by_value
      - .offset:         168
        .size:           8
        .value_kind:     by_value
      - .offset:         176
        .size:           4
        .value_kind:     by_value
      - .offset:         180
        .size:           4
        .value_kind:     by_value
      - .offset:         184
        .size:           4
        .value_kind:     by_value
      - .offset:         188
        .size:           4
        .value_kind:     by_value
      - .offset:         192
        .size:           4
        .value_kind:     by_value
      - .offset:         200
        .size:           8
        .value_kind:     by_value
      - .offset:         208
        .size:           4
        .value_kind:     hidden_block_count_x
      - .offset:         212
        .size:           4
        .value_kind:     hidden_block_count_y
      - .offset:         216
        .size:           4
        .value_kind:     hidden_block_count_z
      - .offset:         220
        .size:           2
        .value_kind:     hidden_group_size_x
      - .offset:         222
        .size:           2
        .value_kind:     hidden_group_size_y
      - .offset:         224
        .size:           2
        .value_kind:     hidden_group_size_z
      - .offset:         226
        .size:           2
        .value_kind:     hidden_remainder_x
      - .offset:         228
        .size:           2
        .value_kind:     hidden_remainder_y
      - .offset:         230
        .size:           2
        .value_kind:     hidden_remainder_z
      - .offset:         248
        .size:           8
        .value_kind:     hidden_global_offset_x
      - .offset:         256
        .size:           8
        .value_kind:     hidden_global_offset_y
      - .offset:         264
        .size:           8
        .value_kind:     hidden_global_offset_z
      - .offset:         272
        .size:           2
        .value_kind:     hidden_grid_dims
    .group_segment_fixed_size: 6144
    .kernarg_segment_align: 8
    .kernarg_segment_size: 464
    .language:       OpenCL C
    .language_version:
      - 2
      - 0
    .max_flat_workgroup_size: 128
    .name:           _ZL15flash_attn_tileILi64ELi64ELi4ELi2ELb0EEvPKcS1_S1_S1_S1_PKiPfP15HIP_vector_typeIfLj2EEffffjfiS5_IjLj3EEiiiiiiiiiiiliiliiiiil
    .private_segment_fixed_size: 0
    .sgpr_count:     45
    .sgpr_spill_count: 0
    .symbol:         _ZL15flash_attn_tileILi64ELi64ELi4ELi2ELb0EEvPKcS1_S1_S1_S1_PKiPfP15HIP_vector_typeIfLj2EEffffjfiS5_IjLj3EEiiiiiiiiiiiliiliiiiil.kd
    .uniform_work_group_size: 1
    .uses_dynamic_stack: false
    .vgpr_count:     137
    .vgpr_spill_count: 0
    .wavefront_size: 64
  - .agpr_count:     0
    .args:
      - .address_space:  global
        .offset:         0
        .size:           8
        .value_kind:     global_buffer
      - .address_space:  global
        .offset:         8
        .size:           8
        .value_kind:     global_buffer
      - .offset:         16
        .size:           4
        .value_kind:     by_value
      - .offset:         20
        .size:           4
        .value_kind:     by_value
      - .offset:         24
        .size:           4
        .value_kind:     by_value
      - .offset:         28
        .size:           4
        .value_kind:     by_value
      - .offset:         32
        .size:           4
        .value_kind:     by_value
      - .offset:         36
        .size:           4
        .value_kind:     by_value
      - .offset:         40
        .size:           12
        .value_kind:     by_value
      - .offset:         52
        .size:           12
        .value_kind:     by_value
      - .offset:         64
        .size:           12
        .value_kind:     by_value
    .group_segment_fixed_size: 0
    .kernarg_segment_align: 8
    .kernarg_segment_size: 76
    .language:       OpenCL C
    .language_version:
      - 2
      - 0
    .max_flat_workgroup_size: 64
    .name:           _ZL33flash_attn_stream_k_fixup_uniformILi64ELi4ELi2EEvPfPK15HIP_vector_typeIfLj2EEiiiiiiS1_IjLj3EES5_S5_
    .private_segment_fixed_size: 0
    .sgpr_count:     30
    .sgpr_spill_count: 0
    .symbol:         _ZL33flash_attn_stream_k_fixup_uniformILi64ELi4ELi2EEvPfPK15HIP_vector_typeIfLj2EEiiiiiiS1_IjLj3EES5_S5_.kd
    .uniform_work_group_size: 1
    .uses_dynamic_stack: false
    .vgpr_count:     17
    .vgpr_spill_count: 0
    .wavefront_size: 64
  - .agpr_count:     0
    .args:
      - .address_space:  global
        .offset:         0
        .size:           8
        .value_kind:     global_buffer
      - .address_space:  global
        .offset:         8
        .size:           8
        .value_kind:     global_buffer
      - .offset:         16
        .size:           4
        .value_kind:     by_value
      - .offset:         20
        .size:           4
        .value_kind:     by_value
      - .offset:         24
        .size:           4
        .value_kind:     by_value
      - .offset:         28
        .size:           4
        .value_kind:     by_value
      - .offset:         32
        .size:           12
        .value_kind:     by_value
      - .offset:         44
        .size:           12
        .value_kind:     by_value
      - .offset:         56
        .size:           12
        .value_kind:     by_value
      - .offset:         68
        .size:           12
        .value_kind:     by_value
      - .offset:         80
        .size:           4
        .value_kind:     hidden_block_count_x
      - .offset:         84
        .size:           4
        .value_kind:     hidden_block_count_y
      - .offset:         88
        .size:           4
        .value_kind:     hidden_block_count_z
      - .offset:         92
        .size:           2
        .value_kind:     hidden_group_size_x
      - .offset:         94
        .size:           2
        .value_kind:     hidden_group_size_y
      - .offset:         96
        .size:           2
        .value_kind:     hidden_group_size_z
      - .offset:         98
        .size:           2
        .value_kind:     hidden_remainder_x
      - .offset:         100
        .size:           2
        .value_kind:     hidden_remainder_y
      - .offset:         102
        .size:           2
        .value_kind:     hidden_remainder_z
      - .offset:         120
        .size:           8
        .value_kind:     hidden_global_offset_x
      - .offset:         128
        .size:           8
        .value_kind:     hidden_global_offset_y
      - .offset:         136
        .size:           8
        .value_kind:     hidden_global_offset_z
      - .offset:         144
        .size:           2
        .value_kind:     hidden_grid_dims
    .group_segment_fixed_size: 0
    .kernarg_segment_align: 8
    .kernarg_segment_size: 336
    .language:       OpenCL C
    .language_version:
      - 2
      - 0
    .max_flat_workgroup_size: 64
    .name:           _ZL33flash_attn_stream_k_fixup_generalILi64ELi4ELi2EEvPfPK15HIP_vector_typeIfLj2EEiiiiS1_IjLj3EES5_S5_S5_
    .private_segment_fixed_size: 0
    .sgpr_count:     42
    .sgpr_spill_count: 0
    .symbol:         _ZL33flash_attn_stream_k_fixup_generalILi64ELi4ELi2EEvPfPK15HIP_vector_typeIfLj2EEiiiiS1_IjLj3EES5_S5_S5_.kd
    .uniform_work_group_size: 1
    .uses_dynamic_stack: false
    .vgpr_count:     18
    .vgpr_spill_count: 0
    .wavefront_size: 64
  - .agpr_count:     0
    .args:
      - .address_space:  global
        .offset:         0
        .size:           8
        .value_kind:     global_buffer
      - .address_space:  global
        .offset:         8
        .size:           8
        .value_kind:     global_buffer
      - .address_space:  global
        .offset:         16
        .size:           8
        .value_kind:     global_buffer
      - .address_space:  global
        .offset:         24
        .size:           8
        .value_kind:     global_buffer
      - .address_space:  global
        .offset:         32
        .size:           8
        .value_kind:     global_buffer
      - .address_space:  global
        .offset:         40
        .size:           8
        .value_kind:     global_buffer
      - .address_space:  global
        .offset:         48
        .size:           8
        .value_kind:     global_buffer
      - .address_space:  global
        .offset:         56
        .size:           8
        .value_kind:     global_buffer
      - .offset:         64
        .size:           4
        .value_kind:     by_value
      - .offset:         68
        .size:           4
        .value_kind:     by_value
      - .offset:         72
        .size:           4
        .value_kind:     by_value
      - .offset:         76
        .size:           4
        .value_kind:     by_value
      - .offset:         80
        .size:           4
        .value_kind:     by_value
      - .offset:         84
        .size:           4
        .value_kind:     by_value
      - .offset:         88
        .size:           4
        .value_kind:     by_value
      - .offset:         92
        .size:           12
        .value_kind:     by_value
      - .offset:         104
        .size:           4
        .value_kind:     by_value
      - .offset:         108
        .size:           4
        .value_kind:     by_value
      - .offset:         112
        .size:           4
        .value_kind:     by_value
      - .offset:         116
        .size:           4
        .value_kind:     by_value
      - .offset:         120
        .size:           4
        .value_kind:     by_value
      - .offset:         124
        .size:           4
        .value_kind:     by_value
      - .offset:         128
        .size:           4
        .value_kind:     by_value
      - .offset:         132
        .size:           4
        .value_kind:     by_value
      - .offset:         136
        .size:           4
        .value_kind:     by_value
      - .offset:         140
        .size:           4
        .value_kind:     by_value
      - .offset:         144
        .size:           4
        .value_kind:     by_value
      - .offset:         152
        .size:           8
        .value_kind:     by_value
      - .offset:         160
        .size:           4
        .value_kind:     by_value
      - .offset:         164
        .size:           4
        .value_kind:     by_value
      - .offset:         168
        .size:           8
        .value_kind:     by_value
      - .offset:         176
        .size:           4
        .value_kind:     by_value
      - .offset:         180
        .size:           4
        .value_kind:     by_value
      - .offset:         184
        .size:           4
        .value_kind:     by_value
      - .offset:         188
        .size:           4
        .value_kind:     by_value
      - .offset:         192
        .size:           4
        .value_kind:     by_value
      - .offset:         200
        .size:           8
        .value_kind:     by_value
      - .offset:         208
        .size:           4
        .value_kind:     hidden_block_count_x
      - .offset:         212
        .size:           4
        .value_kind:     hidden_block_count_y
      - .offset:         216
        .size:           4
        .value_kind:     hidden_block_count_z
      - .offset:         220
        .size:           2
        .value_kind:     hidden_group_size_x
      - .offset:         222
        .size:           2
        .value_kind:     hidden_group_size_y
      - .offset:         224
        .size:           2
        .value_kind:     hidden_group_size_z
      - .offset:         226
        .size:           2
        .value_kind:     hidden_remainder_x
      - .offset:         228
        .size:           2
        .value_kind:     hidden_remainder_y
      - .offset:         230
        .size:           2
        .value_kind:     hidden_remainder_z
      - .offset:         248
        .size:           8
        .value_kind:     hidden_global_offset_x
      - .offset:         256
        .size:           8
        .value_kind:     hidden_global_offset_y
      - .offset:         264
        .size:           8
        .value_kind:     hidden_global_offset_z
      - .offset:         272
        .size:           2
        .value_kind:     hidden_grid_dims
    .group_segment_fixed_size: 10240
    .kernarg_segment_align: 8
    .kernarg_segment_size: 464
    .language:       OpenCL C
    .language_version:
      - 2
      - 0
    .max_flat_workgroup_size: 128
    .name:           _ZL15flash_attn_tileILi64ELi64ELi2ELi2ELb0EEvPKcS1_S1_S1_S1_PKiPfP15HIP_vector_typeIfLj2EEffffjfiS5_IjLj3EEiiiiiiiiiiiliiliiiiil
    .private_segment_fixed_size: 0
    .sgpr_count:     46
    .sgpr_spill_count: 0
    .symbol:         _ZL15flash_attn_tileILi64ELi64ELi2ELi2ELb0EEvPKcS1_S1_S1_S1_PKiPfP15HIP_vector_typeIfLj2EEffffjfiS5_IjLj3EEiiiiiiiiiiiliiliiiiil.kd
    .uniform_work_group_size: 1
    .uses_dynamic_stack: false
    .vgpr_count:     154
    .vgpr_spill_count: 0
    .wavefront_size: 64
  - .agpr_count:     0
    .args:
      - .address_space:  global
        .offset:         0
        .size:           8
        .value_kind:     global_buffer
      - .address_space:  global
        .offset:         8
        .size:           8
        .value_kind:     global_buffer
      - .offset:         16
        .size:           4
        .value_kind:     by_value
      - .offset:         20
        .size:           4
        .value_kind:     by_value
      - .offset:         24
        .size:           4
        .value_kind:     by_value
      - .offset:         28
        .size:           4
        .value_kind:     by_value
      - .offset:         32
        .size:           4
        .value_kind:     by_value
      - .offset:         36
        .size:           4
        .value_kind:     by_value
      - .offset:         40
        .size:           12
        .value_kind:     by_value
      - .offset:         52
        .size:           12
        .value_kind:     by_value
      - .offset:         64
        .size:           12
        .value_kind:     by_value
    .group_segment_fixed_size: 0
    .kernarg_segment_align: 8
    .kernarg_segment_size: 76
    .language:       OpenCL C
    .language_version:
      - 2
      - 0
    .max_flat_workgroup_size: 64
    .name:           _ZL33flash_attn_stream_k_fixup_uniformILi64ELi2ELi2EEvPfPK15HIP_vector_typeIfLj2EEiiiiiiS1_IjLj3EES5_S5_
    .private_segment_fixed_size: 0
    .sgpr_count:     30
    .sgpr_spill_count: 0
    .symbol:         _ZL33flash_attn_stream_k_fixup_uniformILi64ELi2ELi2EEvPfPK15HIP_vector_typeIfLj2EEiiiiiiS1_IjLj3EES5_S5_.kd
    .uniform_work_group_size: 1
    .uses_dynamic_stack: false
    .vgpr_count:     17
    .vgpr_spill_count: 0
    .wavefront_size: 64
  - .agpr_count:     0
    .args:
      - .address_space:  global
        .offset:         0
        .size:           8
        .value_kind:     global_buffer
      - .address_space:  global
        .offset:         8
        .size:           8
        .value_kind:     global_buffer
      - .offset:         16
        .size:           4
        .value_kind:     by_value
      - .offset:         20
        .size:           4
        .value_kind:     by_value
      - .offset:         24
        .size:           4
        .value_kind:     by_value
      - .offset:         28
        .size:           4
        .value_kind:     by_value
      - .offset:         32
        .size:           12
        .value_kind:     by_value
      - .offset:         44
        .size:           12
        .value_kind:     by_value
      - .offset:         56
        .size:           12
        .value_kind:     by_value
      - .offset:         68
        .size:           12
        .value_kind:     by_value
      - .offset:         80
        .size:           4
        .value_kind:     hidden_block_count_x
      - .offset:         84
        .size:           4
        .value_kind:     hidden_block_count_y
      - .offset:         88
        .size:           4
        .value_kind:     hidden_block_count_z
      - .offset:         92
        .size:           2
        .value_kind:     hidden_group_size_x
      - .offset:         94
        .size:           2
        .value_kind:     hidden_group_size_y
      - .offset:         96
        .size:           2
        .value_kind:     hidden_group_size_z
      - .offset:         98
        .size:           2
        .value_kind:     hidden_remainder_x
      - .offset:         100
        .size:           2
        .value_kind:     hidden_remainder_y
      - .offset:         102
        .size:           2
        .value_kind:     hidden_remainder_z
      - .offset:         120
        .size:           8
        .value_kind:     hidden_global_offset_x
      - .offset:         128
        .size:           8
        .value_kind:     hidden_global_offset_y
      - .offset:         136
        .size:           8
        .value_kind:     hidden_global_offset_z
      - .offset:         144
        .size:           2
        .value_kind:     hidden_grid_dims
    .group_segment_fixed_size: 0
    .kernarg_segment_align: 8
    .kernarg_segment_size: 336
    .language:       OpenCL C
    .language_version:
      - 2
      - 0
    .max_flat_workgroup_size: 64
    .name:           _ZL33flash_attn_stream_k_fixup_generalILi64ELi2ELi2EEvPfPK15HIP_vector_typeIfLj2EEiiiiS1_IjLj3EES5_S5_S5_
    .private_segment_fixed_size: 0
    .sgpr_count:     42
    .sgpr_spill_count: 0
    .symbol:         _ZL33flash_attn_stream_k_fixup_generalILi64ELi2ELi2EEvPfPK15HIP_vector_typeIfLj2EEiiiiS1_IjLj3EES5_S5_S5_.kd
    .uniform_work_group_size: 1
    .uses_dynamic_stack: false
    .vgpr_count:     18
    .vgpr_spill_count: 0
    .wavefront_size: 64
  - .agpr_count:     0
    .args:
      - .address_space:  global
        .offset:         0
        .size:           8
        .value_kind:     global_buffer
      - .address_space:  global
        .offset:         8
        .size:           8
        .value_kind:     global_buffer
      - .address_space:  global
        .offset:         16
        .size:           8
        .value_kind:     global_buffer
      - .address_space:  global
        .offset:         24
        .size:           8
        .value_kind:     global_buffer
      - .address_space:  global
        .offset:         32
        .size:           8
        .value_kind:     global_buffer
      - .address_space:  global
        .offset:         40
        .size:           8
        .value_kind:     global_buffer
      - .address_space:  global
        .offset:         48
        .size:           8
        .value_kind:     global_buffer
      - .address_space:  global
        .offset:         56
        .size:           8
        .value_kind:     global_buffer
      - .offset:         64
        .size:           4
        .value_kind:     by_value
      - .offset:         68
        .size:           4
        .value_kind:     by_value
      - .offset:         72
        .size:           4
        .value_kind:     by_value
      - .offset:         76
        .size:           4
        .value_kind:     by_value
      - .offset:         80
        .size:           4
        .value_kind:     by_value
      - .offset:         84
        .size:           4
        .value_kind:     by_value
      - .offset:         88
        .size:           4
        .value_kind:     by_value
      - .offset:         92
        .size:           12
        .value_kind:     by_value
      - .offset:         104
        .size:           4
        .value_kind:     by_value
      - .offset:         108
        .size:           4
        .value_kind:     by_value
      - .offset:         112
        .size:           4
        .value_kind:     by_value
      - .offset:         116
        .size:           4
        .value_kind:     by_value
      - .offset:         120
        .size:           4
        .value_kind:     by_value
      - .offset:         124
        .size:           4
        .value_kind:     by_value
      - .offset:         128
        .size:           4
        .value_kind:     by_value
      - .offset:         132
        .size:           4
        .value_kind:     by_value
      - .offset:         136
        .size:           4
        .value_kind:     by_value
      - .offset:         140
        .size:           4
        .value_kind:     by_value
      - .offset:         144
        .size:           4
        .value_kind:     by_value
      - .offset:         152
        .size:           8
        .value_kind:     by_value
      - .offset:         160
        .size:           4
        .value_kind:     by_value
      - .offset:         164
        .size:           4
        .value_kind:     by_value
      - .offset:         168
        .size:           8
        .value_kind:     by_value
      - .offset:         176
        .size:           4
        .value_kind:     by_value
      - .offset:         180
        .size:           4
        .value_kind:     by_value
      - .offset:         184
        .size:           4
        .value_kind:     by_value
      - .offset:         188
        .size:           4
        .value_kind:     by_value
      - .offset:         192
        .size:           4
        .value_kind:     by_value
      - .offset:         200
        .size:           8
        .value_kind:     by_value
      - .offset:         208
        .size:           4
        .value_kind:     hidden_block_count_x
      - .offset:         212
        .size:           4
        .value_kind:     hidden_block_count_y
      - .offset:         216
        .size:           4
        .value_kind:     hidden_block_count_z
      - .offset:         220
        .size:           2
        .value_kind:     hidden_group_size_x
      - .offset:         222
        .size:           2
        .value_kind:     hidden_group_size_y
      - .offset:         224
        .size:           2
        .value_kind:     hidden_group_size_z
      - .offset:         226
        .size:           2
        .value_kind:     hidden_remainder_x
      - .offset:         228
        .size:           2
        .value_kind:     hidden_remainder_y
      - .offset:         230
        .size:           2
        .value_kind:     hidden_remainder_z
      - .offset:         248
        .size:           8
        .value_kind:     hidden_global_offset_x
      - .offset:         256
        .size:           8
        .value_kind:     hidden_global_offset_y
      - .offset:         264
        .size:           8
        .value_kind:     hidden_global_offset_z
      - .offset:         272
        .size:           2
        .value_kind:     hidden_grid_dims
    .group_segment_fixed_size: 4992
    .kernarg_segment_align: 8
    .kernarg_segment_size: 464
    .language:       OpenCL C
    .language_version:
      - 2
      - 0
    .max_flat_workgroup_size: 64
    .name:           _ZL15flash_attn_tileILi64ELi64ELi1ELi2ELb0EEvPKcS1_S1_S1_S1_PKiPfP15HIP_vector_typeIfLj2EEffffjfiS5_IjLj3EEiiiiiiiiiiiliiliiiiil
    .private_segment_fixed_size: 0
    .sgpr_count:     46
    .sgpr_spill_count: 0
    .symbol:         _ZL15flash_attn_tileILi64ELi64ELi1ELi2ELb0EEvPKcS1_S1_S1_S1_PKiPfP15HIP_vector_typeIfLj2EEffffjfiS5_IjLj3EEiiiiiiiiiiiliiliiiiil.kd
    .uniform_work_group_size: 1
    .uses_dynamic_stack: false
    .vgpr_count:     106
    .vgpr_spill_count: 0
    .wavefront_size: 64
  - .agpr_count:     0
    .args:
      - .address_space:  global
        .offset:         0
        .size:           8
        .value_kind:     global_buffer
      - .address_space:  global
        .offset:         8
        .size:           8
        .value_kind:     global_buffer
      - .offset:         16
        .size:           4
        .value_kind:     by_value
      - .offset:         20
        .size:           4
        .value_kind:     by_value
      - .offset:         24
        .size:           4
        .value_kind:     by_value
      - .offset:         28
        .size:           4
        .value_kind:     by_value
      - .offset:         32
        .size:           4
        .value_kind:     by_value
      - .offset:         36
        .size:           4
        .value_kind:     by_value
      - .offset:         40
        .size:           12
        .value_kind:     by_value
      - .offset:         52
        .size:           12
        .value_kind:     by_value
      - .offset:         64
        .size:           12
        .value_kind:     by_value
    .group_segment_fixed_size: 0
    .kernarg_segment_align: 8
    .kernarg_segment_size: 76
    .language:       OpenCL C
    .language_version:
      - 2
      - 0
    .max_flat_workgroup_size: 64
    .name:           _ZL33flash_attn_stream_k_fixup_uniformILi64ELi1ELi2EEvPfPK15HIP_vector_typeIfLj2EEiiiiiiS1_IjLj3EES5_S5_
    .private_segment_fixed_size: 0
    .sgpr_count:     26
    .sgpr_spill_count: 0
    .symbol:         _ZL33flash_attn_stream_k_fixup_uniformILi64ELi1ELi2EEvPfPK15HIP_vector_typeIfLj2EEiiiiiiS1_IjLj3EES5_S5_.kd
    .uniform_work_group_size: 1
    .uses_dynamic_stack: false
    .vgpr_count:     17
    .vgpr_spill_count: 0
    .wavefront_size: 64
  - .agpr_count:     0
    .args:
      - .address_space:  global
        .offset:         0
        .size:           8
        .value_kind:     global_buffer
      - .address_space:  global
        .offset:         8
        .size:           8
        .value_kind:     global_buffer
      - .offset:         16
        .size:           4
        .value_kind:     by_value
      - .offset:         20
        .size:           4
        .value_kind:     by_value
      - .offset:         24
        .size:           4
        .value_kind:     by_value
      - .offset:         28
        .size:           4
        .value_kind:     by_value
      - .offset:         32
        .size:           12
        .value_kind:     by_value
      - .offset:         44
        .size:           12
        .value_kind:     by_value
      - .offset:         56
        .size:           12
        .value_kind:     by_value
      - .offset:         68
        .size:           12
        .value_kind:     by_value
      - .offset:         80
        .size:           4
        .value_kind:     hidden_block_count_x
      - .offset:         84
        .size:           4
        .value_kind:     hidden_block_count_y
      - .offset:         88
        .size:           4
        .value_kind:     hidden_block_count_z
      - .offset:         92
        .size:           2
        .value_kind:     hidden_group_size_x
      - .offset:         94
        .size:           2
        .value_kind:     hidden_group_size_y
      - .offset:         96
        .size:           2
        .value_kind:     hidden_group_size_z
      - .offset:         98
        .size:           2
        .value_kind:     hidden_remainder_x
      - .offset:         100
        .size:           2
        .value_kind:     hidden_remainder_y
      - .offset:         102
        .size:           2
        .value_kind:     hidden_remainder_z
      - .offset:         120
        .size:           8
        .value_kind:     hidden_global_offset_x
      - .offset:         128
        .size:           8
        .value_kind:     hidden_global_offset_y
      - .offset:         136
        .size:           8
        .value_kind:     hidden_global_offset_z
      - .offset:         144
        .size:           2
        .value_kind:     hidden_grid_dims
    .group_segment_fixed_size: 0
    .kernarg_segment_align: 8
    .kernarg_segment_size: 336
    .language:       OpenCL C
    .language_version:
      - 2
      - 0
    .max_flat_workgroup_size: 64
    .name:           _ZL33flash_attn_stream_k_fixup_generalILi64ELi1ELi2EEvPfPK15HIP_vector_typeIfLj2EEiiiiS1_IjLj3EES5_S5_S5_
    .private_segment_fixed_size: 0
    .sgpr_count:     43
    .sgpr_spill_count: 0
    .symbol:         _ZL33flash_attn_stream_k_fixup_generalILi64ELi1ELi2EEvPfPK15HIP_vector_typeIfLj2EEiiiiS1_IjLj3EES5_S5_S5_.kd
    .uniform_work_group_size: 1
    .uses_dynamic_stack: false
    .vgpr_count:     18
    .vgpr_spill_count: 0
    .wavefront_size: 64
  - .agpr_count:     0
    .args:
      - .address_space:  global
        .offset:         0
        .size:           8
        .value_kind:     global_buffer
      - .address_space:  global
        .offset:         8
        .size:           8
        .value_kind:     global_buffer
      - .address_space:  global
        .offset:         16
        .size:           8
        .value_kind:     global_buffer
      - .address_space:  global
        .offset:         24
        .size:           8
        .value_kind:     global_buffer
      - .address_space:  global
        .offset:         32
        .size:           8
        .value_kind:     global_buffer
      - .address_space:  global
        .offset:         40
        .size:           8
        .value_kind:     global_buffer
      - .address_space:  global
        .offset:         48
        .size:           8
        .value_kind:     global_buffer
      - .address_space:  global
        .offset:         56
        .size:           8
        .value_kind:     global_buffer
      - .offset:         64
        .size:           4
        .value_kind:     by_value
      - .offset:         68
        .size:           4
        .value_kind:     by_value
      - .offset:         72
        .size:           4
        .value_kind:     by_value
      - .offset:         76
        .size:           4
        .value_kind:     by_value
      - .offset:         80
        .size:           4
        .value_kind:     by_value
      - .offset:         84
        .size:           4
        .value_kind:     by_value
      - .offset:         88
        .size:           4
        .value_kind:     by_value
      - .offset:         92
        .size:           12
        .value_kind:     by_value
      - .offset:         104
        .size:           4
        .value_kind:     by_value
      - .offset:         108
        .size:           4
        .value_kind:     by_value
      - .offset:         112
        .size:           4
        .value_kind:     by_value
      - .offset:         116
        .size:           4
        .value_kind:     by_value
      - .offset:         120
        .size:           4
        .value_kind:     by_value
      - .offset:         124
        .size:           4
        .value_kind:     by_value
      - .offset:         128
        .size:           4
        .value_kind:     by_value
      - .offset:         132
        .size:           4
        .value_kind:     by_value
      - .offset:         136
        .size:           4
        .value_kind:     by_value
      - .offset:         140
        .size:           4
        .value_kind:     by_value
      - .offset:         144
        .size:           4
        .value_kind:     by_value
      - .offset:         152
        .size:           8
        .value_kind:     by_value
      - .offset:         160
        .size:           4
        .value_kind:     by_value
      - .offset:         164
        .size:           4
        .value_kind:     by_value
      - .offset:         168
        .size:           8
        .value_kind:     by_value
      - .offset:         176
        .size:           4
        .value_kind:     by_value
      - .offset:         180
        .size:           4
        .value_kind:     by_value
      - .offset:         184
        .size:           4
        .value_kind:     by_value
      - .offset:         188
        .size:           4
        .value_kind:     by_value
      - .offset:         192
        .size:           4
        .value_kind:     by_value
      - .offset:         200
        .size:           8
        .value_kind:     by_value
      - .offset:         208
        .size:           4
        .value_kind:     hidden_block_count_x
      - .offset:         212
        .size:           4
        .value_kind:     hidden_block_count_y
      - .offset:         216
        .size:           4
        .value_kind:     hidden_block_count_z
      - .offset:         220
        .size:           2
        .value_kind:     hidden_group_size_x
      - .offset:         222
        .size:           2
        .value_kind:     hidden_group_size_y
      - .offset:         224
        .size:           2
        .value_kind:     hidden_group_size_z
      - .offset:         226
        .size:           2
        .value_kind:     hidden_remainder_x
      - .offset:         228
        .size:           2
        .value_kind:     hidden_remainder_y
      - .offset:         230
        .size:           2
        .value_kind:     hidden_remainder_z
      - .offset:         248
        .size:           8
        .value_kind:     hidden_global_offset_x
      - .offset:         256
        .size:           8
        .value_kind:     hidden_global_offset_y
      - .offset:         264
        .size:           8
        .value_kind:     hidden_global_offset_z
      - .offset:         272
        .size:           2
        .value_kind:     hidden_grid_dims
    .group_segment_fixed_size: 25600
    .kernarg_segment_align: 8
    .kernarg_segment_size: 464
    .language:       OpenCL C
    .language_version:
      - 2
      - 0
    .max_flat_workgroup_size: 256
    .name:           _ZL15flash_attn_tileILi64ELi64ELi64ELi1ELb0EEvPKcS1_S1_S1_S1_PKiPfP15HIP_vector_typeIfLj2EEffffjfiS5_IjLj3EEiiiiiiiiiiiliiliiiiil
    .private_segment_fixed_size: 32
    .sgpr_count:     54
    .sgpr_spill_count: 0
    .symbol:         _ZL15flash_attn_tileILi64ELi64ELi64ELi1ELb0EEvPKcS1_S1_S1_S1_PKiPfP15HIP_vector_typeIfLj2EEffffjfiS5_IjLj3EEiiiiiiiiiiiliiliiiiil.kd
    .uniform_work_group_size: 1
    .uses_dynamic_stack: false
    .vgpr_count:     140
    .vgpr_spill_count: 0
    .wavefront_size: 64
  - .agpr_count:     0
    .args:
      - .actual_access:  read_only
        .address_space:  global
        .offset:         0
        .size:           8
        .value_kind:     global_buffer
      - .actual_access:  write_only
        .address_space:  global
        .offset:         8
        .size:           8
        .value_kind:     global_buffer
      - .offset:         16
        .size:           4
        .value_kind:     by_value
      - .offset:         20
        .size:           4
        .value_kind:     by_value
      - .offset:         24
        .size:           4
        .value_kind:     by_value
      - .offset:         32
        .size:           4
        .value_kind:     hidden_block_count_x
      - .offset:         36
        .size:           4
        .value_kind:     hidden_block_count_y
      - .offset:         40
        .size:           4
        .value_kind:     hidden_block_count_z
      - .offset:         44
        .size:           2
        .value_kind:     hidden_group_size_x
      - .offset:         46
        .size:           2
        .value_kind:     hidden_group_size_y
      - .offset:         48
        .size:           2
        .value_kind:     hidden_group_size_z
      - .offset:         50
        .size:           2
        .value_kind:     hidden_remainder_x
      - .offset:         52
        .size:           2
        .value_kind:     hidden_remainder_y
      - .offset:         54
        .size:           2
        .value_kind:     hidden_remainder_z
      - .offset:         72
        .size:           8
        .value_kind:     hidden_global_offset_x
      - .offset:         80
        .size:           8
        .value_kind:     hidden_global_offset_y
      - .offset:         88
        .size:           8
        .value_kind:     hidden_global_offset_z
      - .offset:         96
        .size:           2
        .value_kind:     hidden_grid_dims
    .group_segment_fixed_size: 128
    .kernarg_segment_align: 8
    .kernarg_segment_size: 288
    .language:       OpenCL C
    .language_version:
      - 2
      - 0
    .max_flat_workgroup_size: 128
    .name:           _ZL25flash_attn_mask_to_KV_maxILi64EEvPK7__half2Piiii
    .private_segment_fixed_size: 0
    .sgpr_count:     106
    .sgpr_spill_count: 170
    .symbol:         _ZL25flash_attn_mask_to_KV_maxILi64EEvPK7__half2Piiii.kd
    .uniform_work_group_size: 1
    .uses_dynamic_stack: false
    .vgpr_count:     15
    .vgpr_spill_count: 0
    .wavefront_size: 64
  - .agpr_count:     0
    .args:
      - .address_space:  global
        .offset:         0
        .size:           8
        .value_kind:     global_buffer
      - .address_space:  global
        .offset:         8
        .size:           8
        .value_kind:     global_buffer
      - .offset:         16
        .size:           4
        .value_kind:     by_value
      - .offset:         20
        .size:           4
        .value_kind:     by_value
      - .offset:         24
        .size:           4
        .value_kind:     by_value
      - .offset:         28
        .size:           4
        .value_kind:     by_value
      - .offset:         32
        .size:           4
        .value_kind:     by_value
      - .offset:         36
        .size:           4
        .value_kind:     by_value
      - .offset:         40
        .size:           12
        .value_kind:     by_value
      - .offset:         52
        .size:           12
        .value_kind:     by_value
      - .offset:         64
        .size:           12
        .value_kind:     by_value
    .group_segment_fixed_size: 0
    .kernarg_segment_align: 8
    .kernarg_segment_size: 76
    .language:       OpenCL C
    .language_version:
      - 2
      - 0
    .max_flat_workgroup_size: 64
    .name:           _ZL33flash_attn_stream_k_fixup_uniformILi64ELi64ELi1EEvPfPK15HIP_vector_typeIfLj2EEiiiiiiS1_IjLj3EES5_S5_
    .private_segment_fixed_size: 0
    .sgpr_count:     30
    .sgpr_spill_count: 0
    .symbol:         _ZL33flash_attn_stream_k_fixup_uniformILi64ELi64ELi1EEvPfPK15HIP_vector_typeIfLj2EEiiiiiiS1_IjLj3EES5_S5_.kd
    .uniform_work_group_size: 1
    .uses_dynamic_stack: false
    .vgpr_count:     17
    .vgpr_spill_count: 0
    .wavefront_size: 64
  - .agpr_count:     0
    .args:
      - .address_space:  global
        .offset:         0
        .size:           8
        .value_kind:     global_buffer
      - .address_space:  global
        .offset:         8
        .size:           8
        .value_kind:     global_buffer
      - .offset:         16
        .size:           4
        .value_kind:     by_value
      - .offset:         20
        .size:           4
        .value_kind:     by_value
      - .offset:         24
        .size:           4
        .value_kind:     by_value
      - .offset:         28
        .size:           4
        .value_kind:     by_value
      - .offset:         32
        .size:           12
        .value_kind:     by_value
      - .offset:         44
        .size:           12
        .value_kind:     by_value
      - .offset:         56
        .size:           12
        .value_kind:     by_value
      - .offset:         68
        .size:           12
        .value_kind:     by_value
      - .offset:         80
        .size:           4
        .value_kind:     hidden_block_count_x
      - .offset:         84
        .size:           4
        .value_kind:     hidden_block_count_y
      - .offset:         88
        .size:           4
        .value_kind:     hidden_block_count_z
      - .offset:         92
        .size:           2
        .value_kind:     hidden_group_size_x
      - .offset:         94
        .size:           2
        .value_kind:     hidden_group_size_y
      - .offset:         96
        .size:           2
        .value_kind:     hidden_group_size_z
      - .offset:         98
        .size:           2
        .value_kind:     hidden_remainder_x
      - .offset:         100
        .size:           2
        .value_kind:     hidden_remainder_y
      - .offset:         102
        .size:           2
        .value_kind:     hidden_remainder_z
      - .offset:         120
        .size:           8
        .value_kind:     hidden_global_offset_x
      - .offset:         128
        .size:           8
        .value_kind:     hidden_global_offset_y
      - .offset:         136
        .size:           8
        .value_kind:     hidden_global_offset_z
      - .offset:         144
        .size:           2
        .value_kind:     hidden_grid_dims
    .group_segment_fixed_size: 0
    .kernarg_segment_align: 8
    .kernarg_segment_size: 336
    .language:       OpenCL C
    .language_version:
      - 2
      - 0
    .max_flat_workgroup_size: 64
    .name:           _ZL33flash_attn_stream_k_fixup_generalILi64ELi64ELi1EEvPfPK15HIP_vector_typeIfLj2EEiiiiS1_IjLj3EES5_S5_S5_
    .private_segment_fixed_size: 0
    .sgpr_count:     42
    .sgpr_spill_count: 0
    .symbol:         _ZL33flash_attn_stream_k_fixup_generalILi64ELi64ELi1EEvPfPK15HIP_vector_typeIfLj2EEiiiiS1_IjLj3EES5_S5_S5_.kd
    .uniform_work_group_size: 1
    .uses_dynamic_stack: false
    .vgpr_count:     18
    .vgpr_spill_count: 0
    .wavefront_size: 64
  - .agpr_count:     0
    .args:
      - .address_space:  global
        .offset:         0
        .size:           8
        .value_kind:     global_buffer
      - .address_space:  global
        .offset:         8
        .size:           8
        .value_kind:     global_buffer
      - .address_space:  global
        .offset:         16
        .size:           8
        .value_kind:     global_buffer
      - .address_space:  global
        .offset:         24
        .size:           8
        .value_kind:     global_buffer
      - .address_space:  global
        .offset:         32
        .size:           8
        .value_kind:     global_buffer
      - .address_space:  global
        .offset:         40
        .size:           8
        .value_kind:     global_buffer
      - .address_space:  global
        .offset:         48
        .size:           8
        .value_kind:     global_buffer
      - .address_space:  global
        .offset:         56
        .size:           8
        .value_kind:     global_buffer
      - .offset:         64
        .size:           4
        .value_kind:     by_value
      - .offset:         68
        .size:           4
        .value_kind:     by_value
      - .offset:         72
        .size:           4
        .value_kind:     by_value
      - .offset:         76
        .size:           4
        .value_kind:     by_value
      - .offset:         80
        .size:           4
        .value_kind:     by_value
      - .offset:         84
        .size:           4
        .value_kind:     by_value
      - .offset:         88
        .size:           4
        .value_kind:     by_value
      - .offset:         92
        .size:           12
        .value_kind:     by_value
      - .offset:         104
        .size:           4
        .value_kind:     by_value
      - .offset:         108
        .size:           4
        .value_kind:     by_value
      - .offset:         112
        .size:           4
        .value_kind:     by_value
      - .offset:         116
        .size:           4
        .value_kind:     by_value
      - .offset:         120
        .size:           4
        .value_kind:     by_value
      - .offset:         124
        .size:           4
        .value_kind:     by_value
      - .offset:         128
        .size:           4
        .value_kind:     by_value
      - .offset:         132
        .size:           4
        .value_kind:     by_value
      - .offset:         136
        .size:           4
        .value_kind:     by_value
      - .offset:         140
        .size:           4
        .value_kind:     by_value
      - .offset:         144
        .size:           4
        .value_kind:     by_value
      - .offset:         152
        .size:           8
        .value_kind:     by_value
      - .offset:         160
        .size:           4
        .value_kind:     by_value
      - .offset:         164
        .size:           4
        .value_kind:     by_value
      - .offset:         168
        .size:           8
        .value_kind:     by_value
      - .offset:         176
        .size:           4
        .value_kind:     by_value
      - .offset:         180
        .size:           4
        .value_kind:     by_value
      - .offset:         184
        .size:           4
        .value_kind:     by_value
      - .offset:         188
        .size:           4
        .value_kind:     by_value
      - .offset:         192
        .size:           4
        .value_kind:     by_value
      - .offset:         200
        .size:           8
        .value_kind:     by_value
      - .offset:         208
        .size:           4
        .value_kind:     hidden_block_count_x
      - .offset:         212
        .size:           4
        .value_kind:     hidden_block_count_y
      - .offset:         216
        .size:           4
        .value_kind:     hidden_block_count_z
      - .offset:         220
        .size:           2
        .value_kind:     hidden_group_size_x
      - .offset:         222
        .size:           2
        .value_kind:     hidden_group_size_y
      - .offset:         224
        .size:           2
        .value_kind:     hidden_group_size_z
      - .offset:         226
        .size:           2
        .value_kind:     hidden_remainder_x
      - .offset:         228
        .size:           2
        .value_kind:     hidden_remainder_y
      - .offset:         230
        .size:           2
        .value_kind:     hidden_remainder_z
      - .offset:         248
        .size:           8
        .value_kind:     hidden_global_offset_x
      - .offset:         256
        .size:           8
        .value_kind:     hidden_global_offset_y
      - .offset:         264
        .size:           8
        .value_kind:     hidden_global_offset_z
      - .offset:         272
        .size:           2
        .value_kind:     hidden_grid_dims
    .group_segment_fixed_size: 17408
    .kernarg_segment_align: 8
    .kernarg_segment_size: 464
    .language:       OpenCL C
    .language_version:
      - 2
      - 0
    .max_flat_workgroup_size: 256
    .name:           _ZL15flash_attn_tileILi64ELi64ELi32ELi1ELb0EEvPKcS1_S1_S1_S1_PKiPfP15HIP_vector_typeIfLj2EEffffjfiS5_IjLj3EEiiiiiiiiiiiliiliiiiil
    .private_segment_fixed_size: 32
    .sgpr_count:     54
    .sgpr_spill_count: 0
    .symbol:         _ZL15flash_attn_tileILi64ELi64ELi32ELi1ELb0EEvPKcS1_S1_S1_S1_PKiPfP15HIP_vector_typeIfLj2EEffffjfiS5_IjLj3EEiiiiiiiiiiiliiliiiiil.kd
    .uniform_work_group_size: 1
    .uses_dynamic_stack: false
    .vgpr_count:     88
    .vgpr_spill_count: 0
    .wavefront_size: 64
  - .agpr_count:     0
    .args:
      - .address_space:  global
        .offset:         0
        .size:           8
        .value_kind:     global_buffer
      - .address_space:  global
        .offset:         8
        .size:           8
        .value_kind:     global_buffer
      - .offset:         16
        .size:           4
        .value_kind:     by_value
      - .offset:         20
        .size:           4
        .value_kind:     by_value
      - .offset:         24
        .size:           4
        .value_kind:     by_value
      - .offset:         28
        .size:           4
        .value_kind:     by_value
      - .offset:         32
        .size:           4
        .value_kind:     by_value
      - .offset:         36
        .size:           4
        .value_kind:     by_value
      - .offset:         40
        .size:           12
        .value_kind:     by_value
      - .offset:         52
        .size:           12
        .value_kind:     by_value
      - .offset:         64
        .size:           12
        .value_kind:     by_value
    .group_segment_fixed_size: 0
    .kernarg_segment_align: 8
    .kernarg_segment_size: 76
    .language:       OpenCL C
    .language_version:
      - 2
      - 0
    .max_flat_workgroup_size: 64
    .name:           _ZL33flash_attn_stream_k_fixup_uniformILi64ELi32ELi1EEvPfPK15HIP_vector_typeIfLj2EEiiiiiiS1_IjLj3EES5_S5_
    .private_segment_fixed_size: 0
    .sgpr_count:     30
    .sgpr_spill_count: 0
    .symbol:         _ZL33flash_attn_stream_k_fixup_uniformILi64ELi32ELi1EEvPfPK15HIP_vector_typeIfLj2EEiiiiiiS1_IjLj3EES5_S5_.kd
    .uniform_work_group_size: 1
    .uses_dynamic_stack: false
    .vgpr_count:     17
    .vgpr_spill_count: 0
    .wavefront_size: 64
  - .agpr_count:     0
    .args:
      - .address_space:  global
        .offset:         0
        .size:           8
        .value_kind:     global_buffer
      - .address_space:  global
        .offset:         8
        .size:           8
        .value_kind:     global_buffer
      - .offset:         16
        .size:           4
        .value_kind:     by_value
      - .offset:         20
        .size:           4
        .value_kind:     by_value
      - .offset:         24
        .size:           4
        .value_kind:     by_value
      - .offset:         28
        .size:           4
        .value_kind:     by_value
      - .offset:         32
        .size:           12
        .value_kind:     by_value
      - .offset:         44
        .size:           12
        .value_kind:     by_value
      - .offset:         56
        .size:           12
        .value_kind:     by_value
      - .offset:         68
        .size:           12
        .value_kind:     by_value
      - .offset:         80
        .size:           4
        .value_kind:     hidden_block_count_x
      - .offset:         84
        .size:           4
        .value_kind:     hidden_block_count_y
      - .offset:         88
        .size:           4
        .value_kind:     hidden_block_count_z
      - .offset:         92
        .size:           2
        .value_kind:     hidden_group_size_x
      - .offset:         94
        .size:           2
        .value_kind:     hidden_group_size_y
      - .offset:         96
        .size:           2
        .value_kind:     hidden_group_size_z
      - .offset:         98
        .size:           2
        .value_kind:     hidden_remainder_x
      - .offset:         100
        .size:           2
        .value_kind:     hidden_remainder_y
      - .offset:         102
        .size:           2
        .value_kind:     hidden_remainder_z
      - .offset:         120
        .size:           8
        .value_kind:     hidden_global_offset_x
      - .offset:         128
        .size:           8
        .value_kind:     hidden_global_offset_y
      - .offset:         136
        .size:           8
        .value_kind:     hidden_global_offset_z
      - .offset:         144
        .size:           2
        .value_kind:     hidden_grid_dims
    .group_segment_fixed_size: 0
    .kernarg_segment_align: 8
    .kernarg_segment_size: 336
    .language:       OpenCL C
    .language_version:
      - 2
      - 0
    .max_flat_workgroup_size: 64
    .name:           _ZL33flash_attn_stream_k_fixup_generalILi64ELi32ELi1EEvPfPK15HIP_vector_typeIfLj2EEiiiiS1_IjLj3EES5_S5_S5_
    .private_segment_fixed_size: 0
    .sgpr_count:     42
    .sgpr_spill_count: 0
    .symbol:         _ZL33flash_attn_stream_k_fixup_generalILi64ELi32ELi1EEvPfPK15HIP_vector_typeIfLj2EEiiiiS1_IjLj3EES5_S5_S5_.kd
    .uniform_work_group_size: 1
    .uses_dynamic_stack: false
    .vgpr_count:     18
    .vgpr_spill_count: 0
    .wavefront_size: 64
  - .agpr_count:     0
    .args:
      - .address_space:  global
        .offset:         0
        .size:           8
        .value_kind:     global_buffer
      - .address_space:  global
        .offset:         8
        .size:           8
        .value_kind:     global_buffer
      - .address_space:  global
        .offset:         16
        .size:           8
        .value_kind:     global_buffer
      - .address_space:  global
        .offset:         24
        .size:           8
        .value_kind:     global_buffer
      - .address_space:  global
        .offset:         32
        .size:           8
        .value_kind:     global_buffer
      - .address_space:  global
        .offset:         40
        .size:           8
        .value_kind:     global_buffer
      - .address_space:  global
        .offset:         48
        .size:           8
        .value_kind:     global_buffer
      - .address_space:  global
        .offset:         56
        .size:           8
        .value_kind:     global_buffer
      - .offset:         64
        .size:           4
        .value_kind:     by_value
      - .offset:         68
        .size:           4
        .value_kind:     by_value
      - .offset:         72
        .size:           4
        .value_kind:     by_value
      - .offset:         76
        .size:           4
        .value_kind:     by_value
      - .offset:         80
        .size:           4
        .value_kind:     by_value
      - .offset:         84
        .size:           4
        .value_kind:     by_value
      - .offset:         88
        .size:           4
        .value_kind:     by_value
      - .offset:         92
        .size:           12
        .value_kind:     by_value
      - .offset:         104
        .size:           4
        .value_kind:     by_value
      - .offset:         108
        .size:           4
        .value_kind:     by_value
      - .offset:         112
        .size:           4
        .value_kind:     by_value
      - .offset:         116
        .size:           4
        .value_kind:     by_value
      - .offset:         120
        .size:           4
        .value_kind:     by_value
      - .offset:         124
        .size:           4
        .value_kind:     by_value
      - .offset:         128
        .size:           4
        .value_kind:     by_value
      - .offset:         132
        .size:           4
        .value_kind:     by_value
      - .offset:         136
        .size:           4
        .value_kind:     by_value
      - .offset:         140
        .size:           4
        .value_kind:     by_value
      - .offset:         144
        .size:           4
        .value_kind:     by_value
      - .offset:         152
        .size:           8
        .value_kind:     by_value
      - .offset:         160
        .size:           4
        .value_kind:     by_value
      - .offset:         164
        .size:           4
        .value_kind:     by_value
      - .offset:         168
        .size:           8
        .value_kind:     by_value
      - .offset:         176
        .size:           4
        .value_kind:     by_value
      - .offset:         180
        .size:           4
        .value_kind:     by_value
      - .offset:         184
        .size:           4
        .value_kind:     by_value
      - .offset:         188
        .size:           4
        .value_kind:     by_value
      - .offset:         192
        .size:           4
        .value_kind:     by_value
      - .offset:         200
        .size:           8
        .value_kind:     by_value
      - .offset:         208
        .size:           4
        .value_kind:     hidden_block_count_x
      - .offset:         212
        .size:           4
        .value_kind:     hidden_block_count_y
      - .offset:         216
        .size:           4
        .value_kind:     hidden_block_count_z
      - .offset:         220
        .size:           2
        .value_kind:     hidden_group_size_x
      - .offset:         222
        .size:           2
        .value_kind:     hidden_group_size_y
      - .offset:         224
        .size:           2
        .value_kind:     hidden_group_size_z
      - .offset:         226
        .size:           2
        .value_kind:     hidden_remainder_x
      - .offset:         228
        .size:           2
        .value_kind:     hidden_remainder_y
      - .offset:         230
        .size:           2
        .value_kind:     hidden_remainder_z
      - .offset:         248
        .size:           8
        .value_kind:     hidden_global_offset_x
      - .offset:         256
        .size:           8
        .value_kind:     hidden_global_offset_y
      - .offset:         264
        .size:           8
        .value_kind:     hidden_global_offset_z
      - .offset:         272
        .size:           2
        .value_kind:     hidden_grid_dims
    .group_segment_fixed_size: 24576
    .kernarg_segment_align: 8
    .kernarg_segment_size: 464
    .language:       OpenCL C
    .language_version:
      - 2
      - 0
    .max_flat_workgroup_size: 256
    .name:           _ZL15flash_attn_tileILi64ELi64ELi16ELi1ELb0EEvPKcS1_S1_S1_S1_PKiPfP15HIP_vector_typeIfLj2EEffffjfiS5_IjLj3EEiiiiiiiiiiiliiliiiiil
    .private_segment_fixed_size: 32
    .sgpr_count:     58
    .sgpr_spill_count: 0
    .symbol:         _ZL15flash_attn_tileILi64ELi64ELi16ELi1ELb0EEvPKcS1_S1_S1_S1_PKiPfP15HIP_vector_typeIfLj2EEffffjfiS5_IjLj3EEiiiiiiiiiiiliiliiiiil.kd
    .uniform_work_group_size: 1
    .uses_dynamic_stack: false
    .vgpr_count:     116
    .vgpr_spill_count: 0
    .wavefront_size: 64
  - .agpr_count:     0
    .args:
      - .address_space:  global
        .offset:         0
        .size:           8
        .value_kind:     global_buffer
      - .address_space:  global
        .offset:         8
        .size:           8
        .value_kind:     global_buffer
      - .offset:         16
        .size:           4
        .value_kind:     by_value
      - .offset:         20
        .size:           4
        .value_kind:     by_value
      - .offset:         24
        .size:           4
        .value_kind:     by_value
      - .offset:         28
        .size:           4
        .value_kind:     by_value
      - .offset:         32
        .size:           4
        .value_kind:     by_value
      - .offset:         36
        .size:           4
        .value_kind:     by_value
      - .offset:         40
        .size:           12
        .value_kind:     by_value
      - .offset:         52
        .size:           12
        .value_kind:     by_value
      - .offset:         64
        .size:           12
        .value_kind:     by_value
    .group_segment_fixed_size: 0
    .kernarg_segment_align: 8
    .kernarg_segment_size: 76
    .language:       OpenCL C
    .language_version:
      - 2
      - 0
    .max_flat_workgroup_size: 64
    .name:           _ZL33flash_attn_stream_k_fixup_uniformILi64ELi16ELi1EEvPfPK15HIP_vector_typeIfLj2EEiiiiiiS1_IjLj3EES5_S5_
    .private_segment_fixed_size: 0
    .sgpr_count:     30
    .sgpr_spill_count: 0
    .symbol:         _ZL33flash_attn_stream_k_fixup_uniformILi64ELi16ELi1EEvPfPK15HIP_vector_typeIfLj2EEiiiiiiS1_IjLj3EES5_S5_.kd
    .uniform_work_group_size: 1
    .uses_dynamic_stack: false
    .vgpr_count:     17
    .vgpr_spill_count: 0
    .wavefront_size: 64
  - .agpr_count:     0
    .args:
      - .address_space:  global
        .offset:         0
        .size:           8
        .value_kind:     global_buffer
      - .address_space:  global
        .offset:         8
        .size:           8
        .value_kind:     global_buffer
      - .offset:         16
        .size:           4
        .value_kind:     by_value
      - .offset:         20
        .size:           4
        .value_kind:     by_value
      - .offset:         24
        .size:           4
        .value_kind:     by_value
      - .offset:         28
        .size:           4
        .value_kind:     by_value
      - .offset:         32
        .size:           12
        .value_kind:     by_value
      - .offset:         44
        .size:           12
        .value_kind:     by_value
      - .offset:         56
        .size:           12
        .value_kind:     by_value
      - .offset:         68
        .size:           12
        .value_kind:     by_value
      - .offset:         80
        .size:           4
        .value_kind:     hidden_block_count_x
      - .offset:         84
        .size:           4
        .value_kind:     hidden_block_count_y
      - .offset:         88
        .size:           4
        .value_kind:     hidden_block_count_z
      - .offset:         92
        .size:           2
        .value_kind:     hidden_group_size_x
      - .offset:         94
        .size:           2
        .value_kind:     hidden_group_size_y
      - .offset:         96
        .size:           2
        .value_kind:     hidden_group_size_z
      - .offset:         98
        .size:           2
        .value_kind:     hidden_remainder_x
      - .offset:         100
        .size:           2
        .value_kind:     hidden_remainder_y
      - .offset:         102
        .size:           2
        .value_kind:     hidden_remainder_z
      - .offset:         120
        .size:           8
        .value_kind:     hidden_global_offset_x
      - .offset:         128
        .size:           8
        .value_kind:     hidden_global_offset_y
      - .offset:         136
        .size:           8
        .value_kind:     hidden_global_offset_z
      - .offset:         144
        .size:           2
        .value_kind:     hidden_grid_dims
    .group_segment_fixed_size: 0
    .kernarg_segment_align: 8
    .kernarg_segment_size: 336
    .language:       OpenCL C
    .language_version:
      - 2
      - 0
    .max_flat_workgroup_size: 64
    .name:           _ZL33flash_attn_stream_k_fixup_generalILi64ELi16ELi1EEvPfPK15HIP_vector_typeIfLj2EEiiiiS1_IjLj3EES5_S5_S5_
    .private_segment_fixed_size: 0
    .sgpr_count:     42
    .sgpr_spill_count: 0
    .symbol:         _ZL33flash_attn_stream_k_fixup_generalILi64ELi16ELi1EEvPfPK15HIP_vector_typeIfLj2EEiiiiS1_IjLj3EES5_S5_S5_.kd
    .uniform_work_group_size: 1
    .uses_dynamic_stack: false
    .vgpr_count:     18
    .vgpr_spill_count: 0
    .wavefront_size: 64
  - .agpr_count:     0
    .args:
      - .address_space:  global
        .offset:         0
        .size:           8
        .value_kind:     global_buffer
      - .address_space:  global
        .offset:         8
        .size:           8
        .value_kind:     global_buffer
      - .address_space:  global
        .offset:         16
        .size:           8
        .value_kind:     global_buffer
      - .address_space:  global
        .offset:         24
        .size:           8
        .value_kind:     global_buffer
      - .address_space:  global
        .offset:         32
        .size:           8
        .value_kind:     global_buffer
      - .address_space:  global
        .offset:         40
        .size:           8
        .value_kind:     global_buffer
      - .address_space:  global
        .offset:         48
        .size:           8
        .value_kind:     global_buffer
      - .address_space:  global
        .offset:         56
        .size:           8
        .value_kind:     global_buffer
      - .offset:         64
        .size:           4
        .value_kind:     by_value
      - .offset:         68
        .size:           4
        .value_kind:     by_value
      - .offset:         72
        .size:           4
        .value_kind:     by_value
      - .offset:         76
        .size:           4
        .value_kind:     by_value
      - .offset:         80
        .size:           4
        .value_kind:     by_value
      - .offset:         84
        .size:           4
        .value_kind:     by_value
      - .offset:         88
        .size:           4
        .value_kind:     by_value
      - .offset:         92
        .size:           12
        .value_kind:     by_value
      - .offset:         104
        .size:           4
        .value_kind:     by_value
      - .offset:         108
        .size:           4
        .value_kind:     by_value
      - .offset:         112
        .size:           4
        .value_kind:     by_value
      - .offset:         116
        .size:           4
        .value_kind:     by_value
      - .offset:         120
        .size:           4
        .value_kind:     by_value
      - .offset:         124
        .size:           4
        .value_kind:     by_value
      - .offset:         128
        .size:           4
        .value_kind:     by_value
      - .offset:         132
        .size:           4
        .value_kind:     by_value
      - .offset:         136
        .size:           4
        .value_kind:     by_value
      - .offset:         140
        .size:           4
        .value_kind:     by_value
      - .offset:         144
        .size:           4
        .value_kind:     by_value
      - .offset:         152
        .size:           8
        .value_kind:     by_value
      - .offset:         160
        .size:           4
        .value_kind:     by_value
      - .offset:         164
        .size:           4
        .value_kind:     by_value
      - .offset:         168
        .size:           8
        .value_kind:     by_value
      - .offset:         176
        .size:           4
        .value_kind:     by_value
      - .offset:         180
        .size:           4
        .value_kind:     by_value
      - .offset:         184
        .size:           4
        .value_kind:     by_value
      - .offset:         188
        .size:           4
        .value_kind:     by_value
      - .offset:         192
        .size:           4
        .value_kind:     by_value
      - .offset:         200
        .size:           8
        .value_kind:     by_value
      - .offset:         208
        .size:           4
        .value_kind:     hidden_block_count_x
      - .offset:         212
        .size:           4
        .value_kind:     hidden_block_count_y
      - .offset:         216
        .size:           4
        .value_kind:     hidden_block_count_z
      - .offset:         220
        .size:           2
        .value_kind:     hidden_group_size_x
      - .offset:         222
        .size:           2
        .value_kind:     hidden_group_size_y
      - .offset:         224
        .size:           2
        .value_kind:     hidden_group_size_z
      - .offset:         226
        .size:           2
        .value_kind:     hidden_remainder_x
      - .offset:         228
        .size:           2
        .value_kind:     hidden_remainder_y
      - .offset:         230
        .size:           2
        .value_kind:     hidden_remainder_z
      - .offset:         248
        .size:           8
        .value_kind:     hidden_global_offset_x
      - .offset:         256
        .size:           8
        .value_kind:     hidden_global_offset_y
      - .offset:         264
        .size:           8
        .value_kind:     hidden_global_offset_z
      - .offset:         272
        .size:           2
        .value_kind:     hidden_grid_dims
    .group_segment_fixed_size: 6144
    .kernarg_segment_align: 8
    .kernarg_segment_size: 464
    .language:       OpenCL C
    .language_version:
      - 2
      - 0
    .max_flat_workgroup_size: 128
    .name:           _ZL15flash_attn_tileILi64ELi64ELi8ELi1ELb0EEvPKcS1_S1_S1_S1_PKiPfP15HIP_vector_typeIfLj2EEffffjfiS5_IjLj3EEiiiiiiiiiiiliiliiiiil
    .private_segment_fixed_size: 32
    .sgpr_count:     54
    .sgpr_spill_count: 0
    .symbol:         _ZL15flash_attn_tileILi64ELi64ELi8ELi1ELb0EEvPKcS1_S1_S1_S1_PKiPfP15HIP_vector_typeIfLj2EEffffjfiS5_IjLj3EEiiiiiiiiiiiliiliiiiil.kd
    .uniform_work_group_size: 1
    .uses_dynamic_stack: false
    .vgpr_count:     90
    .vgpr_spill_count: 0
    .wavefront_size: 64
  - .agpr_count:     0
    .args:
      - .address_space:  global
        .offset:         0
        .size:           8
        .value_kind:     global_buffer
      - .address_space:  global
        .offset:         8
        .size:           8
        .value_kind:     global_buffer
      - .offset:         16
        .size:           4
        .value_kind:     by_value
      - .offset:         20
        .size:           4
        .value_kind:     by_value
      - .offset:         24
        .size:           4
        .value_kind:     by_value
      - .offset:         28
        .size:           4
        .value_kind:     by_value
      - .offset:         32
        .size:           4
        .value_kind:     by_value
      - .offset:         36
        .size:           4
        .value_kind:     by_value
      - .offset:         40
        .size:           12
        .value_kind:     by_value
      - .offset:         52
        .size:           12
        .value_kind:     by_value
      - .offset:         64
        .size:           12
        .value_kind:     by_value
    .group_segment_fixed_size: 0
    .kernarg_segment_align: 8
    .kernarg_segment_size: 76
    .language:       OpenCL C
    .language_version:
      - 2
      - 0
    .max_flat_workgroup_size: 64
    .name:           _ZL33flash_attn_stream_k_fixup_uniformILi64ELi8ELi1EEvPfPK15HIP_vector_typeIfLj2EEiiiiiiS1_IjLj3EES5_S5_
    .private_segment_fixed_size: 0
    .sgpr_count:     30
    .sgpr_spill_count: 0
    .symbol:         _ZL33flash_attn_stream_k_fixup_uniformILi64ELi8ELi1EEvPfPK15HIP_vector_typeIfLj2EEiiiiiiS1_IjLj3EES5_S5_.kd
    .uniform_work_group_size: 1
    .uses_dynamic_stack: false
    .vgpr_count:     17
    .vgpr_spill_count: 0
    .wavefront_size: 64
  - .agpr_count:     0
    .args:
      - .address_space:  global
        .offset:         0
        .size:           8
        .value_kind:     global_buffer
      - .address_space:  global
        .offset:         8
        .size:           8
        .value_kind:     global_buffer
      - .offset:         16
        .size:           4
        .value_kind:     by_value
      - .offset:         20
        .size:           4
        .value_kind:     by_value
      - .offset:         24
        .size:           4
        .value_kind:     by_value
      - .offset:         28
        .size:           4
        .value_kind:     by_value
      - .offset:         32
        .size:           12
        .value_kind:     by_value
      - .offset:         44
        .size:           12
        .value_kind:     by_value
      - .offset:         56
        .size:           12
        .value_kind:     by_value
      - .offset:         68
        .size:           12
        .value_kind:     by_value
      - .offset:         80
        .size:           4
        .value_kind:     hidden_block_count_x
      - .offset:         84
        .size:           4
        .value_kind:     hidden_block_count_y
      - .offset:         88
        .size:           4
        .value_kind:     hidden_block_count_z
      - .offset:         92
        .size:           2
        .value_kind:     hidden_group_size_x
      - .offset:         94
        .size:           2
        .value_kind:     hidden_group_size_y
      - .offset:         96
        .size:           2
        .value_kind:     hidden_group_size_z
      - .offset:         98
        .size:           2
        .value_kind:     hidden_remainder_x
      - .offset:         100
        .size:           2
        .value_kind:     hidden_remainder_y
      - .offset:         102
        .size:           2
        .value_kind:     hidden_remainder_z
      - .offset:         120
        .size:           8
        .value_kind:     hidden_global_offset_x
      - .offset:         128
        .size:           8
        .value_kind:     hidden_global_offset_y
      - .offset:         136
        .size:           8
        .value_kind:     hidden_global_offset_z
      - .offset:         144
        .size:           2
        .value_kind:     hidden_grid_dims
    .group_segment_fixed_size: 0
    .kernarg_segment_align: 8
    .kernarg_segment_size: 336
    .language:       OpenCL C
    .language_version:
      - 2
      - 0
    .max_flat_workgroup_size: 64
    .name:           _ZL33flash_attn_stream_k_fixup_generalILi64ELi8ELi1EEvPfPK15HIP_vector_typeIfLj2EEiiiiS1_IjLj3EES5_S5_S5_
    .private_segment_fixed_size: 0
    .sgpr_count:     42
    .sgpr_spill_count: 0
    .symbol:         _ZL33flash_attn_stream_k_fixup_generalILi64ELi8ELi1EEvPfPK15HIP_vector_typeIfLj2EEiiiiS1_IjLj3EES5_S5_S5_.kd
    .uniform_work_group_size: 1
    .uses_dynamic_stack: false
    .vgpr_count:     18
    .vgpr_spill_count: 0
    .wavefront_size: 64
  - .agpr_count:     0
    .args:
      - .address_space:  global
        .offset:         0
        .size:           8
        .value_kind:     global_buffer
      - .address_space:  global
        .offset:         8
        .size:           8
        .value_kind:     global_buffer
      - .address_space:  global
        .offset:         16
        .size:           8
        .value_kind:     global_buffer
      - .address_space:  global
        .offset:         24
        .size:           8
        .value_kind:     global_buffer
      - .address_space:  global
        .offset:         32
        .size:           8
        .value_kind:     global_buffer
      - .address_space:  global
        .offset:         40
        .size:           8
        .value_kind:     global_buffer
      - .address_space:  global
        .offset:         48
        .size:           8
        .value_kind:     global_buffer
      - .address_space:  global
        .offset:         56
        .size:           8
        .value_kind:     global_buffer
      - .offset:         64
        .size:           4
        .value_kind:     by_value
      - .offset:         68
        .size:           4
        .value_kind:     by_value
      - .offset:         72
        .size:           4
        .value_kind:     by_value
      - .offset:         76
        .size:           4
        .value_kind:     by_value
      - .offset:         80
        .size:           4
        .value_kind:     by_value
      - .offset:         84
        .size:           4
        .value_kind:     by_value
      - .offset:         88
        .size:           4
        .value_kind:     by_value
      - .offset:         92
        .size:           12
        .value_kind:     by_value
      - .offset:         104
        .size:           4
        .value_kind:     by_value
      - .offset:         108
        .size:           4
        .value_kind:     by_value
      - .offset:         112
        .size:           4
        .value_kind:     by_value
      - .offset:         116
        .size:           4
        .value_kind:     by_value
      - .offset:         120
        .size:           4
        .value_kind:     by_value
      - .offset:         124
        .size:           4
        .value_kind:     by_value
      - .offset:         128
        .size:           4
        .value_kind:     by_value
      - .offset:         132
        .size:           4
        .value_kind:     by_value
      - .offset:         136
        .size:           4
        .value_kind:     by_value
      - .offset:         140
        .size:           4
        .value_kind:     by_value
      - .offset:         144
        .size:           4
        .value_kind:     by_value
      - .offset:         152
        .size:           8
        .value_kind:     by_value
      - .offset:         160
        .size:           4
        .value_kind:     by_value
      - .offset:         164
        .size:           4
        .value_kind:     by_value
      - .offset:         168
        .size:           8
        .value_kind:     by_value
      - .offset:         176
        .size:           4
        .value_kind:     by_value
      - .offset:         180
        .size:           4
        .value_kind:     by_value
      - .offset:         184
        .size:           4
        .value_kind:     by_value
      - .offset:         188
        .size:           4
        .value_kind:     by_value
      - .offset:         192
        .size:           4
        .value_kind:     by_value
      - .offset:         200
        .size:           8
        .value_kind:     by_value
      - .offset:         208
        .size:           4
        .value_kind:     hidden_block_count_x
      - .offset:         212
        .size:           4
        .value_kind:     hidden_block_count_y
      - .offset:         216
        .size:           4
        .value_kind:     hidden_block_count_z
      - .offset:         220
        .size:           2
        .value_kind:     hidden_group_size_x
      - .offset:         222
        .size:           2
        .value_kind:     hidden_group_size_y
      - .offset:         224
        .size:           2
        .value_kind:     hidden_group_size_z
      - .offset:         226
        .size:           2
        .value_kind:     hidden_remainder_x
      - .offset:         228
        .size:           2
        .value_kind:     hidden_remainder_y
      - .offset:         230
        .size:           2
        .value_kind:     hidden_remainder_z
      - .offset:         248
        .size:           8
        .value_kind:     hidden_global_offset_x
      - .offset:         256
        .size:           8
        .value_kind:     hidden_global_offset_y
      - .offset:         264
        .size:           8
        .value_kind:     hidden_global_offset_z
      - .offset:         272
        .size:           2
        .value_kind:     hidden_grid_dims
    .group_segment_fixed_size: 10240
    .kernarg_segment_align: 8
    .kernarg_segment_size: 464
    .language:       OpenCL C
    .language_version:
      - 2
      - 0
    .max_flat_workgroup_size: 128
    .name:           _ZL15flash_attn_tileILi64ELi64ELi4ELi1ELb0EEvPKcS1_S1_S1_S1_PKiPfP15HIP_vector_typeIfLj2EEffffjfiS5_IjLj3EEiiiiiiiiiiiliiliiiiil
    .private_segment_fixed_size: 32
    .sgpr_count:     54
    .sgpr_spill_count: 0
    .symbol:         _ZL15flash_attn_tileILi64ELi64ELi4ELi1ELb0EEvPKcS1_S1_S1_S1_PKiPfP15HIP_vector_typeIfLj2EEffffjfiS5_IjLj3EEiiiiiiiiiiiliiliiiiil.kd
    .uniform_work_group_size: 1
    .uses_dynamic_stack: false
    .vgpr_count:     120
    .vgpr_spill_count: 0
    .wavefront_size: 64
  - .agpr_count:     0
    .args:
      - .address_space:  global
        .offset:         0
        .size:           8
        .value_kind:     global_buffer
      - .address_space:  global
        .offset:         8
        .size:           8
        .value_kind:     global_buffer
      - .offset:         16
        .size:           4
        .value_kind:     by_value
      - .offset:         20
        .size:           4
        .value_kind:     by_value
      - .offset:         24
        .size:           4
        .value_kind:     by_value
      - .offset:         28
        .size:           4
        .value_kind:     by_value
      - .offset:         32
        .size:           4
        .value_kind:     by_value
      - .offset:         36
        .size:           4
        .value_kind:     by_value
      - .offset:         40
        .size:           12
        .value_kind:     by_value
      - .offset:         52
        .size:           12
        .value_kind:     by_value
      - .offset:         64
        .size:           12
        .value_kind:     by_value
    .group_segment_fixed_size: 0
    .kernarg_segment_align: 8
    .kernarg_segment_size: 76
    .language:       OpenCL C
    .language_version:
      - 2
      - 0
    .max_flat_workgroup_size: 64
    .name:           _ZL33flash_attn_stream_k_fixup_uniformILi64ELi4ELi1EEvPfPK15HIP_vector_typeIfLj2EEiiiiiiS1_IjLj3EES5_S5_
    .private_segment_fixed_size: 0
    .sgpr_count:     30
    .sgpr_spill_count: 0
    .symbol:         _ZL33flash_attn_stream_k_fixup_uniformILi64ELi4ELi1EEvPfPK15HIP_vector_typeIfLj2EEiiiiiiS1_IjLj3EES5_S5_.kd
    .uniform_work_group_size: 1
    .uses_dynamic_stack: false
    .vgpr_count:     17
    .vgpr_spill_count: 0
    .wavefront_size: 64
  - .agpr_count:     0
    .args:
      - .address_space:  global
        .offset:         0
        .size:           8
        .value_kind:     global_buffer
      - .address_space:  global
        .offset:         8
        .size:           8
        .value_kind:     global_buffer
      - .offset:         16
        .size:           4
        .value_kind:     by_value
      - .offset:         20
        .size:           4
        .value_kind:     by_value
      - .offset:         24
        .size:           4
        .value_kind:     by_value
      - .offset:         28
        .size:           4
        .value_kind:     by_value
      - .offset:         32
        .size:           12
        .value_kind:     by_value
      - .offset:         44
        .size:           12
        .value_kind:     by_value
      - .offset:         56
        .size:           12
        .value_kind:     by_value
      - .offset:         68
        .size:           12
        .value_kind:     by_value
      - .offset:         80
        .size:           4
        .value_kind:     hidden_block_count_x
      - .offset:         84
        .size:           4
        .value_kind:     hidden_block_count_y
      - .offset:         88
        .size:           4
        .value_kind:     hidden_block_count_z
      - .offset:         92
        .size:           2
        .value_kind:     hidden_group_size_x
      - .offset:         94
        .size:           2
        .value_kind:     hidden_group_size_y
      - .offset:         96
        .size:           2
        .value_kind:     hidden_group_size_z
      - .offset:         98
        .size:           2
        .value_kind:     hidden_remainder_x
      - .offset:         100
        .size:           2
        .value_kind:     hidden_remainder_y
      - .offset:         102
        .size:           2
        .value_kind:     hidden_remainder_z
      - .offset:         120
        .size:           8
        .value_kind:     hidden_global_offset_x
      - .offset:         128
        .size:           8
        .value_kind:     hidden_global_offset_y
      - .offset:         136
        .size:           8
        .value_kind:     hidden_global_offset_z
      - .offset:         144
        .size:           2
        .value_kind:     hidden_grid_dims
    .group_segment_fixed_size: 0
    .kernarg_segment_align: 8
    .kernarg_segment_size: 336
    .language:       OpenCL C
    .language_version:
      - 2
      - 0
    .max_flat_workgroup_size: 64
    .name:           _ZL33flash_attn_stream_k_fixup_generalILi64ELi4ELi1EEvPfPK15HIP_vector_typeIfLj2EEiiiiS1_IjLj3EES5_S5_S5_
    .private_segment_fixed_size: 0
    .sgpr_count:     42
    .sgpr_spill_count: 0
    .symbol:         _ZL33flash_attn_stream_k_fixup_generalILi64ELi4ELi1EEvPfPK15HIP_vector_typeIfLj2EEiiiiS1_IjLj3EES5_S5_S5_.kd
    .uniform_work_group_size: 1
    .uses_dynamic_stack: false
    .vgpr_count:     18
    .vgpr_spill_count: 0
    .wavefront_size: 64
  - .agpr_count:     0
    .args:
      - .address_space:  global
        .offset:         0
        .size:           8
        .value_kind:     global_buffer
      - .address_space:  global
        .offset:         8
        .size:           8
        .value_kind:     global_buffer
      - .address_space:  global
        .offset:         16
        .size:           8
        .value_kind:     global_buffer
      - .address_space:  global
        .offset:         24
        .size:           8
        .value_kind:     global_buffer
      - .address_space:  global
        .offset:         32
        .size:           8
        .value_kind:     global_buffer
      - .address_space:  global
        .offset:         40
        .size:           8
        .value_kind:     global_buffer
      - .address_space:  global
        .offset:         48
        .size:           8
        .value_kind:     global_buffer
      - .address_space:  global
        .offset:         56
        .size:           8
        .value_kind:     global_buffer
      - .offset:         64
        .size:           4
        .value_kind:     by_value
      - .offset:         68
        .size:           4
        .value_kind:     by_value
      - .offset:         72
        .size:           4
        .value_kind:     by_value
      - .offset:         76
        .size:           4
        .value_kind:     by_value
      - .offset:         80
        .size:           4
        .value_kind:     by_value
      - .offset:         84
        .size:           4
        .value_kind:     by_value
      - .offset:         88
        .size:           4
        .value_kind:     by_value
      - .offset:         92
        .size:           12
        .value_kind:     by_value
      - .offset:         104
        .size:           4
        .value_kind:     by_value
      - .offset:         108
        .size:           4
        .value_kind:     by_value
      - .offset:         112
        .size:           4
        .value_kind:     by_value
      - .offset:         116
        .size:           4
        .value_kind:     by_value
      - .offset:         120
        .size:           4
        .value_kind:     by_value
      - .offset:         124
        .size:           4
        .value_kind:     by_value
      - .offset:         128
        .size:           4
        .value_kind:     by_value
      - .offset:         132
        .size:           4
        .value_kind:     by_value
      - .offset:         136
        .size:           4
        .value_kind:     by_value
      - .offset:         140
        .size:           4
        .value_kind:     by_value
      - .offset:         144
        .size:           4
        .value_kind:     by_value
      - .offset:         152
        .size:           8
        .value_kind:     by_value
      - .offset:         160
        .size:           4
        .value_kind:     by_value
      - .offset:         164
        .size:           4
        .value_kind:     by_value
      - .offset:         168
        .size:           8
        .value_kind:     by_value
      - .offset:         176
        .size:           4
        .value_kind:     by_value
      - .offset:         180
        .size:           4
        .value_kind:     by_value
      - .offset:         184
        .size:           4
        .value_kind:     by_value
      - .offset:         188
        .size:           4
        .value_kind:     by_value
      - .offset:         192
        .size:           4
        .value_kind:     by_value
      - .offset:         200
        .size:           8
        .value_kind:     by_value
      - .offset:         208
        .size:           4
        .value_kind:     hidden_block_count_x
      - .offset:         212
        .size:           4
        .value_kind:     hidden_block_count_y
      - .offset:         216
        .size:           4
        .value_kind:     hidden_block_count_z
      - .offset:         220
        .size:           2
        .value_kind:     hidden_group_size_x
      - .offset:         222
        .size:           2
        .value_kind:     hidden_group_size_y
      - .offset:         224
        .size:           2
        .value_kind:     hidden_group_size_z
      - .offset:         226
        .size:           2
        .value_kind:     hidden_remainder_x
      - .offset:         228
        .size:           2
        .value_kind:     hidden_remainder_y
      - .offset:         230
        .size:           2
        .value_kind:     hidden_remainder_z
      - .offset:         248
        .size:           8
        .value_kind:     hidden_global_offset_x
      - .offset:         256
        .size:           8
        .value_kind:     hidden_global_offset_y
      - .offset:         264
        .size:           8
        .value_kind:     hidden_global_offset_z
      - .offset:         272
        .size:           2
        .value_kind:     hidden_grid_dims
    .group_segment_fixed_size: 4992
    .kernarg_segment_align: 8
    .kernarg_segment_size: 464
    .language:       OpenCL C
    .language_version:
      - 2
      - 0
    .max_flat_workgroup_size: 64
    .name:           _ZL15flash_attn_tileILi64ELi64ELi2ELi1ELb0EEvPKcS1_S1_S1_S1_PKiPfP15HIP_vector_typeIfLj2EEffffjfiS5_IjLj3EEiiiiiiiiiiiliiliiiiil
    .private_segment_fixed_size: 32
    .sgpr_count:     54
    .sgpr_spill_count: 0
    .symbol:         _ZL15flash_attn_tileILi64ELi64ELi2ELi1ELb0EEvPKcS1_S1_S1_S1_PKiPfP15HIP_vector_typeIfLj2EEffffjfiS5_IjLj3EEiiiiiiiiiiiliiliiiiil.kd
    .uniform_work_group_size: 1
    .uses_dynamic_stack: false
    .vgpr_count:     74
    .vgpr_spill_count: 0
    .wavefront_size: 64
  - .agpr_count:     0
    .args:
      - .address_space:  global
        .offset:         0
        .size:           8
        .value_kind:     global_buffer
      - .address_space:  global
        .offset:         8
        .size:           8
        .value_kind:     global_buffer
      - .offset:         16
        .size:           4
        .value_kind:     by_value
      - .offset:         20
        .size:           4
        .value_kind:     by_value
      - .offset:         24
        .size:           4
        .value_kind:     by_value
      - .offset:         28
        .size:           4
        .value_kind:     by_value
      - .offset:         32
        .size:           4
        .value_kind:     by_value
      - .offset:         36
        .size:           4
        .value_kind:     by_value
      - .offset:         40
        .size:           12
        .value_kind:     by_value
      - .offset:         52
        .size:           12
        .value_kind:     by_value
      - .offset:         64
        .size:           12
        .value_kind:     by_value
    .group_segment_fixed_size: 0
    .kernarg_segment_align: 8
    .kernarg_segment_size: 76
    .language:       OpenCL C
    .language_version:
      - 2
      - 0
    .max_flat_workgroup_size: 64
    .name:           _ZL33flash_attn_stream_k_fixup_uniformILi64ELi2ELi1EEvPfPK15HIP_vector_typeIfLj2EEiiiiiiS1_IjLj3EES5_S5_
    .private_segment_fixed_size: 0
    .sgpr_count:     30
    .sgpr_spill_count: 0
    .symbol:         _ZL33flash_attn_stream_k_fixup_uniformILi64ELi2ELi1EEvPfPK15HIP_vector_typeIfLj2EEiiiiiiS1_IjLj3EES5_S5_.kd
    .uniform_work_group_size: 1
    .uses_dynamic_stack: false
    .vgpr_count:     17
    .vgpr_spill_count: 0
    .wavefront_size: 64
  - .agpr_count:     0
    .args:
      - .address_space:  global
        .offset:         0
        .size:           8
        .value_kind:     global_buffer
      - .address_space:  global
        .offset:         8
        .size:           8
        .value_kind:     global_buffer
      - .offset:         16
        .size:           4
        .value_kind:     by_value
      - .offset:         20
        .size:           4
        .value_kind:     by_value
      - .offset:         24
        .size:           4
        .value_kind:     by_value
      - .offset:         28
        .size:           4
        .value_kind:     by_value
      - .offset:         32
        .size:           12
        .value_kind:     by_value
      - .offset:         44
        .size:           12
        .value_kind:     by_value
      - .offset:         56
        .size:           12
        .value_kind:     by_value
      - .offset:         68
        .size:           12
        .value_kind:     by_value
      - .offset:         80
        .size:           4
        .value_kind:     hidden_block_count_x
      - .offset:         84
        .size:           4
        .value_kind:     hidden_block_count_y
      - .offset:         88
        .size:           4
        .value_kind:     hidden_block_count_z
      - .offset:         92
        .size:           2
        .value_kind:     hidden_group_size_x
      - .offset:         94
        .size:           2
        .value_kind:     hidden_group_size_y
      - .offset:         96
        .size:           2
        .value_kind:     hidden_group_size_z
      - .offset:         98
        .size:           2
        .value_kind:     hidden_remainder_x
      - .offset:         100
        .size:           2
        .value_kind:     hidden_remainder_y
      - .offset:         102
        .size:           2
        .value_kind:     hidden_remainder_z
      - .offset:         120
        .size:           8
        .value_kind:     hidden_global_offset_x
      - .offset:         128
        .size:           8
        .value_kind:     hidden_global_offset_y
      - .offset:         136
        .size:           8
        .value_kind:     hidden_global_offset_z
      - .offset:         144
        .size:           2
        .value_kind:     hidden_grid_dims
    .group_segment_fixed_size: 0
    .kernarg_segment_align: 8
    .kernarg_segment_size: 336
    .language:       OpenCL C
    .language_version:
      - 2
      - 0
    .max_flat_workgroup_size: 64
    .name:           _ZL33flash_attn_stream_k_fixup_generalILi64ELi2ELi1EEvPfPK15HIP_vector_typeIfLj2EEiiiiS1_IjLj3EES5_S5_S5_
    .private_segment_fixed_size: 0
    .sgpr_count:     42
    .sgpr_spill_count: 0
    .symbol:         _ZL33flash_attn_stream_k_fixup_generalILi64ELi2ELi1EEvPfPK15HIP_vector_typeIfLj2EEiiiiS1_IjLj3EES5_S5_S5_.kd
    .uniform_work_group_size: 1
    .uses_dynamic_stack: false
    .vgpr_count:     18
    .vgpr_spill_count: 0
    .wavefront_size: 64
  - .agpr_count:     0
    .args:
      - .address_space:  global
        .offset:         0
        .size:           8
        .value_kind:     global_buffer
      - .address_space:  global
        .offset:         8
        .size:           8
        .value_kind:     global_buffer
      - .address_space:  global
        .offset:         16
        .size:           8
        .value_kind:     global_buffer
      - .address_space:  global
        .offset:         24
        .size:           8
        .value_kind:     global_buffer
      - .address_space:  global
        .offset:         32
        .size:           8
        .value_kind:     global_buffer
      - .address_space:  global
        .offset:         40
        .size:           8
        .value_kind:     global_buffer
      - .address_space:  global
        .offset:         48
        .size:           8
        .value_kind:     global_buffer
      - .address_space:  global
        .offset:         56
        .size:           8
        .value_kind:     global_buffer
      - .offset:         64
        .size:           4
        .value_kind:     by_value
      - .offset:         68
        .size:           4
        .value_kind:     by_value
      - .offset:         72
        .size:           4
        .value_kind:     by_value
      - .offset:         76
        .size:           4
        .value_kind:     by_value
      - .offset:         80
        .size:           4
        .value_kind:     by_value
      - .offset:         84
        .size:           4
        .value_kind:     by_value
      - .offset:         88
        .size:           4
        .value_kind:     by_value
      - .offset:         92
        .size:           12
        .value_kind:     by_value
      - .offset:         104
        .size:           4
        .value_kind:     by_value
      - .offset:         108
        .size:           4
        .value_kind:     by_value
      - .offset:         112
        .size:           4
        .value_kind:     by_value
      - .offset:         116
        .size:           4
        .value_kind:     by_value
      - .offset:         120
        .size:           4
        .value_kind:     by_value
      - .offset:         124
        .size:           4
        .value_kind:     by_value
      - .offset:         128
        .size:           4
        .value_kind:     by_value
      - .offset:         132
        .size:           4
        .value_kind:     by_value
      - .offset:         136
        .size:           4
        .value_kind:     by_value
      - .offset:         140
        .size:           4
        .value_kind:     by_value
      - .offset:         144
        .size:           4
        .value_kind:     by_value
      - .offset:         152
        .size:           8
        .value_kind:     by_value
      - .offset:         160
        .size:           4
        .value_kind:     by_value
      - .offset:         164
        .size:           4
        .value_kind:     by_value
      - .offset:         168
        .size:           8
        .value_kind:     by_value
      - .offset:         176
        .size:           4
        .value_kind:     by_value
      - .offset:         180
        .size:           4
        .value_kind:     by_value
      - .offset:         184
        .size:           4
        .value_kind:     by_value
      - .offset:         188
        .size:           4
        .value_kind:     by_value
      - .offset:         192
        .size:           4
        .value_kind:     by_value
      - .offset:         200
        .size:           8
        .value_kind:     by_value
      - .offset:         208
        .size:           4
        .value_kind:     hidden_block_count_x
      - .offset:         212
        .size:           4
        .value_kind:     hidden_block_count_y
      - .offset:         216
        .size:           4
        .value_kind:     hidden_block_count_z
      - .offset:         220
        .size:           2
        .value_kind:     hidden_group_size_x
      - .offset:         222
        .size:           2
        .value_kind:     hidden_group_size_y
      - .offset:         224
        .size:           2
        .value_kind:     hidden_group_size_z
      - .offset:         226
        .size:           2
        .value_kind:     hidden_remainder_x
      - .offset:         228
        .size:           2
        .value_kind:     hidden_remainder_y
      - .offset:         230
        .size:           2
        .value_kind:     hidden_remainder_z
      - .offset:         248
        .size:           8
        .value_kind:     hidden_global_offset_x
      - .offset:         256
        .size:           8
        .value_kind:     hidden_global_offset_y
      - .offset:         264
        .size:           8
        .value_kind:     hidden_global_offset_z
      - .offset:         272
        .size:           2
        .value_kind:     hidden_grid_dims
      - .offset:         288
        .size:           8
        .value_kind:     hidden_hostcall_buffer
    .group_segment_fixed_size: 0
    .kernarg_segment_align: 8
    .kernarg_segment_size: 464
    .language:       OpenCL C
    .language_version:
      - 2
      - 0
    .max_flat_workgroup_size: 256
    .name:           _ZL15flash_attn_tileILi64ELi64ELi8ELi8ELb1EEvPKcS1_S1_S1_S1_PKiPfP15HIP_vector_typeIfLj2EEffffjfiS5_IjLj3EEiiiiiiiiiiiliiliiiiil
    .private_segment_fixed_size: 16
    .sgpr_count:     40
    .sgpr_spill_count: 0
    .symbol:         _ZL15flash_attn_tileILi64ELi64ELi8ELi8ELb1EEvPKcS1_S1_S1_S1_PKiPfP15HIP_vector_typeIfLj2EEffffjfiS5_IjLj3EEiiiiiiiiiiiliiliiiiil.kd
    .uniform_work_group_size: 1
    .uses_dynamic_stack: false
    .vgpr_count:     50
    .vgpr_spill_count: 0
    .wavefront_size: 64
  - .agpr_count:     0
    .args:
      - .address_space:  global
        .offset:         0
        .size:           8
        .value_kind:     global_buffer
      - .address_space:  global
        .offset:         8
        .size:           8
        .value_kind:     global_buffer
      - .address_space:  global
        .offset:         16
        .size:           8
        .value_kind:     global_buffer
      - .address_space:  global
        .offset:         24
        .size:           8
        .value_kind:     global_buffer
      - .address_space:  global
        .offset:         32
        .size:           8
        .value_kind:     global_buffer
      - .address_space:  global
        .offset:         40
        .size:           8
        .value_kind:     global_buffer
      - .address_space:  global
        .offset:         48
        .size:           8
        .value_kind:     global_buffer
      - .address_space:  global
        .offset:         56
        .size:           8
        .value_kind:     global_buffer
      - .offset:         64
        .size:           4
        .value_kind:     by_value
      - .offset:         68
        .size:           4
        .value_kind:     by_value
      - .offset:         72
        .size:           4
        .value_kind:     by_value
      - .offset:         76
        .size:           4
        .value_kind:     by_value
      - .offset:         80
        .size:           4
        .value_kind:     by_value
      - .offset:         84
        .size:           4
        .value_kind:     by_value
      - .offset:         88
        .size:           4
        .value_kind:     by_value
      - .offset:         92
        .size:           12
        .value_kind:     by_value
      - .offset:         104
        .size:           4
        .value_kind:     by_value
      - .offset:         108
        .size:           4
        .value_kind:     by_value
      - .offset:         112
        .size:           4
        .value_kind:     by_value
      - .offset:         116
        .size:           4
        .value_kind:     by_value
      - .offset:         120
        .size:           4
        .value_kind:     by_value
      - .offset:         124
        .size:           4
        .value_kind:     by_value
      - .offset:         128
        .size:           4
        .value_kind:     by_value
      - .offset:         132
        .size:           4
        .value_kind:     by_value
      - .offset:         136
        .size:           4
        .value_kind:     by_value
      - .offset:         140
        .size:           4
        .value_kind:     by_value
      - .offset:         144
        .size:           4
        .value_kind:     by_value
      - .offset:         152
        .size:           8
        .value_kind:     by_value
      - .offset:         160
        .size:           4
        .value_kind:     by_value
      - .offset:         164
        .size:           4
        .value_kind:     by_value
      - .offset:         168
        .size:           8
        .value_kind:     by_value
      - .offset:         176
        .size:           4
        .value_kind:     by_value
      - .offset:         180
        .size:           4
        .value_kind:     by_value
      - .offset:         184
        .size:           4
        .value_kind:     by_value
      - .offset:         188
        .size:           4
        .value_kind:     by_value
      - .offset:         192
        .size:           4
        .value_kind:     by_value
      - .offset:         200
        .size:           8
        .value_kind:     by_value
      - .offset:         208
        .size:           4
        .value_kind:     hidden_block_count_x
      - .offset:         212
        .size:           4
        .value_kind:     hidden_block_count_y
      - .offset:         216
        .size:           4
        .value_kind:     hidden_block_count_z
      - .offset:         220
        .size:           2
        .value_kind:     hidden_group_size_x
      - .offset:         222
        .size:           2
        .value_kind:     hidden_group_size_y
      - .offset:         224
        .size:           2
        .value_kind:     hidden_group_size_z
      - .offset:         226
        .size:           2
        .value_kind:     hidden_remainder_x
      - .offset:         228
        .size:           2
        .value_kind:     hidden_remainder_y
      - .offset:         230
        .size:           2
        .value_kind:     hidden_remainder_z
      - .offset:         248
        .size:           8
        .value_kind:     hidden_global_offset_x
      - .offset:         256
        .size:           8
        .value_kind:     hidden_global_offset_y
      - .offset:         264
        .size:           8
        .value_kind:     hidden_global_offset_z
      - .offset:         272
        .size:           2
        .value_kind:     hidden_grid_dims
      - .offset:         288
        .size:           8
        .value_kind:     hidden_hostcall_buffer
    .group_segment_fixed_size: 0
    .kernarg_segment_align: 8
    .kernarg_segment_size: 464
    .language:       OpenCL C
    .language_version:
      - 2
      - 0
    .max_flat_workgroup_size: 256
    .name:           _ZL15flash_attn_tileILi64ELi64ELi4ELi8ELb1EEvPKcS1_S1_S1_S1_PKiPfP15HIP_vector_typeIfLj2EEffffjfiS5_IjLj3EEiiiiiiiiiiiliiliiiiil
    .private_segment_fixed_size: 16
    .sgpr_count:     40
    .sgpr_spill_count: 0
    .symbol:         _ZL15flash_attn_tileILi64ELi64ELi4ELi8ELb1EEvPKcS1_S1_S1_S1_PKiPfP15HIP_vector_typeIfLj2EEffffjfiS5_IjLj3EEiiiiiiiiiiiliiliiiiil.kd
    .uniform_work_group_size: 1
    .uses_dynamic_stack: false
    .vgpr_count:     50
    .vgpr_spill_count: 0
    .wavefront_size: 64
  - .agpr_count:     0
    .args:
      - .address_space:  global
        .offset:         0
        .size:           8
        .value_kind:     global_buffer
      - .address_space:  global
        .offset:         8
        .size:           8
        .value_kind:     global_buffer
      - .address_space:  global
        .offset:         16
        .size:           8
        .value_kind:     global_buffer
      - .address_space:  global
        .offset:         24
        .size:           8
        .value_kind:     global_buffer
      - .address_space:  global
        .offset:         32
        .size:           8
        .value_kind:     global_buffer
      - .address_space:  global
        .offset:         40
        .size:           8
        .value_kind:     global_buffer
      - .address_space:  global
        .offset:         48
        .size:           8
        .value_kind:     global_buffer
      - .address_space:  global
        .offset:         56
        .size:           8
        .value_kind:     global_buffer
      - .offset:         64
        .size:           4
        .value_kind:     by_value
      - .offset:         68
        .size:           4
        .value_kind:     by_value
      - .offset:         72
        .size:           4
        .value_kind:     by_value
      - .offset:         76
        .size:           4
        .value_kind:     by_value
      - .offset:         80
        .size:           4
        .value_kind:     by_value
      - .offset:         84
        .size:           4
        .value_kind:     by_value
      - .offset:         88
        .size:           4
        .value_kind:     by_value
      - .offset:         92
        .size:           12
        .value_kind:     by_value
      - .offset:         104
        .size:           4
        .value_kind:     by_value
      - .offset:         108
        .size:           4
        .value_kind:     by_value
      - .offset:         112
        .size:           4
        .value_kind:     by_value
      - .offset:         116
        .size:           4
        .value_kind:     by_value
      - .offset:         120
        .size:           4
        .value_kind:     by_value
      - .offset:         124
        .size:           4
        .value_kind:     by_value
      - .offset:         128
        .size:           4
        .value_kind:     by_value
      - .offset:         132
        .size:           4
        .value_kind:     by_value
      - .offset:         136
        .size:           4
        .value_kind:     by_value
      - .offset:         140
        .size:           4
        .value_kind:     by_value
      - .offset:         144
        .size:           4
        .value_kind:     by_value
      - .offset:         152
        .size:           8
        .value_kind:     by_value
      - .offset:         160
        .size:           4
        .value_kind:     by_value
      - .offset:         164
        .size:           4
        .value_kind:     by_value
      - .offset:         168
        .size:           8
        .value_kind:     by_value
      - .offset:         176
        .size:           4
        .value_kind:     by_value
      - .offset:         180
        .size:           4
        .value_kind:     by_value
      - .offset:         184
        .size:           4
        .value_kind:     by_value
      - .offset:         188
        .size:           4
        .value_kind:     by_value
      - .offset:         192
        .size:           4
        .value_kind:     by_value
      - .offset:         200
        .size:           8
        .value_kind:     by_value
      - .offset:         208
        .size:           4
        .value_kind:     hidden_block_count_x
      - .offset:         212
        .size:           4
        .value_kind:     hidden_block_count_y
      - .offset:         216
        .size:           4
        .value_kind:     hidden_block_count_z
      - .offset:         220
        .size:           2
        .value_kind:     hidden_group_size_x
      - .offset:         222
        .size:           2
        .value_kind:     hidden_group_size_y
      - .offset:         224
        .size:           2
        .value_kind:     hidden_group_size_z
      - .offset:         226
        .size:           2
        .value_kind:     hidden_remainder_x
      - .offset:         228
        .size:           2
        .value_kind:     hidden_remainder_y
      - .offset:         230
        .size:           2
        .value_kind:     hidden_remainder_z
      - .offset:         248
        .size:           8
        .value_kind:     hidden_global_offset_x
      - .offset:         256
        .size:           8
        .value_kind:     hidden_global_offset_y
      - .offset:         264
        .size:           8
        .value_kind:     hidden_global_offset_z
      - .offset:         272
        .size:           2
        .value_kind:     hidden_grid_dims
      - .offset:         288
        .size:           8
        .value_kind:     hidden_hostcall_buffer
    .group_segment_fixed_size: 0
    .kernarg_segment_align: 8
    .kernarg_segment_size: 464
    .language:       OpenCL C
    .language_version:
      - 2
      - 0
    .max_flat_workgroup_size: 256
    .name:           _ZL15flash_attn_tileILi64ELi64ELi2ELi8ELb1EEvPKcS1_S1_S1_S1_PKiPfP15HIP_vector_typeIfLj2EEffffjfiS5_IjLj3EEiiiiiiiiiiiliiliiiiil
    .private_segment_fixed_size: 16
    .sgpr_count:     40
    .sgpr_spill_count: 0
    .symbol:         _ZL15flash_attn_tileILi64ELi64ELi2ELi8ELb1EEvPKcS1_S1_S1_S1_PKiPfP15HIP_vector_typeIfLj2EEffffjfiS5_IjLj3EEiiiiiiiiiiiliiliiiiil.kd
    .uniform_work_group_size: 1
    .uses_dynamic_stack: false
    .vgpr_count:     50
    .vgpr_spill_count: 0
    .wavefront_size: 64
  - .agpr_count:     0
    .args:
      - .address_space:  global
        .offset:         0
        .size:           8
        .value_kind:     global_buffer
      - .address_space:  global
        .offset:         8
        .size:           8
        .value_kind:     global_buffer
      - .address_space:  global
        .offset:         16
        .size:           8
        .value_kind:     global_buffer
      - .address_space:  global
        .offset:         24
        .size:           8
        .value_kind:     global_buffer
      - .address_space:  global
        .offset:         32
        .size:           8
        .value_kind:     global_buffer
      - .address_space:  global
        .offset:         40
        .size:           8
        .value_kind:     global_buffer
      - .address_space:  global
        .offset:         48
        .size:           8
        .value_kind:     global_buffer
      - .address_space:  global
        .offset:         56
        .size:           8
        .value_kind:     global_buffer
      - .offset:         64
        .size:           4
        .value_kind:     by_value
      - .offset:         68
        .size:           4
        .value_kind:     by_value
      - .offset:         72
        .size:           4
        .value_kind:     by_value
      - .offset:         76
        .size:           4
        .value_kind:     by_value
      - .offset:         80
        .size:           4
        .value_kind:     by_value
      - .offset:         84
        .size:           4
        .value_kind:     by_value
      - .offset:         88
        .size:           4
        .value_kind:     by_value
      - .offset:         92
        .size:           12
        .value_kind:     by_value
      - .offset:         104
        .size:           4
        .value_kind:     by_value
      - .offset:         108
        .size:           4
        .value_kind:     by_value
      - .offset:         112
        .size:           4
        .value_kind:     by_value
      - .offset:         116
        .size:           4
        .value_kind:     by_value
      - .offset:         120
        .size:           4
        .value_kind:     by_value
      - .offset:         124
        .size:           4
        .value_kind:     by_value
      - .offset:         128
        .size:           4
        .value_kind:     by_value
      - .offset:         132
        .size:           4
        .value_kind:     by_value
      - .offset:         136
        .size:           4
        .value_kind:     by_value
      - .offset:         140
        .size:           4
        .value_kind:     by_value
      - .offset:         144
        .size:           4
        .value_kind:     by_value
      - .offset:         152
        .size:           8
        .value_kind:     by_value
      - .offset:         160
        .size:           4
        .value_kind:     by_value
      - .offset:         164
        .size:           4
        .value_kind:     by_value
      - .offset:         168
        .size:           8
        .value_kind:     by_value
      - .offset:         176
        .size:           4
        .value_kind:     by_value
      - .offset:         180
        .size:           4
        .value_kind:     by_value
      - .offset:         184
        .size:           4
        .value_kind:     by_value
      - .offset:         188
        .size:           4
        .value_kind:     by_value
      - .offset:         192
        .size:           4
        .value_kind:     by_value
      - .offset:         200
        .size:           8
        .value_kind:     by_value
      - .offset:         208
        .size:           4
        .value_kind:     hidden_block_count_x
      - .offset:         212
        .size:           4
        .value_kind:     hidden_block_count_y
      - .offset:         216
        .size:           4
        .value_kind:     hidden_block_count_z
      - .offset:         220
        .size:           2
        .value_kind:     hidden_group_size_x
      - .offset:         222
        .size:           2
        .value_kind:     hidden_group_size_y
      - .offset:         224
        .size:           2
        .value_kind:     hidden_group_size_z
      - .offset:         226
        .size:           2
        .value_kind:     hidden_remainder_x
      - .offset:         228
        .size:           2
        .value_kind:     hidden_remainder_y
      - .offset:         230
        .size:           2
        .value_kind:     hidden_remainder_z
      - .offset:         248
        .size:           8
        .value_kind:     hidden_global_offset_x
      - .offset:         256
        .size:           8
        .value_kind:     hidden_global_offset_y
      - .offset:         264
        .size:           8
        .value_kind:     hidden_global_offset_z
      - .offset:         272
        .size:           2
        .value_kind:     hidden_grid_dims
      - .offset:         288
        .size:           8
        .value_kind:     hidden_hostcall_buffer
    .group_segment_fixed_size: 0
    .kernarg_segment_align: 8
    .kernarg_segment_size: 464
    .language:       OpenCL C
    .language_version:
      - 2
      - 0
    .max_flat_workgroup_size: 128
    .name:           _ZL15flash_attn_tileILi64ELi64ELi1ELi8ELb1EEvPKcS1_S1_S1_S1_PKiPfP15HIP_vector_typeIfLj2EEffffjfiS5_IjLj3EEiiiiiiiiiiiliiliiiiil
    .private_segment_fixed_size: 16
    .sgpr_count:     40
    .sgpr_spill_count: 0
    .symbol:         _ZL15flash_attn_tileILi64ELi64ELi1ELi8ELb1EEvPKcS1_S1_S1_S1_PKiPfP15HIP_vector_typeIfLj2EEffffjfiS5_IjLj3EEiiiiiiiiiiiliiliiiiil.kd
    .uniform_work_group_size: 1
    .uses_dynamic_stack: false
    .vgpr_count:     50
    .vgpr_spill_count: 0
    .wavefront_size: 64
  - .agpr_count:     0
    .args:
      - .address_space:  global
        .offset:         0
        .size:           8
        .value_kind:     global_buffer
      - .address_space:  global
        .offset:         8
        .size:           8
        .value_kind:     global_buffer
      - .address_space:  global
        .offset:         16
        .size:           8
        .value_kind:     global_buffer
      - .address_space:  global
        .offset:         24
        .size:           8
        .value_kind:     global_buffer
      - .address_space:  global
        .offset:         32
        .size:           8
        .value_kind:     global_buffer
      - .address_space:  global
        .offset:         40
        .size:           8
        .value_kind:     global_buffer
      - .address_space:  global
        .offset:         48
        .size:           8
        .value_kind:     global_buffer
      - .address_space:  global
        .offset:         56
        .size:           8
        .value_kind:     global_buffer
      - .offset:         64
        .size:           4
        .value_kind:     by_value
      - .offset:         68
        .size:           4
        .value_kind:     by_value
      - .offset:         72
        .size:           4
        .value_kind:     by_value
      - .offset:         76
        .size:           4
        .value_kind:     by_value
      - .offset:         80
        .size:           4
        .value_kind:     by_value
      - .offset:         84
        .size:           4
        .value_kind:     by_value
      - .offset:         88
        .size:           4
        .value_kind:     by_value
      - .offset:         92
        .size:           12
        .value_kind:     by_value
      - .offset:         104
        .size:           4
        .value_kind:     by_value
      - .offset:         108
        .size:           4
        .value_kind:     by_value
      - .offset:         112
        .size:           4
        .value_kind:     by_value
      - .offset:         116
        .size:           4
        .value_kind:     by_value
      - .offset:         120
        .size:           4
        .value_kind:     by_value
      - .offset:         124
        .size:           4
        .value_kind:     by_value
      - .offset:         128
        .size:           4
        .value_kind:     by_value
      - .offset:         132
        .size:           4
        .value_kind:     by_value
      - .offset:         136
        .size:           4
        .value_kind:     by_value
      - .offset:         140
        .size:           4
        .value_kind:     by_value
      - .offset:         144
        .size:           4
        .value_kind:     by_value
      - .offset:         152
        .size:           8
        .value_kind:     by_value
      - .offset:         160
        .size:           4
        .value_kind:     by_value
      - .offset:         164
        .size:           4
        .value_kind:     by_value
      - .offset:         168
        .size:           8
        .value_kind:     by_value
      - .offset:         176
        .size:           4
        .value_kind:     by_value
      - .offset:         180
        .size:           4
        .value_kind:     by_value
      - .offset:         184
        .size:           4
        .value_kind:     by_value
      - .offset:         188
        .size:           4
        .value_kind:     by_value
      - .offset:         192
        .size:           4
        .value_kind:     by_value
      - .offset:         200
        .size:           8
        .value_kind:     by_value
      - .offset:         208
        .size:           4
        .value_kind:     hidden_block_count_x
      - .offset:         212
        .size:           4
        .value_kind:     hidden_block_count_y
      - .offset:         216
        .size:           4
        .value_kind:     hidden_block_count_z
      - .offset:         220
        .size:           2
        .value_kind:     hidden_group_size_x
      - .offset:         222
        .size:           2
        .value_kind:     hidden_group_size_y
      - .offset:         224
        .size:           2
        .value_kind:     hidden_group_size_z
      - .offset:         226
        .size:           2
        .value_kind:     hidden_remainder_x
      - .offset:         228
        .size:           2
        .value_kind:     hidden_remainder_y
      - .offset:         230
        .size:           2
        .value_kind:     hidden_remainder_z
      - .offset:         248
        .size:           8
        .value_kind:     hidden_global_offset_x
      - .offset:         256
        .size:           8
        .value_kind:     hidden_global_offset_y
      - .offset:         264
        .size:           8
        .value_kind:     hidden_global_offset_z
      - .offset:         272
        .size:           2
        .value_kind:     hidden_grid_dims
      - .offset:         288
        .size:           8
        .value_kind:     hidden_hostcall_buffer
    .group_segment_fixed_size: 0
    .kernarg_segment_align: 8
    .kernarg_segment_size: 464
    .language:       OpenCL C
    .language_version:
      - 2
      - 0
    .max_flat_workgroup_size: 256
    .name:           _ZL15flash_attn_tileILi64ELi64ELi16ELi4ELb1EEvPKcS1_S1_S1_S1_PKiPfP15HIP_vector_typeIfLj2EEffffjfiS5_IjLj3EEiiiiiiiiiiiliiliiiiil
    .private_segment_fixed_size: 16
    .sgpr_count:     40
    .sgpr_spill_count: 0
    .symbol:         _ZL15flash_attn_tileILi64ELi64ELi16ELi4ELb1EEvPKcS1_S1_S1_S1_PKiPfP15HIP_vector_typeIfLj2EEffffjfiS5_IjLj3EEiiiiiiiiiiiliiliiiiil.kd
    .uniform_work_group_size: 1
    .uses_dynamic_stack: false
    .vgpr_count:     50
    .vgpr_spill_count: 0
    .wavefront_size: 64
  - .agpr_count:     0
    .args:
      - .address_space:  global
        .offset:         0
        .size:           8
        .value_kind:     global_buffer
      - .address_space:  global
        .offset:         8
        .size:           8
        .value_kind:     global_buffer
      - .address_space:  global
        .offset:         16
        .size:           8
        .value_kind:     global_buffer
      - .address_space:  global
        .offset:         24
        .size:           8
        .value_kind:     global_buffer
      - .address_space:  global
        .offset:         32
        .size:           8
        .value_kind:     global_buffer
      - .address_space:  global
        .offset:         40
        .size:           8
        .value_kind:     global_buffer
      - .address_space:  global
        .offset:         48
        .size:           8
        .value_kind:     global_buffer
      - .address_space:  global
        .offset:         56
        .size:           8
        .value_kind:     global_buffer
      - .offset:         64
        .size:           4
        .value_kind:     by_value
      - .offset:         68
        .size:           4
        .value_kind:     by_value
      - .offset:         72
        .size:           4
        .value_kind:     by_value
      - .offset:         76
        .size:           4
        .value_kind:     by_value
      - .offset:         80
        .size:           4
        .value_kind:     by_value
      - .offset:         84
        .size:           4
        .value_kind:     by_value
      - .offset:         88
        .size:           4
        .value_kind:     by_value
      - .offset:         92
        .size:           12
        .value_kind:     by_value
      - .offset:         104
        .size:           4
        .value_kind:     by_value
      - .offset:         108
        .size:           4
        .value_kind:     by_value
      - .offset:         112
        .size:           4
        .value_kind:     by_value
      - .offset:         116
        .size:           4
        .value_kind:     by_value
      - .offset:         120
        .size:           4
        .value_kind:     by_value
      - .offset:         124
        .size:           4
        .value_kind:     by_value
      - .offset:         128
        .size:           4
        .value_kind:     by_value
      - .offset:         132
        .size:           4
        .value_kind:     by_value
      - .offset:         136
        .size:           4
        .value_kind:     by_value
      - .offset:         140
        .size:           4
        .value_kind:     by_value
      - .offset:         144
        .size:           4
        .value_kind:     by_value
      - .offset:         152
        .size:           8
        .value_kind:     by_value
      - .offset:         160
        .size:           4
        .value_kind:     by_value
      - .offset:         164
        .size:           4
        .value_kind:     by_value
      - .offset:         168
        .size:           8
        .value_kind:     by_value
      - .offset:         176
        .size:           4
        .value_kind:     by_value
      - .offset:         180
        .size:           4
        .value_kind:     by_value
      - .offset:         184
        .size:           4
        .value_kind:     by_value
      - .offset:         188
        .size:           4
        .value_kind:     by_value
      - .offset:         192
        .size:           4
        .value_kind:     by_value
      - .offset:         200
        .size:           8
        .value_kind:     by_value
      - .offset:         208
        .size:           4
        .value_kind:     hidden_block_count_x
      - .offset:         212
        .size:           4
        .value_kind:     hidden_block_count_y
      - .offset:         216
        .size:           4
        .value_kind:     hidden_block_count_z
      - .offset:         220
        .size:           2
        .value_kind:     hidden_group_size_x
      - .offset:         222
        .size:           2
        .value_kind:     hidden_group_size_y
      - .offset:         224
        .size:           2
        .value_kind:     hidden_group_size_z
      - .offset:         226
        .size:           2
        .value_kind:     hidden_remainder_x
      - .offset:         228
        .size:           2
        .value_kind:     hidden_remainder_y
      - .offset:         230
        .size:           2
        .value_kind:     hidden_remainder_z
      - .offset:         248
        .size:           8
        .value_kind:     hidden_global_offset_x
      - .offset:         256
        .size:           8
        .value_kind:     hidden_global_offset_y
      - .offset:         264
        .size:           8
        .value_kind:     hidden_global_offset_z
      - .offset:         272
        .size:           2
        .value_kind:     hidden_grid_dims
      - .offset:         288
        .size:           8
        .value_kind:     hidden_hostcall_buffer
    .group_segment_fixed_size: 0
    .kernarg_segment_align: 8
    .kernarg_segment_size: 464
    .language:       OpenCL C
    .language_version:
      - 2
      - 0
    .max_flat_workgroup_size: 256
    .name:           _ZL15flash_attn_tileILi64ELi64ELi8ELi4ELb1EEvPKcS1_S1_S1_S1_PKiPfP15HIP_vector_typeIfLj2EEffffjfiS5_IjLj3EEiiiiiiiiiiiliiliiiiil
    .private_segment_fixed_size: 16
    .sgpr_count:     40
    .sgpr_spill_count: 0
    .symbol:         _ZL15flash_attn_tileILi64ELi64ELi8ELi4ELb1EEvPKcS1_S1_S1_S1_PKiPfP15HIP_vector_typeIfLj2EEffffjfiS5_IjLj3EEiiiiiiiiiiiliiliiiiil.kd
    .uniform_work_group_size: 1
    .uses_dynamic_stack: false
    .vgpr_count:     50
    .vgpr_spill_count: 0
    .wavefront_size: 64
  - .agpr_count:     0
    .args:
      - .address_space:  global
        .offset:         0
        .size:           8
        .value_kind:     global_buffer
      - .address_space:  global
        .offset:         8
        .size:           8
        .value_kind:     global_buffer
      - .address_space:  global
        .offset:         16
        .size:           8
        .value_kind:     global_buffer
      - .address_space:  global
        .offset:         24
        .size:           8
        .value_kind:     global_buffer
      - .address_space:  global
        .offset:         32
        .size:           8
        .value_kind:     global_buffer
      - .address_space:  global
        .offset:         40
        .size:           8
        .value_kind:     global_buffer
      - .address_space:  global
        .offset:         48
        .size:           8
        .value_kind:     global_buffer
      - .address_space:  global
        .offset:         56
        .size:           8
        .value_kind:     global_buffer
      - .offset:         64
        .size:           4
        .value_kind:     by_value
      - .offset:         68
        .size:           4
        .value_kind:     by_value
      - .offset:         72
        .size:           4
        .value_kind:     by_value
      - .offset:         76
        .size:           4
        .value_kind:     by_value
      - .offset:         80
        .size:           4
        .value_kind:     by_value
      - .offset:         84
        .size:           4
        .value_kind:     by_value
      - .offset:         88
        .size:           4
        .value_kind:     by_value
      - .offset:         92
        .size:           12
        .value_kind:     by_value
      - .offset:         104
        .size:           4
        .value_kind:     by_value
      - .offset:         108
        .size:           4
        .value_kind:     by_value
      - .offset:         112
        .size:           4
        .value_kind:     by_value
      - .offset:         116
        .size:           4
        .value_kind:     by_value
      - .offset:         120
        .size:           4
        .value_kind:     by_value
      - .offset:         124
        .size:           4
        .value_kind:     by_value
      - .offset:         128
        .size:           4
        .value_kind:     by_value
      - .offset:         132
        .size:           4
        .value_kind:     by_value
      - .offset:         136
        .size:           4
        .value_kind:     by_value
      - .offset:         140
        .size:           4
        .value_kind:     by_value
      - .offset:         144
        .size:           4
        .value_kind:     by_value
      - .offset:         152
        .size:           8
        .value_kind:     by_value
      - .offset:         160
        .size:           4
        .value_kind:     by_value
      - .offset:         164
        .size:           4
        .value_kind:     by_value
      - .offset:         168
        .size:           8
        .value_kind:     by_value
      - .offset:         176
        .size:           4
        .value_kind:     by_value
      - .offset:         180
        .size:           4
        .value_kind:     by_value
      - .offset:         184
        .size:           4
        .value_kind:     by_value
      - .offset:         188
        .size:           4
        .value_kind:     by_value
      - .offset:         192
        .size:           4
        .value_kind:     by_value
      - .offset:         200
        .size:           8
        .value_kind:     by_value
      - .offset:         208
        .size:           4
        .value_kind:     hidden_block_count_x
      - .offset:         212
        .size:           4
        .value_kind:     hidden_block_count_y
      - .offset:         216
        .size:           4
        .value_kind:     hidden_block_count_z
      - .offset:         220
        .size:           2
        .value_kind:     hidden_group_size_x
      - .offset:         222
        .size:           2
        .value_kind:     hidden_group_size_y
      - .offset:         224
        .size:           2
        .value_kind:     hidden_group_size_z
      - .offset:         226
        .size:           2
        .value_kind:     hidden_remainder_x
      - .offset:         228
        .size:           2
        .value_kind:     hidden_remainder_y
      - .offset:         230
        .size:           2
        .value_kind:     hidden_remainder_z
      - .offset:         248
        .size:           8
        .value_kind:     hidden_global_offset_x
      - .offset:         256
        .size:           8
        .value_kind:     hidden_global_offset_y
      - .offset:         264
        .size:           8
        .value_kind:     hidden_global_offset_z
      - .offset:         272
        .size:           2
        .value_kind:     hidden_grid_dims
      - .offset:         288
        .size:           8
        .value_kind:     hidden_hostcall_buffer
    .group_segment_fixed_size: 0
    .kernarg_segment_align: 8
    .kernarg_segment_size: 464
    .language:       OpenCL C
    .language_version:
      - 2
      - 0
    .max_flat_workgroup_size: 256
    .name:           _ZL15flash_attn_tileILi64ELi64ELi4ELi4ELb1EEvPKcS1_S1_S1_S1_PKiPfP15HIP_vector_typeIfLj2EEffffjfiS5_IjLj3EEiiiiiiiiiiiliiliiiiil
    .private_segment_fixed_size: 16
    .sgpr_count:     40
    .sgpr_spill_count: 0
    .symbol:         _ZL15flash_attn_tileILi64ELi64ELi4ELi4ELb1EEvPKcS1_S1_S1_S1_PKiPfP15HIP_vector_typeIfLj2EEffffjfiS5_IjLj3EEiiiiiiiiiiiliiliiiiil.kd
    .uniform_work_group_size: 1
    .uses_dynamic_stack: false
    .vgpr_count:     50
    .vgpr_spill_count: 0
    .wavefront_size: 64
  - .agpr_count:     0
    .args:
      - .address_space:  global
        .offset:         0
        .size:           8
        .value_kind:     global_buffer
      - .address_space:  global
        .offset:         8
        .size:           8
        .value_kind:     global_buffer
      - .address_space:  global
        .offset:         16
        .size:           8
        .value_kind:     global_buffer
      - .address_space:  global
        .offset:         24
        .size:           8
        .value_kind:     global_buffer
      - .address_space:  global
        .offset:         32
        .size:           8
        .value_kind:     global_buffer
      - .address_space:  global
        .offset:         40
        .size:           8
        .value_kind:     global_buffer
      - .address_space:  global
        .offset:         48
        .size:           8
        .value_kind:     global_buffer
      - .address_space:  global
        .offset:         56
        .size:           8
        .value_kind:     global_buffer
      - .offset:         64
        .size:           4
        .value_kind:     by_value
      - .offset:         68
        .size:           4
        .value_kind:     by_value
      - .offset:         72
        .size:           4
        .value_kind:     by_value
      - .offset:         76
        .size:           4
        .value_kind:     by_value
      - .offset:         80
        .size:           4
        .value_kind:     by_value
      - .offset:         84
        .size:           4
        .value_kind:     by_value
      - .offset:         88
        .size:           4
        .value_kind:     by_value
      - .offset:         92
        .size:           12
        .value_kind:     by_value
      - .offset:         104
        .size:           4
        .value_kind:     by_value
      - .offset:         108
        .size:           4
        .value_kind:     by_value
      - .offset:         112
        .size:           4
        .value_kind:     by_value
      - .offset:         116
        .size:           4
        .value_kind:     by_value
      - .offset:         120
        .size:           4
        .value_kind:     by_value
      - .offset:         124
        .size:           4
        .value_kind:     by_value
      - .offset:         128
        .size:           4
        .value_kind:     by_value
      - .offset:         132
        .size:           4
        .value_kind:     by_value
      - .offset:         136
        .size:           4
        .value_kind:     by_value
      - .offset:         140
        .size:           4
        .value_kind:     by_value
      - .offset:         144
        .size:           4
        .value_kind:     by_value
      - .offset:         152
        .size:           8
        .value_kind:     by_value
      - .offset:         160
        .size:           4
        .value_kind:     by_value
      - .offset:         164
        .size:           4
        .value_kind:     by_value
      - .offset:         168
        .size:           8
        .value_kind:     by_value
      - .offset:         176
        .size:           4
        .value_kind:     by_value
      - .offset:         180
        .size:           4
        .value_kind:     by_value
      - .offset:         184
        .size:           4
        .value_kind:     by_value
      - .offset:         188
        .size:           4
        .value_kind:     by_value
      - .offset:         192
        .size:           4
        .value_kind:     by_value
      - .offset:         200
        .size:           8
        .value_kind:     by_value
      - .offset:         208
        .size:           4
        .value_kind:     hidden_block_count_x
      - .offset:         212
        .size:           4
        .value_kind:     hidden_block_count_y
      - .offset:         216
        .size:           4
        .value_kind:     hidden_block_count_z
      - .offset:         220
        .size:           2
        .value_kind:     hidden_group_size_x
      - .offset:         222
        .size:           2
        .value_kind:     hidden_group_size_y
      - .offset:         224
        .size:           2
        .value_kind:     hidden_group_size_z
      - .offset:         226
        .size:           2
        .value_kind:     hidden_remainder_x
      - .offset:         228
        .size:           2
        .value_kind:     hidden_remainder_y
      - .offset:         230
        .size:           2
        .value_kind:     hidden_remainder_z
      - .offset:         248
        .size:           8
        .value_kind:     hidden_global_offset_x
      - .offset:         256
        .size:           8
        .value_kind:     hidden_global_offset_y
      - .offset:         264
        .size:           8
        .value_kind:     hidden_global_offset_z
      - .offset:         272
        .size:           2
        .value_kind:     hidden_grid_dims
      - .offset:         288
        .size:           8
        .value_kind:     hidden_hostcall_buffer
    .group_segment_fixed_size: 0
    .kernarg_segment_align: 8
    .kernarg_segment_size: 464
    .language:       OpenCL C
    .language_version:
      - 2
      - 0
    .max_flat_workgroup_size: 128
    .name:           _ZL15flash_attn_tileILi64ELi64ELi2ELi4ELb1EEvPKcS1_S1_S1_S1_PKiPfP15HIP_vector_typeIfLj2EEffffjfiS5_IjLj3EEiiiiiiiiiiiliiliiiiil
    .private_segment_fixed_size: 16
    .sgpr_count:     40
    .sgpr_spill_count: 0
    .symbol:         _ZL15flash_attn_tileILi64ELi64ELi2ELi4ELb1EEvPKcS1_S1_S1_S1_PKiPfP15HIP_vector_typeIfLj2EEffffjfiS5_IjLj3EEiiiiiiiiiiiliiliiiiil.kd
    .uniform_work_group_size: 1
    .uses_dynamic_stack: false
    .vgpr_count:     50
    .vgpr_spill_count: 0
    .wavefront_size: 64
  - .agpr_count:     0
    .args:
      - .address_space:  global
        .offset:         0
        .size:           8
        .value_kind:     global_buffer
      - .address_space:  global
        .offset:         8
        .size:           8
        .value_kind:     global_buffer
      - .address_space:  global
        .offset:         16
        .size:           8
        .value_kind:     global_buffer
      - .address_space:  global
        .offset:         24
        .size:           8
        .value_kind:     global_buffer
      - .address_space:  global
        .offset:         32
        .size:           8
        .value_kind:     global_buffer
      - .address_space:  global
        .offset:         40
        .size:           8
        .value_kind:     global_buffer
      - .address_space:  global
        .offset:         48
        .size:           8
        .value_kind:     global_buffer
      - .address_space:  global
        .offset:         56
        .size:           8
        .value_kind:     global_buffer
      - .offset:         64
        .size:           4
        .value_kind:     by_value
      - .offset:         68
        .size:           4
        .value_kind:     by_value
      - .offset:         72
        .size:           4
        .value_kind:     by_value
      - .offset:         76
        .size:           4
        .value_kind:     by_value
      - .offset:         80
        .size:           4
        .value_kind:     by_value
      - .offset:         84
        .size:           4
        .value_kind:     by_value
      - .offset:         88
        .size:           4
        .value_kind:     by_value
      - .offset:         92
        .size:           12
        .value_kind:     by_value
      - .offset:         104
        .size:           4
        .value_kind:     by_value
      - .offset:         108
        .size:           4
        .value_kind:     by_value
      - .offset:         112
        .size:           4
        .value_kind:     by_value
      - .offset:         116
        .size:           4
        .value_kind:     by_value
      - .offset:         120
        .size:           4
        .value_kind:     by_value
      - .offset:         124
        .size:           4
        .value_kind:     by_value
      - .offset:         128
        .size:           4
        .value_kind:     by_value
      - .offset:         132
        .size:           4
        .value_kind:     by_value
      - .offset:         136
        .size:           4
        .value_kind:     by_value
      - .offset:         140
        .size:           4
        .value_kind:     by_value
      - .offset:         144
        .size:           4
        .value_kind:     by_value
      - .offset:         152
        .size:           8
        .value_kind:     by_value
      - .offset:         160
        .size:           4
        .value_kind:     by_value
      - .offset:         164
        .size:           4
        .value_kind:     by_value
      - .offset:         168
        .size:           8
        .value_kind:     by_value
      - .offset:         176
        .size:           4
        .value_kind:     by_value
      - .offset:         180
        .size:           4
        .value_kind:     by_value
      - .offset:         184
        .size:           4
        .value_kind:     by_value
      - .offset:         188
        .size:           4
        .value_kind:     by_value
      - .offset:         192
        .size:           4
        .value_kind:     by_value
      - .offset:         200
        .size:           8
        .value_kind:     by_value
      - .offset:         208
        .size:           4
        .value_kind:     hidden_block_count_x
      - .offset:         212
        .size:           4
        .value_kind:     hidden_block_count_y
      - .offset:         216
        .size:           4
        .value_kind:     hidden_block_count_z
      - .offset:         220
        .size:           2
        .value_kind:     hidden_group_size_x
      - .offset:         222
        .size:           2
        .value_kind:     hidden_group_size_y
      - .offset:         224
        .size:           2
        .value_kind:     hidden_group_size_z
      - .offset:         226
        .size:           2
        .value_kind:     hidden_remainder_x
      - .offset:         228
        .size:           2
        .value_kind:     hidden_remainder_y
      - .offset:         230
        .size:           2
        .value_kind:     hidden_remainder_z
      - .offset:         248
        .size:           8
        .value_kind:     hidden_global_offset_x
      - .offset:         256
        .size:           8
        .value_kind:     hidden_global_offset_y
      - .offset:         264
        .size:           8
        .value_kind:     hidden_global_offset_z
      - .offset:         272
        .size:           2
        .value_kind:     hidden_grid_dims
      - .offset:         288
        .size:           8
        .value_kind:     hidden_hostcall_buffer
    .group_segment_fixed_size: 0
    .kernarg_segment_align: 8
    .kernarg_segment_size: 464
    .language:       OpenCL C
    .language_version:
      - 2
      - 0
    .max_flat_workgroup_size: 128
    .name:           _ZL15flash_attn_tileILi64ELi64ELi1ELi4ELb1EEvPKcS1_S1_S1_S1_PKiPfP15HIP_vector_typeIfLj2EEffffjfiS5_IjLj3EEiiiiiiiiiiiliiliiiiil
    .private_segment_fixed_size: 16
    .sgpr_count:     40
    .sgpr_spill_count: 0
    .symbol:         _ZL15flash_attn_tileILi64ELi64ELi1ELi4ELb1EEvPKcS1_S1_S1_S1_PKiPfP15HIP_vector_typeIfLj2EEffffjfiS5_IjLj3EEiiiiiiiiiiiliiliiiiil.kd
    .uniform_work_group_size: 1
    .uses_dynamic_stack: false
    .vgpr_count:     50
    .vgpr_spill_count: 0
    .wavefront_size: 64
  - .agpr_count:     0
    .args:
      - .address_space:  global
        .offset:         0
        .size:           8
        .value_kind:     global_buffer
      - .address_space:  global
        .offset:         8
        .size:           8
        .value_kind:     global_buffer
      - .address_space:  global
        .offset:         16
        .size:           8
        .value_kind:     global_buffer
      - .address_space:  global
        .offset:         24
        .size:           8
        .value_kind:     global_buffer
      - .address_space:  global
        .offset:         32
        .size:           8
        .value_kind:     global_buffer
      - .address_space:  global
        .offset:         40
        .size:           8
        .value_kind:     global_buffer
      - .address_space:  global
        .offset:         48
        .size:           8
        .value_kind:     global_buffer
      - .address_space:  global
        .offset:         56
        .size:           8
        .value_kind:     global_buffer
      - .offset:         64
        .size:           4
        .value_kind:     by_value
      - .offset:         68
        .size:           4
        .value_kind:     by_value
      - .offset:         72
        .size:           4
        .value_kind:     by_value
      - .offset:         76
        .size:           4
        .value_kind:     by_value
      - .offset:         80
        .size:           4
        .value_kind:     by_value
      - .offset:         84
        .size:           4
        .value_kind:     by_value
      - .offset:         88
        .size:           4
        .value_kind:     by_value
      - .offset:         92
        .size:           12
        .value_kind:     by_value
      - .offset:         104
        .size:           4
        .value_kind:     by_value
      - .offset:         108
        .size:           4
        .value_kind:     by_value
      - .offset:         112
        .size:           4
        .value_kind:     by_value
      - .offset:         116
        .size:           4
        .value_kind:     by_value
      - .offset:         120
        .size:           4
        .value_kind:     by_value
      - .offset:         124
        .size:           4
        .value_kind:     by_value
      - .offset:         128
        .size:           4
        .value_kind:     by_value
      - .offset:         132
        .size:           4
        .value_kind:     by_value
      - .offset:         136
        .size:           4
        .value_kind:     by_value
      - .offset:         140
        .size:           4
        .value_kind:     by_value
      - .offset:         144
        .size:           4
        .value_kind:     by_value
      - .offset:         152
        .size:           8
        .value_kind:     by_value
      - .offset:         160
        .size:           4
        .value_kind:     by_value
      - .offset:         164
        .size:           4
        .value_kind:     by_value
      - .offset:         168
        .size:           8
        .value_kind:     by_value
      - .offset:         176
        .size:           4
        .value_kind:     by_value
      - .offset:         180
        .size:           4
        .value_kind:     by_value
      - .offset:         184
        .size:           4
        .value_kind:     by_value
      - .offset:         188
        .size:           4
        .value_kind:     by_value
      - .offset:         192
        .size:           4
        .value_kind:     by_value
      - .offset:         200
        .size:           8
        .value_kind:     by_value
      - .offset:         208
        .size:           4
        .value_kind:     hidden_block_count_x
      - .offset:         212
        .size:           4
        .value_kind:     hidden_block_count_y
      - .offset:         216
        .size:           4
        .value_kind:     hidden_block_count_z
      - .offset:         220
        .size:           2
        .value_kind:     hidden_group_size_x
      - .offset:         222
        .size:           2
        .value_kind:     hidden_group_size_y
      - .offset:         224
        .size:           2
        .value_kind:     hidden_group_size_z
      - .offset:         226
        .size:           2
        .value_kind:     hidden_remainder_x
      - .offset:         228
        .size:           2
        .value_kind:     hidden_remainder_y
      - .offset:         230
        .size:           2
        .value_kind:     hidden_remainder_z
      - .offset:         248
        .size:           8
        .value_kind:     hidden_global_offset_x
      - .offset:         256
        .size:           8
        .value_kind:     hidden_global_offset_y
      - .offset:         264
        .size:           8
        .value_kind:     hidden_global_offset_z
      - .offset:         272
        .size:           2
        .value_kind:     hidden_grid_dims
      - .offset:         288
        .size:           8
        .value_kind:     hidden_hostcall_buffer
    .group_segment_fixed_size: 0
    .kernarg_segment_align: 8
    .kernarg_segment_size: 464
    .language:       OpenCL C
    .language_version:
      - 2
      - 0
    .max_flat_workgroup_size: 256
    .name:           _ZL15flash_attn_tileILi64ELi64ELi32ELi2ELb1EEvPKcS1_S1_S1_S1_PKiPfP15HIP_vector_typeIfLj2EEffffjfiS5_IjLj3EEiiiiiiiiiiiliiliiiiil
    .private_segment_fixed_size: 16
    .sgpr_count:     40
    .sgpr_spill_count: 0
    .symbol:         _ZL15flash_attn_tileILi64ELi64ELi32ELi2ELb1EEvPKcS1_S1_S1_S1_PKiPfP15HIP_vector_typeIfLj2EEffffjfiS5_IjLj3EEiiiiiiiiiiiliiliiiiil.kd
    .uniform_work_group_size: 1
    .uses_dynamic_stack: false
    .vgpr_count:     50
    .vgpr_spill_count: 0
    .wavefront_size: 64
  - .agpr_count:     0
    .args:
      - .address_space:  global
        .offset:         0
        .size:           8
        .value_kind:     global_buffer
      - .address_space:  global
        .offset:         8
        .size:           8
        .value_kind:     global_buffer
      - .address_space:  global
        .offset:         16
        .size:           8
        .value_kind:     global_buffer
      - .address_space:  global
        .offset:         24
        .size:           8
        .value_kind:     global_buffer
      - .address_space:  global
        .offset:         32
        .size:           8
        .value_kind:     global_buffer
      - .address_space:  global
        .offset:         40
        .size:           8
        .value_kind:     global_buffer
      - .address_space:  global
        .offset:         48
        .size:           8
        .value_kind:     global_buffer
      - .address_space:  global
        .offset:         56
        .size:           8
        .value_kind:     global_buffer
      - .offset:         64
        .size:           4
        .value_kind:     by_value
      - .offset:         68
        .size:           4
        .value_kind:     by_value
      - .offset:         72
        .size:           4
        .value_kind:     by_value
      - .offset:         76
        .size:           4
        .value_kind:     by_value
      - .offset:         80
        .size:           4
        .value_kind:     by_value
      - .offset:         84
        .size:           4
        .value_kind:     by_value
      - .offset:         88
        .size:           4
        .value_kind:     by_value
      - .offset:         92
        .size:           12
        .value_kind:     by_value
      - .offset:         104
        .size:           4
        .value_kind:     by_value
      - .offset:         108
        .size:           4
        .value_kind:     by_value
      - .offset:         112
        .size:           4
        .value_kind:     by_value
      - .offset:         116
        .size:           4
        .value_kind:     by_value
      - .offset:         120
        .size:           4
        .value_kind:     by_value
      - .offset:         124
        .size:           4
        .value_kind:     by_value
      - .offset:         128
        .size:           4
        .value_kind:     by_value
      - .offset:         132
        .size:           4
        .value_kind:     by_value
      - .offset:         136
        .size:           4
        .value_kind:     by_value
      - .offset:         140
        .size:           4
        .value_kind:     by_value
      - .offset:         144
        .size:           4
        .value_kind:     by_value
      - .offset:         152
        .size:           8
        .value_kind:     by_value
      - .offset:         160
        .size:           4
        .value_kind:     by_value
      - .offset:         164
        .size:           4
        .value_kind:     by_value
      - .offset:         168
        .size:           8
        .value_kind:     by_value
      - .offset:         176
        .size:           4
        .value_kind:     by_value
      - .offset:         180
        .size:           4
        .value_kind:     by_value
      - .offset:         184
        .size:           4
        .value_kind:     by_value
      - .offset:         188
        .size:           4
        .value_kind:     by_value
      - .offset:         192
        .size:           4
        .value_kind:     by_value
      - .offset:         200
        .size:           8
        .value_kind:     by_value
      - .offset:         208
        .size:           4
        .value_kind:     hidden_block_count_x
      - .offset:         212
        .size:           4
        .value_kind:     hidden_block_count_y
      - .offset:         216
        .size:           4
        .value_kind:     hidden_block_count_z
      - .offset:         220
        .size:           2
        .value_kind:     hidden_group_size_x
      - .offset:         222
        .size:           2
        .value_kind:     hidden_group_size_y
      - .offset:         224
        .size:           2
        .value_kind:     hidden_group_size_z
      - .offset:         226
        .size:           2
        .value_kind:     hidden_remainder_x
      - .offset:         228
        .size:           2
        .value_kind:     hidden_remainder_y
      - .offset:         230
        .size:           2
        .value_kind:     hidden_remainder_z
      - .offset:         248
        .size:           8
        .value_kind:     hidden_global_offset_x
      - .offset:         256
        .size:           8
        .value_kind:     hidden_global_offset_y
      - .offset:         264
        .size:           8
        .value_kind:     hidden_global_offset_z
      - .offset:         272
        .size:           2
        .value_kind:     hidden_grid_dims
      - .offset:         288
        .size:           8
        .value_kind:     hidden_hostcall_buffer
    .group_segment_fixed_size: 0
    .kernarg_segment_align: 8
    .kernarg_segment_size: 464
    .language:       OpenCL C
    .language_version:
      - 2
      - 0
    .max_flat_workgroup_size: 256
    .name:           _ZL15flash_attn_tileILi64ELi64ELi16ELi2ELb1EEvPKcS1_S1_S1_S1_PKiPfP15HIP_vector_typeIfLj2EEffffjfiS5_IjLj3EEiiiiiiiiiiiliiliiiiil
    .private_segment_fixed_size: 16
    .sgpr_count:     40
    .sgpr_spill_count: 0
    .symbol:         _ZL15flash_attn_tileILi64ELi64ELi16ELi2ELb1EEvPKcS1_S1_S1_S1_PKiPfP15HIP_vector_typeIfLj2EEffffjfiS5_IjLj3EEiiiiiiiiiiiliiliiiiil.kd
    .uniform_work_group_size: 1
    .uses_dynamic_stack: false
    .vgpr_count:     50
    .vgpr_spill_count: 0
    .wavefront_size: 64
  - .agpr_count:     0
    .args:
      - .address_space:  global
        .offset:         0
        .size:           8
        .value_kind:     global_buffer
      - .address_space:  global
        .offset:         8
        .size:           8
        .value_kind:     global_buffer
      - .address_space:  global
        .offset:         16
        .size:           8
        .value_kind:     global_buffer
      - .address_space:  global
        .offset:         24
        .size:           8
        .value_kind:     global_buffer
      - .address_space:  global
        .offset:         32
        .size:           8
        .value_kind:     global_buffer
      - .address_space:  global
        .offset:         40
        .size:           8
        .value_kind:     global_buffer
      - .address_space:  global
        .offset:         48
        .size:           8
        .value_kind:     global_buffer
      - .address_space:  global
        .offset:         56
        .size:           8
        .value_kind:     global_buffer
      - .offset:         64
        .size:           4
        .value_kind:     by_value
      - .offset:         68
        .size:           4
        .value_kind:     by_value
      - .offset:         72
        .size:           4
        .value_kind:     by_value
      - .offset:         76
        .size:           4
        .value_kind:     by_value
      - .offset:         80
        .size:           4
        .value_kind:     by_value
      - .offset:         84
        .size:           4
        .value_kind:     by_value
      - .offset:         88
        .size:           4
        .value_kind:     by_value
      - .offset:         92
        .size:           12
        .value_kind:     by_value
      - .offset:         104
        .size:           4
        .value_kind:     by_value
      - .offset:         108
        .size:           4
        .value_kind:     by_value
      - .offset:         112
        .size:           4
        .value_kind:     by_value
      - .offset:         116
        .size:           4
        .value_kind:     by_value
      - .offset:         120
        .size:           4
        .value_kind:     by_value
      - .offset:         124
        .size:           4
        .value_kind:     by_value
      - .offset:         128
        .size:           4
        .value_kind:     by_value
      - .offset:         132
        .size:           4
        .value_kind:     by_value
      - .offset:         136
        .size:           4
        .value_kind:     by_value
      - .offset:         140
        .size:           4
        .value_kind:     by_value
      - .offset:         144
        .size:           4
        .value_kind:     by_value
      - .offset:         152
        .size:           8
        .value_kind:     by_value
      - .offset:         160
        .size:           4
        .value_kind:     by_value
      - .offset:         164
        .size:           4
        .value_kind:     by_value
      - .offset:         168
        .size:           8
        .value_kind:     by_value
      - .offset:         176
        .size:           4
        .value_kind:     by_value
      - .offset:         180
        .size:           4
        .value_kind:     by_value
      - .offset:         184
        .size:           4
        .value_kind:     by_value
      - .offset:         188
        .size:           4
        .value_kind:     by_value
      - .offset:         192
        .size:           4
        .value_kind:     by_value
      - .offset:         200
        .size:           8
        .value_kind:     by_value
      - .offset:         208
        .size:           4
        .value_kind:     hidden_block_count_x
      - .offset:         212
        .size:           4
        .value_kind:     hidden_block_count_y
      - .offset:         216
        .size:           4
        .value_kind:     hidden_block_count_z
      - .offset:         220
        .size:           2
        .value_kind:     hidden_group_size_x
      - .offset:         222
        .size:           2
        .value_kind:     hidden_group_size_y
      - .offset:         224
        .size:           2
        .value_kind:     hidden_group_size_z
      - .offset:         226
        .size:           2
        .value_kind:     hidden_remainder_x
      - .offset:         228
        .size:           2
        .value_kind:     hidden_remainder_y
      - .offset:         230
        .size:           2
        .value_kind:     hidden_remainder_z
      - .offset:         248
        .size:           8
        .value_kind:     hidden_global_offset_x
      - .offset:         256
        .size:           8
        .value_kind:     hidden_global_offset_y
      - .offset:         264
        .size:           8
        .value_kind:     hidden_global_offset_z
      - .offset:         272
        .size:           2
        .value_kind:     hidden_grid_dims
      - .offset:         288
        .size:           8
        .value_kind:     hidden_hostcall_buffer
    .group_segment_fixed_size: 0
    .kernarg_segment_align: 8
    .kernarg_segment_size: 464
    .language:       OpenCL C
    .language_version:
      - 2
      - 0
    .max_flat_workgroup_size: 256
    .name:           _ZL15flash_attn_tileILi64ELi64ELi8ELi2ELb1EEvPKcS1_S1_S1_S1_PKiPfP15HIP_vector_typeIfLj2EEffffjfiS5_IjLj3EEiiiiiiiiiiiliiliiiiil
    .private_segment_fixed_size: 16
    .sgpr_count:     40
    .sgpr_spill_count: 0
    .symbol:         _ZL15flash_attn_tileILi64ELi64ELi8ELi2ELb1EEvPKcS1_S1_S1_S1_PKiPfP15HIP_vector_typeIfLj2EEffffjfiS5_IjLj3EEiiiiiiiiiiiliiliiiiil.kd
    .uniform_work_group_size: 1
    .uses_dynamic_stack: false
    .vgpr_count:     50
    .vgpr_spill_count: 0
    .wavefront_size: 64
  - .agpr_count:     0
    .args:
      - .address_space:  global
        .offset:         0
        .size:           8
        .value_kind:     global_buffer
      - .address_space:  global
        .offset:         8
        .size:           8
        .value_kind:     global_buffer
      - .address_space:  global
        .offset:         16
        .size:           8
        .value_kind:     global_buffer
      - .address_space:  global
        .offset:         24
        .size:           8
        .value_kind:     global_buffer
      - .address_space:  global
        .offset:         32
        .size:           8
        .value_kind:     global_buffer
      - .address_space:  global
        .offset:         40
        .size:           8
        .value_kind:     global_buffer
      - .address_space:  global
        .offset:         48
        .size:           8
        .value_kind:     global_buffer
      - .address_space:  global
        .offset:         56
        .size:           8
        .value_kind:     global_buffer
      - .offset:         64
        .size:           4
        .value_kind:     by_value
      - .offset:         68
        .size:           4
        .value_kind:     by_value
      - .offset:         72
        .size:           4
        .value_kind:     by_value
      - .offset:         76
        .size:           4
        .value_kind:     by_value
      - .offset:         80
        .size:           4
        .value_kind:     by_value
      - .offset:         84
        .size:           4
        .value_kind:     by_value
      - .offset:         88
        .size:           4
        .value_kind:     by_value
      - .offset:         92
        .size:           12
        .value_kind:     by_value
      - .offset:         104
        .size:           4
        .value_kind:     by_value
      - .offset:         108
        .size:           4
        .value_kind:     by_value
      - .offset:         112
        .size:           4
        .value_kind:     by_value
      - .offset:         116
        .size:           4
        .value_kind:     by_value
      - .offset:         120
        .size:           4
        .value_kind:     by_value
      - .offset:         124
        .size:           4
        .value_kind:     by_value
      - .offset:         128
        .size:           4
        .value_kind:     by_value
      - .offset:         132
        .size:           4
        .value_kind:     by_value
      - .offset:         136
        .size:           4
        .value_kind:     by_value
      - .offset:         140
        .size:           4
        .value_kind:     by_value
      - .offset:         144
        .size:           4
        .value_kind:     by_value
      - .offset:         152
        .size:           8
        .value_kind:     by_value
      - .offset:         160
        .size:           4
        .value_kind:     by_value
      - .offset:         164
        .size:           4
        .value_kind:     by_value
      - .offset:         168
        .size:           8
        .value_kind:     by_value
      - .offset:         176
        .size:           4
        .value_kind:     by_value
      - .offset:         180
        .size:           4
        .value_kind:     by_value
      - .offset:         184
        .size:           4
        .value_kind:     by_value
      - .offset:         188
        .size:           4
        .value_kind:     by_value
      - .offset:         192
        .size:           4
        .value_kind:     by_value
      - .offset:         200
        .size:           8
        .value_kind:     by_value
      - .offset:         208
        .size:           4
        .value_kind:     hidden_block_count_x
      - .offset:         212
        .size:           4
        .value_kind:     hidden_block_count_y
      - .offset:         216
        .size:           4
        .value_kind:     hidden_block_count_z
      - .offset:         220
        .size:           2
        .value_kind:     hidden_group_size_x
      - .offset:         222
        .size:           2
        .value_kind:     hidden_group_size_y
      - .offset:         224
        .size:           2
        .value_kind:     hidden_group_size_z
      - .offset:         226
        .size:           2
        .value_kind:     hidden_remainder_x
      - .offset:         228
        .size:           2
        .value_kind:     hidden_remainder_y
      - .offset:         230
        .size:           2
        .value_kind:     hidden_remainder_z
      - .offset:         248
        .size:           8
        .value_kind:     hidden_global_offset_x
      - .offset:         256
        .size:           8
        .value_kind:     hidden_global_offset_y
      - .offset:         264
        .size:           8
        .value_kind:     hidden_global_offset_z
      - .offset:         272
        .size:           2
        .value_kind:     hidden_grid_dims
      - .offset:         288
        .size:           8
        .value_kind:     hidden_hostcall_buffer
    .group_segment_fixed_size: 0
    .kernarg_segment_align: 8
    .kernarg_segment_size: 464
    .language:       OpenCL C
    .language_version:
      - 2
      - 0
    .max_flat_workgroup_size: 128
    .name:           _ZL15flash_attn_tileILi64ELi64ELi4ELi2ELb1EEvPKcS1_S1_S1_S1_PKiPfP15HIP_vector_typeIfLj2EEffffjfiS5_IjLj3EEiiiiiiiiiiiliiliiiiil
    .private_segment_fixed_size: 16
    .sgpr_count:     40
    .sgpr_spill_count: 0
    .symbol:         _ZL15flash_attn_tileILi64ELi64ELi4ELi2ELb1EEvPKcS1_S1_S1_S1_PKiPfP15HIP_vector_typeIfLj2EEffffjfiS5_IjLj3EEiiiiiiiiiiiliiliiiiil.kd
    .uniform_work_group_size: 1
    .uses_dynamic_stack: false
    .vgpr_count:     50
    .vgpr_spill_count: 0
    .wavefront_size: 64
  - .agpr_count:     0
    .args:
      - .address_space:  global
        .offset:         0
        .size:           8
        .value_kind:     global_buffer
      - .address_space:  global
        .offset:         8
        .size:           8
        .value_kind:     global_buffer
      - .address_space:  global
        .offset:         16
        .size:           8
        .value_kind:     global_buffer
      - .address_space:  global
        .offset:         24
        .size:           8
        .value_kind:     global_buffer
      - .address_space:  global
        .offset:         32
        .size:           8
        .value_kind:     global_buffer
      - .address_space:  global
        .offset:         40
        .size:           8
        .value_kind:     global_buffer
      - .address_space:  global
        .offset:         48
        .size:           8
        .value_kind:     global_buffer
      - .address_space:  global
        .offset:         56
        .size:           8
        .value_kind:     global_buffer
      - .offset:         64
        .size:           4
        .value_kind:     by_value
      - .offset:         68
        .size:           4
        .value_kind:     by_value
      - .offset:         72
        .size:           4
        .value_kind:     by_value
      - .offset:         76
        .size:           4
        .value_kind:     by_value
      - .offset:         80
        .size:           4
        .value_kind:     by_value
      - .offset:         84
        .size:           4
        .value_kind:     by_value
      - .offset:         88
        .size:           4
        .value_kind:     by_value
      - .offset:         92
        .size:           12
        .value_kind:     by_value
      - .offset:         104
        .size:           4
        .value_kind:     by_value
      - .offset:         108
        .size:           4
        .value_kind:     by_value
      - .offset:         112
        .size:           4
        .value_kind:     by_value
      - .offset:         116
        .size:           4
        .value_kind:     by_value
      - .offset:         120
        .size:           4
        .value_kind:     by_value
      - .offset:         124
        .size:           4
        .value_kind:     by_value
      - .offset:         128
        .size:           4
        .value_kind:     by_value
      - .offset:         132
        .size:           4
        .value_kind:     by_value
      - .offset:         136
        .size:           4
        .value_kind:     by_value
      - .offset:         140
        .size:           4
        .value_kind:     by_value
      - .offset:         144
        .size:           4
        .value_kind:     by_value
      - .offset:         152
        .size:           8
        .value_kind:     by_value
      - .offset:         160
        .size:           4
        .value_kind:     by_value
      - .offset:         164
        .size:           4
        .value_kind:     by_value
      - .offset:         168
        .size:           8
        .value_kind:     by_value
      - .offset:         176
        .size:           4
        .value_kind:     by_value
      - .offset:         180
        .size:           4
        .value_kind:     by_value
      - .offset:         184
        .size:           4
        .value_kind:     by_value
      - .offset:         188
        .size:           4
        .value_kind:     by_value
      - .offset:         192
        .size:           4
        .value_kind:     by_value
      - .offset:         200
        .size:           8
        .value_kind:     by_value
      - .offset:         208
        .size:           4
        .value_kind:     hidden_block_count_x
      - .offset:         212
        .size:           4
        .value_kind:     hidden_block_count_y
      - .offset:         216
        .size:           4
        .value_kind:     hidden_block_count_z
      - .offset:         220
        .size:           2
        .value_kind:     hidden_group_size_x
      - .offset:         222
        .size:           2
        .value_kind:     hidden_group_size_y
      - .offset:         224
        .size:           2
        .value_kind:     hidden_group_size_z
      - .offset:         226
        .size:           2
        .value_kind:     hidden_remainder_x
      - .offset:         228
        .size:           2
        .value_kind:     hidden_remainder_y
      - .offset:         230
        .size:           2
        .value_kind:     hidden_remainder_z
      - .offset:         248
        .size:           8
        .value_kind:     hidden_global_offset_x
      - .offset:         256
        .size:           8
        .value_kind:     hidden_global_offset_y
      - .offset:         264
        .size:           8
        .value_kind:     hidden_global_offset_z
      - .offset:         272
        .size:           2
        .value_kind:     hidden_grid_dims
      - .offset:         288
        .size:           8
        .value_kind:     hidden_hostcall_buffer
    .group_segment_fixed_size: 0
    .kernarg_segment_align: 8
    .kernarg_segment_size: 464
    .language:       OpenCL C
    .language_version:
      - 2
      - 0
    .max_flat_workgroup_size: 128
    .name:           _ZL15flash_attn_tileILi64ELi64ELi2ELi2ELb1EEvPKcS1_S1_S1_S1_PKiPfP15HIP_vector_typeIfLj2EEffffjfiS5_IjLj3EEiiiiiiiiiiiliiliiiiil
    .private_segment_fixed_size: 16
    .sgpr_count:     40
    .sgpr_spill_count: 0
    .symbol:         _ZL15flash_attn_tileILi64ELi64ELi2ELi2ELb1EEvPKcS1_S1_S1_S1_PKiPfP15HIP_vector_typeIfLj2EEffffjfiS5_IjLj3EEiiiiiiiiiiiliiliiiiil.kd
    .uniform_work_group_size: 1
    .uses_dynamic_stack: false
    .vgpr_count:     50
    .vgpr_spill_count: 0
    .wavefront_size: 64
  - .agpr_count:     0
    .args:
      - .address_space:  global
        .offset:         0
        .size:           8
        .value_kind:     global_buffer
      - .address_space:  global
        .offset:         8
        .size:           8
        .value_kind:     global_buffer
      - .address_space:  global
        .offset:         16
        .size:           8
        .value_kind:     global_buffer
      - .address_space:  global
        .offset:         24
        .size:           8
        .value_kind:     global_buffer
      - .address_space:  global
        .offset:         32
        .size:           8
        .value_kind:     global_buffer
      - .address_space:  global
        .offset:         40
        .size:           8
        .value_kind:     global_buffer
      - .address_space:  global
        .offset:         48
        .size:           8
        .value_kind:     global_buffer
      - .address_space:  global
        .offset:         56
        .size:           8
        .value_kind:     global_buffer
      - .offset:         64
        .size:           4
        .value_kind:     by_value
      - .offset:         68
        .size:           4
        .value_kind:     by_value
      - .offset:         72
        .size:           4
        .value_kind:     by_value
      - .offset:         76
        .size:           4
        .value_kind:     by_value
      - .offset:         80
        .size:           4
        .value_kind:     by_value
      - .offset:         84
        .size:           4
        .value_kind:     by_value
      - .offset:         88
        .size:           4
        .value_kind:     by_value
      - .offset:         92
        .size:           12
        .value_kind:     by_value
      - .offset:         104
        .size:           4
        .value_kind:     by_value
      - .offset:         108
        .size:           4
        .value_kind:     by_value
      - .offset:         112
        .size:           4
        .value_kind:     by_value
      - .offset:         116
        .size:           4
        .value_kind:     by_value
      - .offset:         120
        .size:           4
        .value_kind:     by_value
      - .offset:         124
        .size:           4
        .value_kind:     by_value
      - .offset:         128
        .size:           4
        .value_kind:     by_value
      - .offset:         132
        .size:           4
        .value_kind:     by_value
      - .offset:         136
        .size:           4
        .value_kind:     by_value
      - .offset:         140
        .size:           4
        .value_kind:     by_value
      - .offset:         144
        .size:           4
        .value_kind:     by_value
      - .offset:         152
        .size:           8
        .value_kind:     by_value
      - .offset:         160
        .size:           4
        .value_kind:     by_value
      - .offset:         164
        .size:           4
        .value_kind:     by_value
      - .offset:         168
        .size:           8
        .value_kind:     by_value
      - .offset:         176
        .size:           4
        .value_kind:     by_value
      - .offset:         180
        .size:           4
        .value_kind:     by_value
      - .offset:         184
        .size:           4
        .value_kind:     by_value
      - .offset:         188
        .size:           4
        .value_kind:     by_value
      - .offset:         192
        .size:           4
        .value_kind:     by_value
      - .offset:         200
        .size:           8
        .value_kind:     by_value
      - .offset:         208
        .size:           4
        .value_kind:     hidden_block_count_x
      - .offset:         212
        .size:           4
        .value_kind:     hidden_block_count_y
      - .offset:         216
        .size:           4
        .value_kind:     hidden_block_count_z
      - .offset:         220
        .size:           2
        .value_kind:     hidden_group_size_x
      - .offset:         222
        .size:           2
        .value_kind:     hidden_group_size_y
      - .offset:         224
        .size:           2
        .value_kind:     hidden_group_size_z
      - .offset:         226
        .size:           2
        .value_kind:     hidden_remainder_x
      - .offset:         228
        .size:           2
        .value_kind:     hidden_remainder_y
      - .offset:         230
        .size:           2
        .value_kind:     hidden_remainder_z
      - .offset:         248
        .size:           8
        .value_kind:     hidden_global_offset_x
      - .offset:         256
        .size:           8
        .value_kind:     hidden_global_offset_y
      - .offset:         264
        .size:           8
        .value_kind:     hidden_global_offset_z
      - .offset:         272
        .size:           2
        .value_kind:     hidden_grid_dims
      - .offset:         288
        .size:           8
        .value_kind:     hidden_hostcall_buffer
    .group_segment_fixed_size: 0
    .kernarg_segment_align: 8
    .kernarg_segment_size: 464
    .language:       OpenCL C
    .language_version:
      - 2
      - 0
    .max_flat_workgroup_size: 64
    .name:           _ZL15flash_attn_tileILi64ELi64ELi1ELi2ELb1EEvPKcS1_S1_S1_S1_PKiPfP15HIP_vector_typeIfLj2EEffffjfiS5_IjLj3EEiiiiiiiiiiiliiliiiiil
    .private_segment_fixed_size: 16
    .sgpr_count:     40
    .sgpr_spill_count: 0
    .symbol:         _ZL15flash_attn_tileILi64ELi64ELi1ELi2ELb1EEvPKcS1_S1_S1_S1_PKiPfP15HIP_vector_typeIfLj2EEffffjfiS5_IjLj3EEiiiiiiiiiiiliiliiiiil.kd
    .uniform_work_group_size: 1
    .uses_dynamic_stack: false
    .vgpr_count:     50
    .vgpr_spill_count: 0
    .wavefront_size: 64
  - .agpr_count:     0
    .args:
      - .address_space:  global
        .offset:         0
        .size:           8
        .value_kind:     global_buffer
      - .address_space:  global
        .offset:         8
        .size:           8
        .value_kind:     global_buffer
      - .address_space:  global
        .offset:         16
        .size:           8
        .value_kind:     global_buffer
      - .address_space:  global
        .offset:         24
        .size:           8
        .value_kind:     global_buffer
      - .address_space:  global
        .offset:         32
        .size:           8
        .value_kind:     global_buffer
      - .address_space:  global
        .offset:         40
        .size:           8
        .value_kind:     global_buffer
      - .address_space:  global
        .offset:         48
        .size:           8
        .value_kind:     global_buffer
      - .address_space:  global
        .offset:         56
        .size:           8
        .value_kind:     global_buffer
      - .offset:         64
        .size:           4
        .value_kind:     by_value
      - .offset:         68
        .size:           4
        .value_kind:     by_value
      - .offset:         72
        .size:           4
        .value_kind:     by_value
      - .offset:         76
        .size:           4
        .value_kind:     by_value
      - .offset:         80
        .size:           4
        .value_kind:     by_value
      - .offset:         84
        .size:           4
        .value_kind:     by_value
      - .offset:         88
        .size:           4
        .value_kind:     by_value
      - .offset:         92
        .size:           12
        .value_kind:     by_value
      - .offset:         104
        .size:           4
        .value_kind:     by_value
      - .offset:         108
        .size:           4
        .value_kind:     by_value
      - .offset:         112
        .size:           4
        .value_kind:     by_value
      - .offset:         116
        .size:           4
        .value_kind:     by_value
      - .offset:         120
        .size:           4
        .value_kind:     by_value
      - .offset:         124
        .size:           4
        .value_kind:     by_value
      - .offset:         128
        .size:           4
        .value_kind:     by_value
      - .offset:         132
        .size:           4
        .value_kind:     by_value
      - .offset:         136
        .size:           4
        .value_kind:     by_value
      - .offset:         140
        .size:           4
        .value_kind:     by_value
      - .offset:         144
        .size:           4
        .value_kind:     by_value
      - .offset:         152
        .size:           8
        .value_kind:     by_value
      - .offset:         160
        .size:           4
        .value_kind:     by_value
      - .offset:         164
        .size:           4
        .value_kind:     by_value
      - .offset:         168
        .size:           8
        .value_kind:     by_value
      - .offset:         176
        .size:           4
        .value_kind:     by_value
      - .offset:         180
        .size:           4
        .value_kind:     by_value
      - .offset:         184
        .size:           4
        .value_kind:     by_value
      - .offset:         188
        .size:           4
        .value_kind:     by_value
      - .offset:         192
        .size:           4
        .value_kind:     by_value
      - .offset:         200
        .size:           8
        .value_kind:     by_value
      - .offset:         208
        .size:           4
        .value_kind:     hidden_block_count_x
      - .offset:         212
        .size:           4
        .value_kind:     hidden_block_count_y
      - .offset:         216
        .size:           4
        .value_kind:     hidden_block_count_z
      - .offset:         220
        .size:           2
        .value_kind:     hidden_group_size_x
      - .offset:         222
        .size:           2
        .value_kind:     hidden_group_size_y
      - .offset:         224
        .size:           2
        .value_kind:     hidden_group_size_z
      - .offset:         226
        .size:           2
        .value_kind:     hidden_remainder_x
      - .offset:         228
        .size:           2
        .value_kind:     hidden_remainder_y
      - .offset:         230
        .size:           2
        .value_kind:     hidden_remainder_z
      - .offset:         248
        .size:           8
        .value_kind:     hidden_global_offset_x
      - .offset:         256
        .size:           8
        .value_kind:     hidden_global_offset_y
      - .offset:         264
        .size:           8
        .value_kind:     hidden_global_offset_z
      - .offset:         272
        .size:           2
        .value_kind:     hidden_grid_dims
      - .offset:         288
        .size:           8
        .value_kind:     hidden_hostcall_buffer
    .group_segment_fixed_size: 0
    .kernarg_segment_align: 8
    .kernarg_segment_size: 464
    .language:       OpenCL C
    .language_version:
      - 2
      - 0
    .max_flat_workgroup_size: 256
    .name:           _ZL15flash_attn_tileILi64ELi64ELi64ELi1ELb1EEvPKcS1_S1_S1_S1_PKiPfP15HIP_vector_typeIfLj2EEffffjfiS5_IjLj3EEiiiiiiiiiiiliiliiiiil
    .private_segment_fixed_size: 16
    .sgpr_count:     40
    .sgpr_spill_count: 0
    .symbol:         _ZL15flash_attn_tileILi64ELi64ELi64ELi1ELb1EEvPKcS1_S1_S1_S1_PKiPfP15HIP_vector_typeIfLj2EEffffjfiS5_IjLj3EEiiiiiiiiiiiliiliiiiil.kd
    .uniform_work_group_size: 1
    .uses_dynamic_stack: false
    .vgpr_count:     50
    .vgpr_spill_count: 0
    .wavefront_size: 64
  - .agpr_count:     0
    .args:
      - .address_space:  global
        .offset:         0
        .size:           8
        .value_kind:     global_buffer
      - .address_space:  global
        .offset:         8
        .size:           8
        .value_kind:     global_buffer
      - .address_space:  global
        .offset:         16
        .size:           8
        .value_kind:     global_buffer
      - .address_space:  global
        .offset:         24
        .size:           8
        .value_kind:     global_buffer
      - .address_space:  global
        .offset:         32
        .size:           8
        .value_kind:     global_buffer
      - .address_space:  global
        .offset:         40
        .size:           8
        .value_kind:     global_buffer
      - .address_space:  global
        .offset:         48
        .size:           8
        .value_kind:     global_buffer
      - .address_space:  global
        .offset:         56
        .size:           8
        .value_kind:     global_buffer
      - .offset:         64
        .size:           4
        .value_kind:     by_value
      - .offset:         68
        .size:           4
        .value_kind:     by_value
      - .offset:         72
        .size:           4
        .value_kind:     by_value
      - .offset:         76
        .size:           4
        .value_kind:     by_value
      - .offset:         80
        .size:           4
        .value_kind:     by_value
      - .offset:         84
        .size:           4
        .value_kind:     by_value
      - .offset:         88
        .size:           4
        .value_kind:     by_value
      - .offset:         92
        .size:           12
        .value_kind:     by_value
      - .offset:         104
        .size:           4
        .value_kind:     by_value
      - .offset:         108
        .size:           4
        .value_kind:     by_value
      - .offset:         112
        .size:           4
        .value_kind:     by_value
      - .offset:         116
        .size:           4
        .value_kind:     by_value
      - .offset:         120
        .size:           4
        .value_kind:     by_value
      - .offset:         124
        .size:           4
        .value_kind:     by_value
      - .offset:         128
        .size:           4
        .value_kind:     by_value
      - .offset:         132
        .size:           4
        .value_kind:     by_value
      - .offset:         136
        .size:           4
        .value_kind:     by_value
      - .offset:         140
        .size:           4
        .value_kind:     by_value
      - .offset:         144
        .size:           4
        .value_kind:     by_value
      - .offset:         152
        .size:           8
        .value_kind:     by_value
      - .offset:         160
        .size:           4
        .value_kind:     by_value
      - .offset:         164
        .size:           4
        .value_kind:     by_value
      - .offset:         168
        .size:           8
        .value_kind:     by_value
      - .offset:         176
        .size:           4
        .value_kind:     by_value
      - .offset:         180
        .size:           4
        .value_kind:     by_value
      - .offset:         184
        .size:           4
        .value_kind:     by_value
      - .offset:         188
        .size:           4
        .value_kind:     by_value
      - .offset:         192
        .size:           4
        .value_kind:     by_value
      - .offset:         200
        .size:           8
        .value_kind:     by_value
      - .offset:         208
        .size:           4
        .value_kind:     hidden_block_count_x
      - .offset:         212
        .size:           4
        .value_kind:     hidden_block_count_y
      - .offset:         216
        .size:           4
        .value_kind:     hidden_block_count_z
      - .offset:         220
        .size:           2
        .value_kind:     hidden_group_size_x
      - .offset:         222
        .size:           2
        .value_kind:     hidden_group_size_y
      - .offset:         224
        .size:           2
        .value_kind:     hidden_group_size_z
      - .offset:         226
        .size:           2
        .value_kind:     hidden_remainder_x
      - .offset:         228
        .size:           2
        .value_kind:     hidden_remainder_y
      - .offset:         230
        .size:           2
        .value_kind:     hidden_remainder_z
      - .offset:         248
        .size:           8
        .value_kind:     hidden_global_offset_x
      - .offset:         256
        .size:           8
        .value_kind:     hidden_global_offset_y
      - .offset:         264
        .size:           8
        .value_kind:     hidden_global_offset_z
      - .offset:         272
        .size:           2
        .value_kind:     hidden_grid_dims
      - .offset:         288
        .size:           8
        .value_kind:     hidden_hostcall_buffer
    .group_segment_fixed_size: 0
    .kernarg_segment_align: 8
    .kernarg_segment_size: 464
    .language:       OpenCL C
    .language_version:
      - 2
      - 0
    .max_flat_workgroup_size: 256
    .name:           _ZL15flash_attn_tileILi64ELi64ELi32ELi1ELb1EEvPKcS1_S1_S1_S1_PKiPfP15HIP_vector_typeIfLj2EEffffjfiS5_IjLj3EEiiiiiiiiiiiliiliiiiil
    .private_segment_fixed_size: 16
    .sgpr_count:     40
    .sgpr_spill_count: 0
    .symbol:         _ZL15flash_attn_tileILi64ELi64ELi32ELi1ELb1EEvPKcS1_S1_S1_S1_PKiPfP15HIP_vector_typeIfLj2EEffffjfiS5_IjLj3EEiiiiiiiiiiiliiliiiiil.kd
    .uniform_work_group_size: 1
    .uses_dynamic_stack: false
    .vgpr_count:     50
    .vgpr_spill_count: 0
    .wavefront_size: 64
  - .agpr_count:     0
    .args:
      - .address_space:  global
        .offset:         0
        .size:           8
        .value_kind:     global_buffer
      - .address_space:  global
        .offset:         8
        .size:           8
        .value_kind:     global_buffer
      - .address_space:  global
        .offset:         16
        .size:           8
        .value_kind:     global_buffer
      - .address_space:  global
        .offset:         24
        .size:           8
        .value_kind:     global_buffer
      - .address_space:  global
        .offset:         32
        .size:           8
        .value_kind:     global_buffer
      - .address_space:  global
        .offset:         40
        .size:           8
        .value_kind:     global_buffer
      - .address_space:  global
        .offset:         48
        .size:           8
        .value_kind:     global_buffer
      - .address_space:  global
        .offset:         56
        .size:           8
        .value_kind:     global_buffer
      - .offset:         64
        .size:           4
        .value_kind:     by_value
      - .offset:         68
        .size:           4
        .value_kind:     by_value
      - .offset:         72
        .size:           4
        .value_kind:     by_value
      - .offset:         76
        .size:           4
        .value_kind:     by_value
      - .offset:         80
        .size:           4
        .value_kind:     by_value
      - .offset:         84
        .size:           4
        .value_kind:     by_value
      - .offset:         88
        .size:           4
        .value_kind:     by_value
      - .offset:         92
        .size:           12
        .value_kind:     by_value
      - .offset:         104
        .size:           4
        .value_kind:     by_value
      - .offset:         108
        .size:           4
        .value_kind:     by_value
      - .offset:         112
        .size:           4
        .value_kind:     by_value
      - .offset:         116
        .size:           4
        .value_kind:     by_value
      - .offset:         120
        .size:           4
        .value_kind:     by_value
      - .offset:         124
        .size:           4
        .value_kind:     by_value
      - .offset:         128
        .size:           4
        .value_kind:     by_value
      - .offset:         132
        .size:           4
        .value_kind:     by_value
      - .offset:         136
        .size:           4
        .value_kind:     by_value
      - .offset:         140
        .size:           4
        .value_kind:     by_value
      - .offset:         144
        .size:           4
        .value_kind:     by_value
      - .offset:         152
        .size:           8
        .value_kind:     by_value
      - .offset:         160
        .size:           4
        .value_kind:     by_value
      - .offset:         164
        .size:           4
        .value_kind:     by_value
      - .offset:         168
        .size:           8
        .value_kind:     by_value
      - .offset:         176
        .size:           4
        .value_kind:     by_value
      - .offset:         180
        .size:           4
        .value_kind:     by_value
      - .offset:         184
        .size:           4
        .value_kind:     by_value
      - .offset:         188
        .size:           4
        .value_kind:     by_value
      - .offset:         192
        .size:           4
        .value_kind:     by_value
      - .offset:         200
        .size:           8
        .value_kind:     by_value
      - .offset:         208
        .size:           4
        .value_kind:     hidden_block_count_x
      - .offset:         212
        .size:           4
        .value_kind:     hidden_block_count_y
      - .offset:         216
        .size:           4
        .value_kind:     hidden_block_count_z
      - .offset:         220
        .size:           2
        .value_kind:     hidden_group_size_x
      - .offset:         222
        .size:           2
        .value_kind:     hidden_group_size_y
      - .offset:         224
        .size:           2
        .value_kind:     hidden_group_size_z
      - .offset:         226
        .size:           2
        .value_kind:     hidden_remainder_x
      - .offset:         228
        .size:           2
        .value_kind:     hidden_remainder_y
      - .offset:         230
        .size:           2
        .value_kind:     hidden_remainder_z
      - .offset:         248
        .size:           8
        .value_kind:     hidden_global_offset_x
      - .offset:         256
        .size:           8
        .value_kind:     hidden_global_offset_y
      - .offset:         264
        .size:           8
        .value_kind:     hidden_global_offset_z
      - .offset:         272
        .size:           2
        .value_kind:     hidden_grid_dims
      - .offset:         288
        .size:           8
        .value_kind:     hidden_hostcall_buffer
    .group_segment_fixed_size: 0
    .kernarg_segment_align: 8
    .kernarg_segment_size: 464
    .language:       OpenCL C
    .language_version:
      - 2
      - 0
    .max_flat_workgroup_size: 256
    .name:           _ZL15flash_attn_tileILi64ELi64ELi16ELi1ELb1EEvPKcS1_S1_S1_S1_PKiPfP15HIP_vector_typeIfLj2EEffffjfiS5_IjLj3EEiiiiiiiiiiiliiliiiiil
    .private_segment_fixed_size: 16
    .sgpr_count:     40
    .sgpr_spill_count: 0
    .symbol:         _ZL15flash_attn_tileILi64ELi64ELi16ELi1ELb1EEvPKcS1_S1_S1_S1_PKiPfP15HIP_vector_typeIfLj2EEffffjfiS5_IjLj3EEiiiiiiiiiiiliiliiiiil.kd
    .uniform_work_group_size: 1
    .uses_dynamic_stack: false
    .vgpr_count:     50
    .vgpr_spill_count: 0
    .wavefront_size: 64
  - .agpr_count:     0
    .args:
      - .address_space:  global
        .offset:         0
        .size:           8
        .value_kind:     global_buffer
      - .address_space:  global
        .offset:         8
        .size:           8
        .value_kind:     global_buffer
      - .address_space:  global
        .offset:         16
        .size:           8
        .value_kind:     global_buffer
      - .address_space:  global
        .offset:         24
        .size:           8
        .value_kind:     global_buffer
      - .address_space:  global
        .offset:         32
        .size:           8
        .value_kind:     global_buffer
      - .address_space:  global
        .offset:         40
        .size:           8
        .value_kind:     global_buffer
      - .address_space:  global
        .offset:         48
        .size:           8
        .value_kind:     global_buffer
      - .address_space:  global
        .offset:         56
        .size:           8
        .value_kind:     global_buffer
      - .offset:         64
        .size:           4
        .value_kind:     by_value
      - .offset:         68
        .size:           4
        .value_kind:     by_value
      - .offset:         72
        .size:           4
        .value_kind:     by_value
      - .offset:         76
        .size:           4
        .value_kind:     by_value
      - .offset:         80
        .size:           4
        .value_kind:     by_value
      - .offset:         84
        .size:           4
        .value_kind:     by_value
      - .offset:         88
        .size:           4
        .value_kind:     by_value
      - .offset:         92
        .size:           12
        .value_kind:     by_value
      - .offset:         104
        .size:           4
        .value_kind:     by_value
      - .offset:         108
        .size:           4
        .value_kind:     by_value
      - .offset:         112
        .size:           4
        .value_kind:     by_value
      - .offset:         116
        .size:           4
        .value_kind:     by_value
      - .offset:         120
        .size:           4
        .value_kind:     by_value
      - .offset:         124
        .size:           4
        .value_kind:     by_value
      - .offset:         128
        .size:           4
        .value_kind:     by_value
      - .offset:         132
        .size:           4
        .value_kind:     by_value
      - .offset:         136
        .size:           4
        .value_kind:     by_value
      - .offset:         140
        .size:           4
        .value_kind:     by_value
      - .offset:         144
        .size:           4
        .value_kind:     by_value
      - .offset:         152
        .size:           8
        .value_kind:     by_value
      - .offset:         160
        .size:           4
        .value_kind:     by_value
      - .offset:         164
        .size:           4
        .value_kind:     by_value
      - .offset:         168
        .size:           8
        .value_kind:     by_value
      - .offset:         176
        .size:           4
        .value_kind:     by_value
      - .offset:         180
        .size:           4
        .value_kind:     by_value
      - .offset:         184
        .size:           4
        .value_kind:     by_value
      - .offset:         188
        .size:           4
        .value_kind:     by_value
      - .offset:         192
        .size:           4
        .value_kind:     by_value
      - .offset:         200
        .size:           8
        .value_kind:     by_value
      - .offset:         208
        .size:           4
        .value_kind:     hidden_block_count_x
      - .offset:         212
        .size:           4
        .value_kind:     hidden_block_count_y
      - .offset:         216
        .size:           4
        .value_kind:     hidden_block_count_z
      - .offset:         220
        .size:           2
        .value_kind:     hidden_group_size_x
      - .offset:         222
        .size:           2
        .value_kind:     hidden_group_size_y
      - .offset:         224
        .size:           2
        .value_kind:     hidden_group_size_z
      - .offset:         226
        .size:           2
        .value_kind:     hidden_remainder_x
      - .offset:         228
        .size:           2
        .value_kind:     hidden_remainder_y
      - .offset:         230
        .size:           2
        .value_kind:     hidden_remainder_z
      - .offset:         248
        .size:           8
        .value_kind:     hidden_global_offset_x
      - .offset:         256
        .size:           8
        .value_kind:     hidden_global_offset_y
      - .offset:         264
        .size:           8
        .value_kind:     hidden_global_offset_z
      - .offset:         272
        .size:           2
        .value_kind:     hidden_grid_dims
      - .offset:         288
        .size:           8
        .value_kind:     hidden_hostcall_buffer
    .group_segment_fixed_size: 0
    .kernarg_segment_align: 8
    .kernarg_segment_size: 464
    .language:       OpenCL C
    .language_version:
      - 2
      - 0
    .max_flat_workgroup_size: 128
    .name:           _ZL15flash_attn_tileILi64ELi64ELi8ELi1ELb1EEvPKcS1_S1_S1_S1_PKiPfP15HIP_vector_typeIfLj2EEffffjfiS5_IjLj3EEiiiiiiiiiiiliiliiiiil
    .private_segment_fixed_size: 16
    .sgpr_count:     40
    .sgpr_spill_count: 0
    .symbol:         _ZL15flash_attn_tileILi64ELi64ELi8ELi1ELb1EEvPKcS1_S1_S1_S1_PKiPfP15HIP_vector_typeIfLj2EEffffjfiS5_IjLj3EEiiiiiiiiiiiliiliiiiil.kd
    .uniform_work_group_size: 1
    .uses_dynamic_stack: false
    .vgpr_count:     50
    .vgpr_spill_count: 0
    .wavefront_size: 64
  - .agpr_count:     0
    .args:
      - .address_space:  global
        .offset:         0
        .size:           8
        .value_kind:     global_buffer
      - .address_space:  global
        .offset:         8
        .size:           8
        .value_kind:     global_buffer
      - .address_space:  global
        .offset:         16
        .size:           8
        .value_kind:     global_buffer
      - .address_space:  global
        .offset:         24
        .size:           8
        .value_kind:     global_buffer
      - .address_space:  global
        .offset:         32
        .size:           8
        .value_kind:     global_buffer
      - .address_space:  global
        .offset:         40
        .size:           8
        .value_kind:     global_buffer
      - .address_space:  global
        .offset:         48
        .size:           8
        .value_kind:     global_buffer
      - .address_space:  global
        .offset:         56
        .size:           8
        .value_kind:     global_buffer
      - .offset:         64
        .size:           4
        .value_kind:     by_value
      - .offset:         68
        .size:           4
        .value_kind:     by_value
      - .offset:         72
        .size:           4
        .value_kind:     by_value
      - .offset:         76
        .size:           4
        .value_kind:     by_value
      - .offset:         80
        .size:           4
        .value_kind:     by_value
      - .offset:         84
        .size:           4
        .value_kind:     by_value
      - .offset:         88
        .size:           4
        .value_kind:     by_value
      - .offset:         92
        .size:           12
        .value_kind:     by_value
      - .offset:         104
        .size:           4
        .value_kind:     by_value
      - .offset:         108
        .size:           4
        .value_kind:     by_value
      - .offset:         112
        .size:           4
        .value_kind:     by_value
      - .offset:         116
        .size:           4
        .value_kind:     by_value
      - .offset:         120
        .size:           4
        .value_kind:     by_value
      - .offset:         124
        .size:           4
        .value_kind:     by_value
      - .offset:         128
        .size:           4
        .value_kind:     by_value
      - .offset:         132
        .size:           4
        .value_kind:     by_value
      - .offset:         136
        .size:           4
        .value_kind:     by_value
      - .offset:         140
        .size:           4
        .value_kind:     by_value
      - .offset:         144
        .size:           4
        .value_kind:     by_value
      - .offset:         152
        .size:           8
        .value_kind:     by_value
      - .offset:         160
        .size:           4
        .value_kind:     by_value
      - .offset:         164
        .size:           4
        .value_kind:     by_value
      - .offset:         168
        .size:           8
        .value_kind:     by_value
      - .offset:         176
        .size:           4
        .value_kind:     by_value
      - .offset:         180
        .size:           4
        .value_kind:     by_value
      - .offset:         184
        .size:           4
        .value_kind:     by_value
      - .offset:         188
        .size:           4
        .value_kind:     by_value
      - .offset:         192
        .size:           4
        .value_kind:     by_value
      - .offset:         200
        .size:           8
        .value_kind:     by_value
      - .offset:         208
        .size:           4
        .value_kind:     hidden_block_count_x
      - .offset:         212
        .size:           4
        .value_kind:     hidden_block_count_y
      - .offset:         216
        .size:           4
        .value_kind:     hidden_block_count_z
      - .offset:         220
        .size:           2
        .value_kind:     hidden_group_size_x
      - .offset:         222
        .size:           2
        .value_kind:     hidden_group_size_y
      - .offset:         224
        .size:           2
        .value_kind:     hidden_group_size_z
      - .offset:         226
        .size:           2
        .value_kind:     hidden_remainder_x
      - .offset:         228
        .size:           2
        .value_kind:     hidden_remainder_y
      - .offset:         230
        .size:           2
        .value_kind:     hidden_remainder_z
      - .offset:         248
        .size:           8
        .value_kind:     hidden_global_offset_x
      - .offset:         256
        .size:           8
        .value_kind:     hidden_global_offset_y
      - .offset:         264
        .size:           8
        .value_kind:     hidden_global_offset_z
      - .offset:         272
        .size:           2
        .value_kind:     hidden_grid_dims
      - .offset:         288
        .size:           8
        .value_kind:     hidden_hostcall_buffer
    .group_segment_fixed_size: 0
    .kernarg_segment_align: 8
    .kernarg_segment_size: 464
    .language:       OpenCL C
    .language_version:
      - 2
      - 0
    .max_flat_workgroup_size: 128
    .name:           _ZL15flash_attn_tileILi64ELi64ELi4ELi1ELb1EEvPKcS1_S1_S1_S1_PKiPfP15HIP_vector_typeIfLj2EEffffjfiS5_IjLj3EEiiiiiiiiiiiliiliiiiil
    .private_segment_fixed_size: 16
    .sgpr_count:     40
    .sgpr_spill_count: 0
    .symbol:         _ZL15flash_attn_tileILi64ELi64ELi4ELi1ELb1EEvPKcS1_S1_S1_S1_PKiPfP15HIP_vector_typeIfLj2EEffffjfiS5_IjLj3EEiiiiiiiiiiiliiliiiiil.kd
    .uniform_work_group_size: 1
    .uses_dynamic_stack: false
    .vgpr_count:     50
    .vgpr_spill_count: 0
    .wavefront_size: 64
  - .agpr_count:     0
    .args:
      - .address_space:  global
        .offset:         0
        .size:           8
        .value_kind:     global_buffer
      - .address_space:  global
        .offset:         8
        .size:           8
        .value_kind:     global_buffer
      - .address_space:  global
        .offset:         16
        .size:           8
        .value_kind:     global_buffer
      - .address_space:  global
        .offset:         24
        .size:           8
        .value_kind:     global_buffer
      - .address_space:  global
        .offset:         32
        .size:           8
        .value_kind:     global_buffer
      - .address_space:  global
        .offset:         40
        .size:           8
        .value_kind:     global_buffer
      - .address_space:  global
        .offset:         48
        .size:           8
        .value_kind:     global_buffer
      - .address_space:  global
        .offset:         56
        .size:           8
        .value_kind:     global_buffer
      - .offset:         64
        .size:           4
        .value_kind:     by_value
      - .offset:         68
        .size:           4
        .value_kind:     by_value
      - .offset:         72
        .size:           4
        .value_kind:     by_value
      - .offset:         76
        .size:           4
        .value_kind:     by_value
      - .offset:         80
        .size:           4
        .value_kind:     by_value
      - .offset:         84
        .size:           4
        .value_kind:     by_value
      - .offset:         88
        .size:           4
        .value_kind:     by_value
      - .offset:         92
        .size:           12
        .value_kind:     by_value
      - .offset:         104
        .size:           4
        .value_kind:     by_value
      - .offset:         108
        .size:           4
        .value_kind:     by_value
      - .offset:         112
        .size:           4
        .value_kind:     by_value
      - .offset:         116
        .size:           4
        .value_kind:     by_value
      - .offset:         120
        .size:           4
        .value_kind:     by_value
      - .offset:         124
        .size:           4
        .value_kind:     by_value
      - .offset:         128
        .size:           4
        .value_kind:     by_value
      - .offset:         132
        .size:           4
        .value_kind:     by_value
      - .offset:         136
        .size:           4
        .value_kind:     by_value
      - .offset:         140
        .size:           4
        .value_kind:     by_value
      - .offset:         144
        .size:           4
        .value_kind:     by_value
      - .offset:         152
        .size:           8
        .value_kind:     by_value
      - .offset:         160
        .size:           4
        .value_kind:     by_value
      - .offset:         164
        .size:           4
        .value_kind:     by_value
      - .offset:         168
        .size:           8
        .value_kind:     by_value
      - .offset:         176
        .size:           4
        .value_kind:     by_value
      - .offset:         180
        .size:           4
        .value_kind:     by_value
      - .offset:         184
        .size:           4
        .value_kind:     by_value
      - .offset:         188
        .size:           4
        .value_kind:     by_value
      - .offset:         192
        .size:           4
        .value_kind:     by_value
      - .offset:         200
        .size:           8
        .value_kind:     by_value
      - .offset:         208
        .size:           4
        .value_kind:     hidden_block_count_x
      - .offset:         212
        .size:           4
        .value_kind:     hidden_block_count_y
      - .offset:         216
        .size:           4
        .value_kind:     hidden_block_count_z
      - .offset:         220
        .size:           2
        .value_kind:     hidden_group_size_x
      - .offset:         222
        .size:           2
        .value_kind:     hidden_group_size_y
      - .offset:         224
        .size:           2
        .value_kind:     hidden_group_size_z
      - .offset:         226
        .size:           2
        .value_kind:     hidden_remainder_x
      - .offset:         228
        .size:           2
        .value_kind:     hidden_remainder_y
      - .offset:         230
        .size:           2
        .value_kind:     hidden_remainder_z
      - .offset:         248
        .size:           8
        .value_kind:     hidden_global_offset_x
      - .offset:         256
        .size:           8
        .value_kind:     hidden_global_offset_y
      - .offset:         264
        .size:           8
        .value_kind:     hidden_global_offset_z
      - .offset:         272
        .size:           2
        .value_kind:     hidden_grid_dims
      - .offset:         288
        .size:           8
        .value_kind:     hidden_hostcall_buffer
    .group_segment_fixed_size: 0
    .kernarg_segment_align: 8
    .kernarg_segment_size: 464
    .language:       OpenCL C
    .language_version:
      - 2
      - 0
    .max_flat_workgroup_size: 64
    .name:           _ZL15flash_attn_tileILi64ELi64ELi2ELi1ELb1EEvPKcS1_S1_S1_S1_PKiPfP15HIP_vector_typeIfLj2EEffffjfiS5_IjLj3EEiiiiiiiiiiiliiliiiiil
    .private_segment_fixed_size: 16
    .sgpr_count:     40
    .sgpr_spill_count: 0
    .symbol:         _ZL15flash_attn_tileILi64ELi64ELi2ELi1ELb1EEvPKcS1_S1_S1_S1_PKiPfP15HIP_vector_typeIfLj2EEffffjfiS5_IjLj3EEiiiiiiiiiiiliiliiiiil.kd
    .uniform_work_group_size: 1
    .uses_dynamic_stack: false
    .vgpr_count:     50
    .vgpr_spill_count: 0
    .wavefront_size: 64
amdhsa.target:   amdgcn-amd-amdhsa--gfx950
amdhsa.version:
  - 1
  - 2
...

	.end_amdgpu_metadata
